;; amdgpu-corpus repo=ROCm/rocThrust kind=compiled arch=gfx942 opt=O3
	.text
	.amdgcn_target "amdgcn-amd-amdhsa--gfx942"
	.amdhsa_code_object_version 6
	.section	.text._ZN6thrust23THRUST_200600_302600_NS11hip_rocprim14__parallel_for6kernelILj256ENS1_20__uninitialized_fill7functorINS0_10device_ptrIaEEaEEmLj1EEEvT0_T1_SA_,"axG",@progbits,_ZN6thrust23THRUST_200600_302600_NS11hip_rocprim14__parallel_for6kernelILj256ENS1_20__uninitialized_fill7functorINS0_10device_ptrIaEEaEEmLj1EEEvT0_T1_SA_,comdat
	.protected	_ZN6thrust23THRUST_200600_302600_NS11hip_rocprim14__parallel_for6kernelILj256ENS1_20__uninitialized_fill7functorINS0_10device_ptrIaEEaEEmLj1EEEvT0_T1_SA_ ; -- Begin function _ZN6thrust23THRUST_200600_302600_NS11hip_rocprim14__parallel_for6kernelILj256ENS1_20__uninitialized_fill7functorINS0_10device_ptrIaEEaEEmLj1EEEvT0_T1_SA_
	.globl	_ZN6thrust23THRUST_200600_302600_NS11hip_rocprim14__parallel_for6kernelILj256ENS1_20__uninitialized_fill7functorINS0_10device_ptrIaEEaEEmLj1EEEvT0_T1_SA_
	.p2align	8
	.type	_ZN6thrust23THRUST_200600_302600_NS11hip_rocprim14__parallel_for6kernelILj256ENS1_20__uninitialized_fill7functorINS0_10device_ptrIaEEaEEmLj1EEEvT0_T1_SA_,@function
_ZN6thrust23THRUST_200600_302600_NS11hip_rocprim14__parallel_for6kernelILj256ENS1_20__uninitialized_fill7functorINS0_10device_ptrIaEEaEEmLj1EEEvT0_T1_SA_: ; @_ZN6thrust23THRUST_200600_302600_NS11hip_rocprim14__parallel_for6kernelILj256ENS1_20__uninitialized_fill7functorINS0_10device_ptrIaEEaEEmLj1EEEvT0_T1_SA_
; %bb.0:
	s_load_dwordx4 s[4:7], s[0:1], 0x10
	s_lshl_b32 s2, s2, 8
	v_mov_b64_e32 v[2:3], 0x100
	s_waitcnt lgkmcnt(0)
	s_add_u32 s6, s2, s6
	s_addc_u32 s7, 0, s7
	s_sub_u32 s2, s4, s6
	s_subb_u32 s3, s5, s7
	v_cmp_lt_u64_e32 vcc, s[2:3], v[2:3]
	s_cbranch_vccz .LBB0_2
; %bb.1:
	v_cmp_gt_u32_e32 vcc, s2, v0
	s_and_b64 s[2:3], vcc, exec
	s_cbranch_execz .LBB0_3
	s_branch .LBB0_4
.LBB0_2:
	s_mov_b64 s[2:3], 0
.LBB0_3:
	s_or_b64 s[2:3], s[2:3], exec
.LBB0_4:
	s_and_saveexec_b64 s[4:5], s[2:3]
	s_cbranch_execnz .LBB0_6
; %bb.5:
	s_endpgm
.LBB0_6:
	s_load_dwordx2 s[2:3], s[0:1], 0x0
	s_load_dword s4, s[0:1], 0x8
	v_mov_b32_e32 v1, 0
	s_waitcnt lgkmcnt(0)
	s_add_u32 s0, s2, s6
	s_addc_u32 s1, s3, s7
	v_lshl_add_u64 v[0:1], s[0:1], 0, v[0:1]
	v_mov_b32_e32 v2, s4
	flat_store_byte v[0:1], v2
	s_endpgm
	.section	.rodata,"a",@progbits
	.p2align	6, 0x0
	.amdhsa_kernel _ZN6thrust23THRUST_200600_302600_NS11hip_rocprim14__parallel_for6kernelILj256ENS1_20__uninitialized_fill7functorINS0_10device_ptrIaEEaEEmLj1EEEvT0_T1_SA_
		.amdhsa_group_segment_fixed_size 0
		.amdhsa_private_segment_fixed_size 0
		.amdhsa_kernarg_size 32
		.amdhsa_user_sgpr_count 2
		.amdhsa_user_sgpr_dispatch_ptr 0
		.amdhsa_user_sgpr_queue_ptr 0
		.amdhsa_user_sgpr_kernarg_segment_ptr 1
		.amdhsa_user_sgpr_dispatch_id 0
		.amdhsa_user_sgpr_kernarg_preload_length 0
		.amdhsa_user_sgpr_kernarg_preload_offset 0
		.amdhsa_user_sgpr_private_segment_size 0
		.amdhsa_uses_dynamic_stack 0
		.amdhsa_enable_private_segment 0
		.amdhsa_system_sgpr_workgroup_id_x 1
		.amdhsa_system_sgpr_workgroup_id_y 0
		.amdhsa_system_sgpr_workgroup_id_z 0
		.amdhsa_system_sgpr_workgroup_info 0
		.amdhsa_system_vgpr_workitem_id 0
		.amdhsa_next_free_vgpr 4
		.amdhsa_next_free_sgpr 8
		.amdhsa_accum_offset 4
		.amdhsa_reserve_vcc 1
		.amdhsa_float_round_mode_32 0
		.amdhsa_float_round_mode_16_64 0
		.amdhsa_float_denorm_mode_32 3
		.amdhsa_float_denorm_mode_16_64 3
		.amdhsa_dx10_clamp 1
		.amdhsa_ieee_mode 1
		.amdhsa_fp16_overflow 0
		.amdhsa_tg_split 0
		.amdhsa_exception_fp_ieee_invalid_op 0
		.amdhsa_exception_fp_denorm_src 0
		.amdhsa_exception_fp_ieee_div_zero 0
		.amdhsa_exception_fp_ieee_overflow 0
		.amdhsa_exception_fp_ieee_underflow 0
		.amdhsa_exception_fp_ieee_inexact 0
		.amdhsa_exception_int_div_zero 0
	.end_amdhsa_kernel
	.section	.text._ZN6thrust23THRUST_200600_302600_NS11hip_rocprim14__parallel_for6kernelILj256ENS1_20__uninitialized_fill7functorINS0_10device_ptrIaEEaEEmLj1EEEvT0_T1_SA_,"axG",@progbits,_ZN6thrust23THRUST_200600_302600_NS11hip_rocprim14__parallel_for6kernelILj256ENS1_20__uninitialized_fill7functorINS0_10device_ptrIaEEaEEmLj1EEEvT0_T1_SA_,comdat
.Lfunc_end0:
	.size	_ZN6thrust23THRUST_200600_302600_NS11hip_rocprim14__parallel_for6kernelILj256ENS1_20__uninitialized_fill7functorINS0_10device_ptrIaEEaEEmLj1EEEvT0_T1_SA_, .Lfunc_end0-_ZN6thrust23THRUST_200600_302600_NS11hip_rocprim14__parallel_for6kernelILj256ENS1_20__uninitialized_fill7functorINS0_10device_ptrIaEEaEEmLj1EEEvT0_T1_SA_
                                        ; -- End function
	.section	.AMDGPU.csdata,"",@progbits
; Kernel info:
; codeLenInByte = 140
; NumSgprs: 14
; NumVgprs: 4
; NumAgprs: 0
; TotalNumVgprs: 4
; ScratchSize: 0
; MemoryBound: 0
; FloatMode: 240
; IeeeMode: 1
; LDSByteSize: 0 bytes/workgroup (compile time only)
; SGPRBlocks: 1
; VGPRBlocks: 0
; NumSGPRsForWavesPerEU: 14
; NumVGPRsForWavesPerEU: 4
; AccumOffset: 4
; Occupancy: 8
; WaveLimiterHint : 0
; COMPUTE_PGM_RSRC2:SCRATCH_EN: 0
; COMPUTE_PGM_RSRC2:USER_SGPR: 2
; COMPUTE_PGM_RSRC2:TRAP_HANDLER: 0
; COMPUTE_PGM_RSRC2:TGID_X_EN: 1
; COMPUTE_PGM_RSRC2:TGID_Y_EN: 0
; COMPUTE_PGM_RSRC2:TGID_Z_EN: 0
; COMPUTE_PGM_RSRC2:TIDIG_COMP_CNT: 0
; COMPUTE_PGM_RSRC3_GFX90A:ACCUM_OFFSET: 0
; COMPUTE_PGM_RSRC3_GFX90A:TG_SPLIT: 0
	.section	.text._ZN7rocprim17ROCPRIM_400000_NS6detail17trampoline_kernelINS0_14default_configENS1_35adjacent_difference_config_selectorILb0EaEEZNS1_24adjacent_difference_implIS3_Lb0ELb0EPaS7_N6thrust23THRUST_200600_302600_NS5minusIaEEEE10hipError_tPvRmT2_T3_mT4_P12ihipStream_tbEUlT_E_NS1_11comp_targetILNS1_3genE0ELNS1_11target_archE4294967295ELNS1_3gpuE0ELNS1_3repE0EEENS1_30default_config_static_selectorELNS0_4arch9wavefront6targetE1EEEvT1_,"axG",@progbits,_ZN7rocprim17ROCPRIM_400000_NS6detail17trampoline_kernelINS0_14default_configENS1_35adjacent_difference_config_selectorILb0EaEEZNS1_24adjacent_difference_implIS3_Lb0ELb0EPaS7_N6thrust23THRUST_200600_302600_NS5minusIaEEEE10hipError_tPvRmT2_T3_mT4_P12ihipStream_tbEUlT_E_NS1_11comp_targetILNS1_3genE0ELNS1_11target_archE4294967295ELNS1_3gpuE0ELNS1_3repE0EEENS1_30default_config_static_selectorELNS0_4arch9wavefront6targetE1EEEvT1_,comdat
	.protected	_ZN7rocprim17ROCPRIM_400000_NS6detail17trampoline_kernelINS0_14default_configENS1_35adjacent_difference_config_selectorILb0EaEEZNS1_24adjacent_difference_implIS3_Lb0ELb0EPaS7_N6thrust23THRUST_200600_302600_NS5minusIaEEEE10hipError_tPvRmT2_T3_mT4_P12ihipStream_tbEUlT_E_NS1_11comp_targetILNS1_3genE0ELNS1_11target_archE4294967295ELNS1_3gpuE0ELNS1_3repE0EEENS1_30default_config_static_selectorELNS0_4arch9wavefront6targetE1EEEvT1_ ; -- Begin function _ZN7rocprim17ROCPRIM_400000_NS6detail17trampoline_kernelINS0_14default_configENS1_35adjacent_difference_config_selectorILb0EaEEZNS1_24adjacent_difference_implIS3_Lb0ELb0EPaS7_N6thrust23THRUST_200600_302600_NS5minusIaEEEE10hipError_tPvRmT2_T3_mT4_P12ihipStream_tbEUlT_E_NS1_11comp_targetILNS1_3genE0ELNS1_11target_archE4294967295ELNS1_3gpuE0ELNS1_3repE0EEENS1_30default_config_static_selectorELNS0_4arch9wavefront6targetE1EEEvT1_
	.globl	_ZN7rocprim17ROCPRIM_400000_NS6detail17trampoline_kernelINS0_14default_configENS1_35adjacent_difference_config_selectorILb0EaEEZNS1_24adjacent_difference_implIS3_Lb0ELb0EPaS7_N6thrust23THRUST_200600_302600_NS5minusIaEEEE10hipError_tPvRmT2_T3_mT4_P12ihipStream_tbEUlT_E_NS1_11comp_targetILNS1_3genE0ELNS1_11target_archE4294967295ELNS1_3gpuE0ELNS1_3repE0EEENS1_30default_config_static_selectorELNS0_4arch9wavefront6targetE1EEEvT1_
	.p2align	8
	.type	_ZN7rocprim17ROCPRIM_400000_NS6detail17trampoline_kernelINS0_14default_configENS1_35adjacent_difference_config_selectorILb0EaEEZNS1_24adjacent_difference_implIS3_Lb0ELb0EPaS7_N6thrust23THRUST_200600_302600_NS5minusIaEEEE10hipError_tPvRmT2_T3_mT4_P12ihipStream_tbEUlT_E_NS1_11comp_targetILNS1_3genE0ELNS1_11target_archE4294967295ELNS1_3gpuE0ELNS1_3repE0EEENS1_30default_config_static_selectorELNS0_4arch9wavefront6targetE1EEEvT1_,@function
_ZN7rocprim17ROCPRIM_400000_NS6detail17trampoline_kernelINS0_14default_configENS1_35adjacent_difference_config_selectorILb0EaEEZNS1_24adjacent_difference_implIS3_Lb0ELb0EPaS7_N6thrust23THRUST_200600_302600_NS5minusIaEEEE10hipError_tPvRmT2_T3_mT4_P12ihipStream_tbEUlT_E_NS1_11comp_targetILNS1_3genE0ELNS1_11target_archE4294967295ELNS1_3gpuE0ELNS1_3repE0EEENS1_30default_config_static_selectorELNS0_4arch9wavefront6targetE1EEEvT1_: ; @_ZN7rocprim17ROCPRIM_400000_NS6detail17trampoline_kernelINS0_14default_configENS1_35adjacent_difference_config_selectorILb0EaEEZNS1_24adjacent_difference_implIS3_Lb0ELb0EPaS7_N6thrust23THRUST_200600_302600_NS5minusIaEEEE10hipError_tPvRmT2_T3_mT4_P12ihipStream_tbEUlT_E_NS1_11comp_targetILNS1_3genE0ELNS1_11target_archE4294967295ELNS1_3gpuE0ELNS1_3repE0EEENS1_30default_config_static_selectorELNS0_4arch9wavefront6targetE1EEEvT1_
; %bb.0:
	.section	.rodata,"a",@progbits
	.p2align	6, 0x0
	.amdhsa_kernel _ZN7rocprim17ROCPRIM_400000_NS6detail17trampoline_kernelINS0_14default_configENS1_35adjacent_difference_config_selectorILb0EaEEZNS1_24adjacent_difference_implIS3_Lb0ELb0EPaS7_N6thrust23THRUST_200600_302600_NS5minusIaEEEE10hipError_tPvRmT2_T3_mT4_P12ihipStream_tbEUlT_E_NS1_11comp_targetILNS1_3genE0ELNS1_11target_archE4294967295ELNS1_3gpuE0ELNS1_3repE0EEENS1_30default_config_static_selectorELNS0_4arch9wavefront6targetE1EEEvT1_
		.amdhsa_group_segment_fixed_size 0
		.amdhsa_private_segment_fixed_size 0
		.amdhsa_kernarg_size 56
		.amdhsa_user_sgpr_count 2
		.amdhsa_user_sgpr_dispatch_ptr 0
		.amdhsa_user_sgpr_queue_ptr 0
		.amdhsa_user_sgpr_kernarg_segment_ptr 1
		.amdhsa_user_sgpr_dispatch_id 0
		.amdhsa_user_sgpr_kernarg_preload_length 0
		.amdhsa_user_sgpr_kernarg_preload_offset 0
		.amdhsa_user_sgpr_private_segment_size 0
		.amdhsa_uses_dynamic_stack 0
		.amdhsa_enable_private_segment 0
		.amdhsa_system_sgpr_workgroup_id_x 1
		.amdhsa_system_sgpr_workgroup_id_y 0
		.amdhsa_system_sgpr_workgroup_id_z 0
		.amdhsa_system_sgpr_workgroup_info 0
		.amdhsa_system_vgpr_workitem_id 0
		.amdhsa_next_free_vgpr 1
		.amdhsa_next_free_sgpr 0
		.amdhsa_accum_offset 4
		.amdhsa_reserve_vcc 0
		.amdhsa_float_round_mode_32 0
		.amdhsa_float_round_mode_16_64 0
		.amdhsa_float_denorm_mode_32 3
		.amdhsa_float_denorm_mode_16_64 3
		.amdhsa_dx10_clamp 1
		.amdhsa_ieee_mode 1
		.amdhsa_fp16_overflow 0
		.amdhsa_tg_split 0
		.amdhsa_exception_fp_ieee_invalid_op 0
		.amdhsa_exception_fp_denorm_src 0
		.amdhsa_exception_fp_ieee_div_zero 0
		.amdhsa_exception_fp_ieee_overflow 0
		.amdhsa_exception_fp_ieee_underflow 0
		.amdhsa_exception_fp_ieee_inexact 0
		.amdhsa_exception_int_div_zero 0
	.end_amdhsa_kernel
	.section	.text._ZN7rocprim17ROCPRIM_400000_NS6detail17trampoline_kernelINS0_14default_configENS1_35adjacent_difference_config_selectorILb0EaEEZNS1_24adjacent_difference_implIS3_Lb0ELb0EPaS7_N6thrust23THRUST_200600_302600_NS5minusIaEEEE10hipError_tPvRmT2_T3_mT4_P12ihipStream_tbEUlT_E_NS1_11comp_targetILNS1_3genE0ELNS1_11target_archE4294967295ELNS1_3gpuE0ELNS1_3repE0EEENS1_30default_config_static_selectorELNS0_4arch9wavefront6targetE1EEEvT1_,"axG",@progbits,_ZN7rocprim17ROCPRIM_400000_NS6detail17trampoline_kernelINS0_14default_configENS1_35adjacent_difference_config_selectorILb0EaEEZNS1_24adjacent_difference_implIS3_Lb0ELb0EPaS7_N6thrust23THRUST_200600_302600_NS5minusIaEEEE10hipError_tPvRmT2_T3_mT4_P12ihipStream_tbEUlT_E_NS1_11comp_targetILNS1_3genE0ELNS1_11target_archE4294967295ELNS1_3gpuE0ELNS1_3repE0EEENS1_30default_config_static_selectorELNS0_4arch9wavefront6targetE1EEEvT1_,comdat
.Lfunc_end1:
	.size	_ZN7rocprim17ROCPRIM_400000_NS6detail17trampoline_kernelINS0_14default_configENS1_35adjacent_difference_config_selectorILb0EaEEZNS1_24adjacent_difference_implIS3_Lb0ELb0EPaS7_N6thrust23THRUST_200600_302600_NS5minusIaEEEE10hipError_tPvRmT2_T3_mT4_P12ihipStream_tbEUlT_E_NS1_11comp_targetILNS1_3genE0ELNS1_11target_archE4294967295ELNS1_3gpuE0ELNS1_3repE0EEENS1_30default_config_static_selectorELNS0_4arch9wavefront6targetE1EEEvT1_, .Lfunc_end1-_ZN7rocprim17ROCPRIM_400000_NS6detail17trampoline_kernelINS0_14default_configENS1_35adjacent_difference_config_selectorILb0EaEEZNS1_24adjacent_difference_implIS3_Lb0ELb0EPaS7_N6thrust23THRUST_200600_302600_NS5minusIaEEEE10hipError_tPvRmT2_T3_mT4_P12ihipStream_tbEUlT_E_NS1_11comp_targetILNS1_3genE0ELNS1_11target_archE4294967295ELNS1_3gpuE0ELNS1_3repE0EEENS1_30default_config_static_selectorELNS0_4arch9wavefront6targetE1EEEvT1_
                                        ; -- End function
	.section	.AMDGPU.csdata,"",@progbits
; Kernel info:
; codeLenInByte = 0
; NumSgprs: 6
; NumVgprs: 0
; NumAgprs: 0
; TotalNumVgprs: 0
; ScratchSize: 0
; MemoryBound: 0
; FloatMode: 240
; IeeeMode: 1
; LDSByteSize: 0 bytes/workgroup (compile time only)
; SGPRBlocks: 0
; VGPRBlocks: 0
; NumSGPRsForWavesPerEU: 6
; NumVGPRsForWavesPerEU: 1
; AccumOffset: 4
; Occupancy: 8
; WaveLimiterHint : 0
; COMPUTE_PGM_RSRC2:SCRATCH_EN: 0
; COMPUTE_PGM_RSRC2:USER_SGPR: 2
; COMPUTE_PGM_RSRC2:TRAP_HANDLER: 0
; COMPUTE_PGM_RSRC2:TGID_X_EN: 1
; COMPUTE_PGM_RSRC2:TGID_Y_EN: 0
; COMPUTE_PGM_RSRC2:TGID_Z_EN: 0
; COMPUTE_PGM_RSRC2:TIDIG_COMP_CNT: 0
; COMPUTE_PGM_RSRC3_GFX90A:ACCUM_OFFSET: 0
; COMPUTE_PGM_RSRC3_GFX90A:TG_SPLIT: 0
	.section	.text._ZN7rocprim17ROCPRIM_400000_NS6detail17trampoline_kernelINS0_14default_configENS1_35adjacent_difference_config_selectorILb0EaEEZNS1_24adjacent_difference_implIS3_Lb0ELb0EPaS7_N6thrust23THRUST_200600_302600_NS5minusIaEEEE10hipError_tPvRmT2_T3_mT4_P12ihipStream_tbEUlT_E_NS1_11comp_targetILNS1_3genE10ELNS1_11target_archE1201ELNS1_3gpuE5ELNS1_3repE0EEENS1_30default_config_static_selectorELNS0_4arch9wavefront6targetE1EEEvT1_,"axG",@progbits,_ZN7rocprim17ROCPRIM_400000_NS6detail17trampoline_kernelINS0_14default_configENS1_35adjacent_difference_config_selectorILb0EaEEZNS1_24adjacent_difference_implIS3_Lb0ELb0EPaS7_N6thrust23THRUST_200600_302600_NS5minusIaEEEE10hipError_tPvRmT2_T3_mT4_P12ihipStream_tbEUlT_E_NS1_11comp_targetILNS1_3genE10ELNS1_11target_archE1201ELNS1_3gpuE5ELNS1_3repE0EEENS1_30default_config_static_selectorELNS0_4arch9wavefront6targetE1EEEvT1_,comdat
	.protected	_ZN7rocprim17ROCPRIM_400000_NS6detail17trampoline_kernelINS0_14default_configENS1_35adjacent_difference_config_selectorILb0EaEEZNS1_24adjacent_difference_implIS3_Lb0ELb0EPaS7_N6thrust23THRUST_200600_302600_NS5minusIaEEEE10hipError_tPvRmT2_T3_mT4_P12ihipStream_tbEUlT_E_NS1_11comp_targetILNS1_3genE10ELNS1_11target_archE1201ELNS1_3gpuE5ELNS1_3repE0EEENS1_30default_config_static_selectorELNS0_4arch9wavefront6targetE1EEEvT1_ ; -- Begin function _ZN7rocprim17ROCPRIM_400000_NS6detail17trampoline_kernelINS0_14default_configENS1_35adjacent_difference_config_selectorILb0EaEEZNS1_24adjacent_difference_implIS3_Lb0ELb0EPaS7_N6thrust23THRUST_200600_302600_NS5minusIaEEEE10hipError_tPvRmT2_T3_mT4_P12ihipStream_tbEUlT_E_NS1_11comp_targetILNS1_3genE10ELNS1_11target_archE1201ELNS1_3gpuE5ELNS1_3repE0EEENS1_30default_config_static_selectorELNS0_4arch9wavefront6targetE1EEEvT1_
	.globl	_ZN7rocprim17ROCPRIM_400000_NS6detail17trampoline_kernelINS0_14default_configENS1_35adjacent_difference_config_selectorILb0EaEEZNS1_24adjacent_difference_implIS3_Lb0ELb0EPaS7_N6thrust23THRUST_200600_302600_NS5minusIaEEEE10hipError_tPvRmT2_T3_mT4_P12ihipStream_tbEUlT_E_NS1_11comp_targetILNS1_3genE10ELNS1_11target_archE1201ELNS1_3gpuE5ELNS1_3repE0EEENS1_30default_config_static_selectorELNS0_4arch9wavefront6targetE1EEEvT1_
	.p2align	8
	.type	_ZN7rocprim17ROCPRIM_400000_NS6detail17trampoline_kernelINS0_14default_configENS1_35adjacent_difference_config_selectorILb0EaEEZNS1_24adjacent_difference_implIS3_Lb0ELb0EPaS7_N6thrust23THRUST_200600_302600_NS5minusIaEEEE10hipError_tPvRmT2_T3_mT4_P12ihipStream_tbEUlT_E_NS1_11comp_targetILNS1_3genE10ELNS1_11target_archE1201ELNS1_3gpuE5ELNS1_3repE0EEENS1_30default_config_static_selectorELNS0_4arch9wavefront6targetE1EEEvT1_,@function
_ZN7rocprim17ROCPRIM_400000_NS6detail17trampoline_kernelINS0_14default_configENS1_35adjacent_difference_config_selectorILb0EaEEZNS1_24adjacent_difference_implIS3_Lb0ELb0EPaS7_N6thrust23THRUST_200600_302600_NS5minusIaEEEE10hipError_tPvRmT2_T3_mT4_P12ihipStream_tbEUlT_E_NS1_11comp_targetILNS1_3genE10ELNS1_11target_archE1201ELNS1_3gpuE5ELNS1_3repE0EEENS1_30default_config_static_selectorELNS0_4arch9wavefront6targetE1EEEvT1_: ; @_ZN7rocprim17ROCPRIM_400000_NS6detail17trampoline_kernelINS0_14default_configENS1_35adjacent_difference_config_selectorILb0EaEEZNS1_24adjacent_difference_implIS3_Lb0ELb0EPaS7_N6thrust23THRUST_200600_302600_NS5minusIaEEEE10hipError_tPvRmT2_T3_mT4_P12ihipStream_tbEUlT_E_NS1_11comp_targetILNS1_3genE10ELNS1_11target_archE1201ELNS1_3gpuE5ELNS1_3repE0EEENS1_30default_config_static_selectorELNS0_4arch9wavefront6targetE1EEEvT1_
; %bb.0:
	.section	.rodata,"a",@progbits
	.p2align	6, 0x0
	.amdhsa_kernel _ZN7rocprim17ROCPRIM_400000_NS6detail17trampoline_kernelINS0_14default_configENS1_35adjacent_difference_config_selectorILb0EaEEZNS1_24adjacent_difference_implIS3_Lb0ELb0EPaS7_N6thrust23THRUST_200600_302600_NS5minusIaEEEE10hipError_tPvRmT2_T3_mT4_P12ihipStream_tbEUlT_E_NS1_11comp_targetILNS1_3genE10ELNS1_11target_archE1201ELNS1_3gpuE5ELNS1_3repE0EEENS1_30default_config_static_selectorELNS0_4arch9wavefront6targetE1EEEvT1_
		.amdhsa_group_segment_fixed_size 0
		.amdhsa_private_segment_fixed_size 0
		.amdhsa_kernarg_size 56
		.amdhsa_user_sgpr_count 2
		.amdhsa_user_sgpr_dispatch_ptr 0
		.amdhsa_user_sgpr_queue_ptr 0
		.amdhsa_user_sgpr_kernarg_segment_ptr 1
		.amdhsa_user_sgpr_dispatch_id 0
		.amdhsa_user_sgpr_kernarg_preload_length 0
		.amdhsa_user_sgpr_kernarg_preload_offset 0
		.amdhsa_user_sgpr_private_segment_size 0
		.amdhsa_uses_dynamic_stack 0
		.amdhsa_enable_private_segment 0
		.amdhsa_system_sgpr_workgroup_id_x 1
		.amdhsa_system_sgpr_workgroup_id_y 0
		.amdhsa_system_sgpr_workgroup_id_z 0
		.amdhsa_system_sgpr_workgroup_info 0
		.amdhsa_system_vgpr_workitem_id 0
		.amdhsa_next_free_vgpr 1
		.amdhsa_next_free_sgpr 0
		.amdhsa_accum_offset 4
		.amdhsa_reserve_vcc 0
		.amdhsa_float_round_mode_32 0
		.amdhsa_float_round_mode_16_64 0
		.amdhsa_float_denorm_mode_32 3
		.amdhsa_float_denorm_mode_16_64 3
		.amdhsa_dx10_clamp 1
		.amdhsa_ieee_mode 1
		.amdhsa_fp16_overflow 0
		.amdhsa_tg_split 0
		.amdhsa_exception_fp_ieee_invalid_op 0
		.amdhsa_exception_fp_denorm_src 0
		.amdhsa_exception_fp_ieee_div_zero 0
		.amdhsa_exception_fp_ieee_overflow 0
		.amdhsa_exception_fp_ieee_underflow 0
		.amdhsa_exception_fp_ieee_inexact 0
		.amdhsa_exception_int_div_zero 0
	.end_amdhsa_kernel
	.section	.text._ZN7rocprim17ROCPRIM_400000_NS6detail17trampoline_kernelINS0_14default_configENS1_35adjacent_difference_config_selectorILb0EaEEZNS1_24adjacent_difference_implIS3_Lb0ELb0EPaS7_N6thrust23THRUST_200600_302600_NS5minusIaEEEE10hipError_tPvRmT2_T3_mT4_P12ihipStream_tbEUlT_E_NS1_11comp_targetILNS1_3genE10ELNS1_11target_archE1201ELNS1_3gpuE5ELNS1_3repE0EEENS1_30default_config_static_selectorELNS0_4arch9wavefront6targetE1EEEvT1_,"axG",@progbits,_ZN7rocprim17ROCPRIM_400000_NS6detail17trampoline_kernelINS0_14default_configENS1_35adjacent_difference_config_selectorILb0EaEEZNS1_24adjacent_difference_implIS3_Lb0ELb0EPaS7_N6thrust23THRUST_200600_302600_NS5minusIaEEEE10hipError_tPvRmT2_T3_mT4_P12ihipStream_tbEUlT_E_NS1_11comp_targetILNS1_3genE10ELNS1_11target_archE1201ELNS1_3gpuE5ELNS1_3repE0EEENS1_30default_config_static_selectorELNS0_4arch9wavefront6targetE1EEEvT1_,comdat
.Lfunc_end2:
	.size	_ZN7rocprim17ROCPRIM_400000_NS6detail17trampoline_kernelINS0_14default_configENS1_35adjacent_difference_config_selectorILb0EaEEZNS1_24adjacent_difference_implIS3_Lb0ELb0EPaS7_N6thrust23THRUST_200600_302600_NS5minusIaEEEE10hipError_tPvRmT2_T3_mT4_P12ihipStream_tbEUlT_E_NS1_11comp_targetILNS1_3genE10ELNS1_11target_archE1201ELNS1_3gpuE5ELNS1_3repE0EEENS1_30default_config_static_selectorELNS0_4arch9wavefront6targetE1EEEvT1_, .Lfunc_end2-_ZN7rocprim17ROCPRIM_400000_NS6detail17trampoline_kernelINS0_14default_configENS1_35adjacent_difference_config_selectorILb0EaEEZNS1_24adjacent_difference_implIS3_Lb0ELb0EPaS7_N6thrust23THRUST_200600_302600_NS5minusIaEEEE10hipError_tPvRmT2_T3_mT4_P12ihipStream_tbEUlT_E_NS1_11comp_targetILNS1_3genE10ELNS1_11target_archE1201ELNS1_3gpuE5ELNS1_3repE0EEENS1_30default_config_static_selectorELNS0_4arch9wavefront6targetE1EEEvT1_
                                        ; -- End function
	.section	.AMDGPU.csdata,"",@progbits
; Kernel info:
; codeLenInByte = 0
; NumSgprs: 6
; NumVgprs: 0
; NumAgprs: 0
; TotalNumVgprs: 0
; ScratchSize: 0
; MemoryBound: 0
; FloatMode: 240
; IeeeMode: 1
; LDSByteSize: 0 bytes/workgroup (compile time only)
; SGPRBlocks: 0
; VGPRBlocks: 0
; NumSGPRsForWavesPerEU: 6
; NumVGPRsForWavesPerEU: 1
; AccumOffset: 4
; Occupancy: 8
; WaveLimiterHint : 0
; COMPUTE_PGM_RSRC2:SCRATCH_EN: 0
; COMPUTE_PGM_RSRC2:USER_SGPR: 2
; COMPUTE_PGM_RSRC2:TRAP_HANDLER: 0
; COMPUTE_PGM_RSRC2:TGID_X_EN: 1
; COMPUTE_PGM_RSRC2:TGID_Y_EN: 0
; COMPUTE_PGM_RSRC2:TGID_Z_EN: 0
; COMPUTE_PGM_RSRC2:TIDIG_COMP_CNT: 0
; COMPUTE_PGM_RSRC3_GFX90A:ACCUM_OFFSET: 0
; COMPUTE_PGM_RSRC3_GFX90A:TG_SPLIT: 0
	.section	.text._ZN7rocprim17ROCPRIM_400000_NS6detail17trampoline_kernelINS0_14default_configENS1_35adjacent_difference_config_selectorILb0EaEEZNS1_24adjacent_difference_implIS3_Lb0ELb0EPaS7_N6thrust23THRUST_200600_302600_NS5minusIaEEEE10hipError_tPvRmT2_T3_mT4_P12ihipStream_tbEUlT_E_NS1_11comp_targetILNS1_3genE5ELNS1_11target_archE942ELNS1_3gpuE9ELNS1_3repE0EEENS1_30default_config_static_selectorELNS0_4arch9wavefront6targetE1EEEvT1_,"axG",@progbits,_ZN7rocprim17ROCPRIM_400000_NS6detail17trampoline_kernelINS0_14default_configENS1_35adjacent_difference_config_selectorILb0EaEEZNS1_24adjacent_difference_implIS3_Lb0ELb0EPaS7_N6thrust23THRUST_200600_302600_NS5minusIaEEEE10hipError_tPvRmT2_T3_mT4_P12ihipStream_tbEUlT_E_NS1_11comp_targetILNS1_3genE5ELNS1_11target_archE942ELNS1_3gpuE9ELNS1_3repE0EEENS1_30default_config_static_selectorELNS0_4arch9wavefront6targetE1EEEvT1_,comdat
	.protected	_ZN7rocprim17ROCPRIM_400000_NS6detail17trampoline_kernelINS0_14default_configENS1_35adjacent_difference_config_selectorILb0EaEEZNS1_24adjacent_difference_implIS3_Lb0ELb0EPaS7_N6thrust23THRUST_200600_302600_NS5minusIaEEEE10hipError_tPvRmT2_T3_mT4_P12ihipStream_tbEUlT_E_NS1_11comp_targetILNS1_3genE5ELNS1_11target_archE942ELNS1_3gpuE9ELNS1_3repE0EEENS1_30default_config_static_selectorELNS0_4arch9wavefront6targetE1EEEvT1_ ; -- Begin function _ZN7rocprim17ROCPRIM_400000_NS6detail17trampoline_kernelINS0_14default_configENS1_35adjacent_difference_config_selectorILb0EaEEZNS1_24adjacent_difference_implIS3_Lb0ELb0EPaS7_N6thrust23THRUST_200600_302600_NS5minusIaEEEE10hipError_tPvRmT2_T3_mT4_P12ihipStream_tbEUlT_E_NS1_11comp_targetILNS1_3genE5ELNS1_11target_archE942ELNS1_3gpuE9ELNS1_3repE0EEENS1_30default_config_static_selectorELNS0_4arch9wavefront6targetE1EEEvT1_
	.globl	_ZN7rocprim17ROCPRIM_400000_NS6detail17trampoline_kernelINS0_14default_configENS1_35adjacent_difference_config_selectorILb0EaEEZNS1_24adjacent_difference_implIS3_Lb0ELb0EPaS7_N6thrust23THRUST_200600_302600_NS5minusIaEEEE10hipError_tPvRmT2_T3_mT4_P12ihipStream_tbEUlT_E_NS1_11comp_targetILNS1_3genE5ELNS1_11target_archE942ELNS1_3gpuE9ELNS1_3repE0EEENS1_30default_config_static_selectorELNS0_4arch9wavefront6targetE1EEEvT1_
	.p2align	8
	.type	_ZN7rocprim17ROCPRIM_400000_NS6detail17trampoline_kernelINS0_14default_configENS1_35adjacent_difference_config_selectorILb0EaEEZNS1_24adjacent_difference_implIS3_Lb0ELb0EPaS7_N6thrust23THRUST_200600_302600_NS5minusIaEEEE10hipError_tPvRmT2_T3_mT4_P12ihipStream_tbEUlT_E_NS1_11comp_targetILNS1_3genE5ELNS1_11target_archE942ELNS1_3gpuE9ELNS1_3repE0EEENS1_30default_config_static_selectorELNS0_4arch9wavefront6targetE1EEEvT1_,@function
_ZN7rocprim17ROCPRIM_400000_NS6detail17trampoline_kernelINS0_14default_configENS1_35adjacent_difference_config_selectorILb0EaEEZNS1_24adjacent_difference_implIS3_Lb0ELb0EPaS7_N6thrust23THRUST_200600_302600_NS5minusIaEEEE10hipError_tPvRmT2_T3_mT4_P12ihipStream_tbEUlT_E_NS1_11comp_targetILNS1_3genE5ELNS1_11target_archE942ELNS1_3gpuE9ELNS1_3repE0EEENS1_30default_config_static_selectorELNS0_4arch9wavefront6targetE1EEEvT1_: ; @_ZN7rocprim17ROCPRIM_400000_NS6detail17trampoline_kernelINS0_14default_configENS1_35adjacent_difference_config_selectorILb0EaEEZNS1_24adjacent_difference_implIS3_Lb0ELb0EPaS7_N6thrust23THRUST_200600_302600_NS5minusIaEEEE10hipError_tPvRmT2_T3_mT4_P12ihipStream_tbEUlT_E_NS1_11comp_targetILNS1_3genE5ELNS1_11target_archE942ELNS1_3gpuE9ELNS1_3repE0EEENS1_30default_config_static_selectorELNS0_4arch9wavefront6targetE1EEEvT1_
; %bb.0:
	s_load_dwordx8 s[8:15], s[0:1], 0x0
	s_mov_b32 s4, 0x5ca1aca0
	v_bfrev_b32_e32 v1, 6
	s_movk_i32 s3, 0x980
	s_load_dwordx2 s[0:1], s[0:1], 0x30
	s_waitcnt lgkmcnt(0)
	s_add_u32 s6, s8, s10
	s_addc_u32 s7, s9, s11
	s_add_u32 s4, 0x14a, s4
	s_addc_u32 s5, 0, 0
	v_add_co_u32_e32 v1, vcc, s4, v1
	s_cmp_lg_u64 vcc, 0
	v_readfirstlane_b32 s8, v1
	s_addc_u32 s4, s5, 0x1af286
	s_mul_hi_u32 s9, s8, 0xfffff680
	s_mul_i32 s5, s4, 0xfffff680
	s_sub_i32 s9, s9, s8
	s_add_i32 s9, s9, s5
	s_mul_i32 s17, s8, 0xfffff680
	s_mul_hi_u32 s5, s8, s9
	s_mul_i32 s16, s8, s9
	s_mul_hi_u32 s8, s8, s17
	s_add_u32 s8, s8, s16
	s_addc_u32 s5, 0, s5
	s_mul_hi_u32 s18, s4, s17
	s_mul_i32 s17, s4, s17
	s_add_u32 s8, s8, s17
	s_mul_hi_u32 s16, s4, s9
	s_addc_u32 s5, s5, s18
	s_addc_u32 s8, s16, 0
	s_mul_i32 s9, s4, s9
	s_add_u32 s5, s5, s9
	s_addc_u32 s8, 0, s8
	v_add_co_u32_e32 v1, vcc, s5, v1
	s_cmp_lg_u64 vcc, 0
	s_addc_u32 s4, s4, s8
	v_readfirstlane_b32 s9, v1
	s_mul_i32 s8, s14, s4
	s_mul_hi_u32 s16, s14, s9
	s_mul_hi_u32 s5, s14, s4
	s_add_u32 s8, s16, s8
	s_addc_u32 s5, 0, s5
	s_mul_hi_u32 s17, s15, s9
	s_mul_i32 s9, s15, s9
	s_add_u32 s8, s8, s9
	s_mul_hi_u32 s16, s15, s4
	s_addc_u32 s5, s5, s17
	s_addc_u32 s8, s16, 0
	s_mul_i32 s4, s15, s4
	s_add_u32 s4, s5, s4
	s_addc_u32 s5, 0, s8
	s_add_u32 s8, s4, 1
	s_addc_u32 s9, s5, 0
	s_add_u32 s16, s4, 2
	s_mul_i32 s18, s5, 0x980
	s_mul_hi_u32 s19, s4, 0x980
	s_addc_u32 s17, s5, 0
	s_add_i32 s19, s19, s18
	s_mul_i32 s18, s4, 0x980
	v_mov_b32_e32 v1, s18
	v_sub_co_u32_e32 v1, vcc, s14, v1
	s_cmp_lg_u64 vcc, 0
	s_subb_u32 s18, s15, s19
	v_subrev_co_u32_e32 v2, vcc, s3, v1
	s_cmp_lg_u64 vcc, 0
	s_subb_u32 s3, s18, 0
	v_readfirstlane_b32 s19, v2
	s_cmpk_gt_u32 s19, 0x97f
	s_cselect_b32 s19, -1, 0
	s_cmp_eq_u32 s3, 0
	s_cselect_b32 s3, s19, -1
	s_cmp_lg_u32 s3, 0
	s_cselect_b32 s3, s16, s8
	s_cselect_b32 s8, s17, s9
	v_readfirstlane_b32 s9, v1
	s_cmpk_gt_u32 s9, 0x97f
	s_cselect_b32 s9, -1, 0
	s_cmp_eq_u32 s18, 0
	s_cselect_b32 s9, s9, -1
	s_cmp_lg_u32 s9, 0
	s_cselect_b32 s8, s8, s5
	s_cselect_b32 s3, s3, s4
	s_mul_i32 s4, s8, 0x980
	s_mul_hi_u32 s5, s3, 0x980
	s_add_i32 s5, s5, s4
	s_mul_i32 s4, s3, 0x980
	s_sub_u32 s4, s14, s4
	s_subb_u32 s5, s15, s5
	s_cmp_lg_u64 s[4:5], 0
	s_cselect_b64 s[4:5], -1, 0
	v_cndmask_b32_e64 v1, 0, 1, s[4:5]
	s_mul_i32 s20, s2, 0x980
	v_readfirstlane_b32 s4, v1
	s_add_u32 s4, s3, s4
	s_addc_u32 s5, s8, 0
	s_add_u32 s2, s0, s2
	s_addc_u32 s3, s1, 0
	s_add_u32 s8, s4, -1
	s_addc_u32 s9, s5, -1
	v_mov_b64_e32 v[2:3], s[8:9]
	v_cmp_ge_u64_e64 s[0:1], s[2:3], v[2:3]
	s_mov_b64 s[16:17], -1
	s_and_b64 vcc, exec, s[0:1]
	s_mul_i32 s15, s8, 0xfffff680
	s_cbranch_vccz .LBB3_40
; %bb.1:
	s_add_i32 s21, s15, s14
	s_add_u32 s16, s6, s20
	s_addc_u32 s17, s7, 0
	v_cmp_gt_u32_e32 vcc, s21, v0
                                        ; implicit-def: $vgpr1
	s_and_saveexec_b64 s[18:19], vcc
	s_cbranch_execz .LBB3_3
; %bb.2:
	global_load_ubyte v1, v0, s[16:17]
.LBB3_3:
	s_or_b64 exec, exec, s[18:19]
	v_or_b32_e32 v2, 0x80, v0
	v_cmp_gt_u32_e32 vcc, s21, v2
                                        ; implicit-def: $vgpr2
	s_and_saveexec_b64 s[18:19], vcc
	s_cbranch_execz .LBB3_5
; %bb.4:
	global_load_ubyte v2, v0, s[16:17] offset:128
.LBB3_5:
	s_or_b64 exec, exec, s[18:19]
	v_or_b32_e32 v3, 0x100, v0
	v_cmp_gt_u32_e32 vcc, s21, v3
                                        ; implicit-def: $vgpr3
	s_and_saveexec_b64 s[18:19], vcc
	s_cbranch_execz .LBB3_7
; %bb.6:
	global_load_ubyte v3, v0, s[16:17] offset:256
.LBB3_7:
	s_or_b64 exec, exec, s[18:19]
	v_or_b32_e32 v4, 0x180, v0
	v_cmp_gt_u32_e32 vcc, s21, v4
                                        ; implicit-def: $vgpr4
	s_and_saveexec_b64 s[18:19], vcc
	s_cbranch_execz .LBB3_9
; %bb.8:
	global_load_ubyte v4, v0, s[16:17] offset:384
.LBB3_9:
	s_or_b64 exec, exec, s[18:19]
	v_or_b32_e32 v5, 0x200, v0
	v_cmp_gt_u32_e32 vcc, s21, v5
                                        ; implicit-def: $vgpr5
	s_and_saveexec_b64 s[18:19], vcc
	s_cbranch_execz .LBB3_11
; %bb.10:
	global_load_ubyte v5, v0, s[16:17] offset:512
.LBB3_11:
	s_or_b64 exec, exec, s[18:19]
	v_or_b32_e32 v6, 0x280, v0
	v_cmp_gt_u32_e32 vcc, s21, v6
                                        ; implicit-def: $vgpr6
	s_and_saveexec_b64 s[18:19], vcc
	s_cbranch_execz .LBB3_13
; %bb.12:
	global_load_ubyte v6, v0, s[16:17] offset:640
.LBB3_13:
	s_or_b64 exec, exec, s[18:19]
	v_or_b32_e32 v7, 0x300, v0
	v_cmp_gt_u32_e32 vcc, s21, v7
                                        ; implicit-def: $vgpr7
	s_and_saveexec_b64 s[18:19], vcc
	s_cbranch_execz .LBB3_15
; %bb.14:
	global_load_ubyte v7, v0, s[16:17] offset:768
.LBB3_15:
	s_or_b64 exec, exec, s[18:19]
	v_or_b32_e32 v8, 0x380, v0
	v_cmp_gt_u32_e32 vcc, s21, v8
                                        ; implicit-def: $vgpr8
	s_and_saveexec_b64 s[18:19], vcc
	s_cbranch_execz .LBB3_17
; %bb.16:
	global_load_ubyte v8, v0, s[16:17] offset:896
.LBB3_17:
	s_or_b64 exec, exec, s[18:19]
	v_or_b32_e32 v9, 0x400, v0
	v_cmp_gt_u32_e32 vcc, s21, v9
                                        ; implicit-def: $vgpr9
	s_and_saveexec_b64 s[18:19], vcc
	s_cbranch_execz .LBB3_19
; %bb.18:
	global_load_ubyte v9, v0, s[16:17] offset:1024
.LBB3_19:
	s_or_b64 exec, exec, s[18:19]
	v_or_b32_e32 v10, 0x480, v0
	v_cmp_gt_u32_e32 vcc, s21, v10
                                        ; implicit-def: $vgpr10
	s_and_saveexec_b64 s[18:19], vcc
	s_cbranch_execz .LBB3_21
; %bb.20:
	global_load_ubyte v10, v0, s[16:17] offset:1152
.LBB3_21:
	s_or_b64 exec, exec, s[18:19]
	v_or_b32_e32 v11, 0x500, v0
	v_cmp_gt_u32_e32 vcc, s21, v11
                                        ; implicit-def: $vgpr11
	s_and_saveexec_b64 s[18:19], vcc
	s_cbranch_execz .LBB3_23
; %bb.22:
	global_load_ubyte v11, v0, s[16:17] offset:1280
.LBB3_23:
	s_or_b64 exec, exec, s[18:19]
	v_or_b32_e32 v12, 0x580, v0
	v_cmp_gt_u32_e32 vcc, s21, v12
                                        ; implicit-def: $vgpr12
	s_and_saveexec_b64 s[18:19], vcc
	s_cbranch_execz .LBB3_25
; %bb.24:
	global_load_ubyte v12, v0, s[16:17] offset:1408
.LBB3_25:
	s_or_b64 exec, exec, s[18:19]
	v_or_b32_e32 v13, 0x600, v0
	v_cmp_gt_u32_e32 vcc, s21, v13
                                        ; implicit-def: $vgpr13
	s_and_saveexec_b64 s[18:19], vcc
	s_cbranch_execz .LBB3_27
; %bb.26:
	global_load_ubyte v13, v0, s[16:17] offset:1536
.LBB3_27:
	s_or_b64 exec, exec, s[18:19]
	v_or_b32_e32 v14, 0x680, v0
	v_cmp_gt_u32_e32 vcc, s21, v14
                                        ; implicit-def: $vgpr14
	s_and_saveexec_b64 s[18:19], vcc
	s_cbranch_execz .LBB3_29
; %bb.28:
	global_load_ubyte v14, v0, s[16:17] offset:1664
.LBB3_29:
	s_or_b64 exec, exec, s[18:19]
	v_or_b32_e32 v15, 0x700, v0
	v_cmp_gt_u32_e32 vcc, s21, v15
                                        ; implicit-def: $vgpr15
	s_and_saveexec_b64 s[18:19], vcc
	s_cbranch_execz .LBB3_31
; %bb.30:
	global_load_ubyte v15, v0, s[16:17] offset:1792
.LBB3_31:
	s_or_b64 exec, exec, s[18:19]
	v_or_b32_e32 v16, 0x780, v0
	v_cmp_gt_u32_e32 vcc, s21, v16
                                        ; implicit-def: $vgpr16
	s_and_saveexec_b64 s[18:19], vcc
	s_cbranch_execz .LBB3_33
; %bb.32:
	global_load_ubyte v16, v0, s[16:17] offset:1920
.LBB3_33:
	s_or_b64 exec, exec, s[18:19]
	v_or_b32_e32 v17, 0x800, v0
	v_cmp_gt_u32_e32 vcc, s21, v17
                                        ; implicit-def: $vgpr17
	s_and_saveexec_b64 s[18:19], vcc
	s_cbranch_execz .LBB3_35
; %bb.34:
	global_load_ubyte v17, v0, s[16:17] offset:2048
.LBB3_35:
	s_or_b64 exec, exec, s[18:19]
	v_or_b32_e32 v18, 0x880, v0
	v_cmp_gt_u32_e32 vcc, s21, v18
                                        ; implicit-def: $vgpr18
	s_and_saveexec_b64 s[18:19], vcc
	s_cbranch_execz .LBB3_37
; %bb.36:
	global_load_ubyte v18, v0, s[16:17] offset:2176
.LBB3_37:
	s_or_b64 exec, exec, s[18:19]
	v_or_b32_e32 v19, 0x900, v0
	v_cmp_gt_u32_e32 vcc, s21, v19
                                        ; implicit-def: $vgpr19
	s_and_saveexec_b64 s[18:19], vcc
	s_cbranch_execz .LBB3_39
; %bb.38:
	global_load_ubyte v19, v0, s[16:17] offset:2304
.LBB3_39:
	s_or_b64 exec, exec, s[18:19]
	s_mov_b64 s[16:17], 0
	s_waitcnt vmcnt(0)
	ds_write_b8 v0, v1
	ds_write_b8 v0, v2 offset:128
	ds_write_b8 v0, v3 offset:256
	;; [unrolled: 1-line block ×18, first 2 shown]
	s_waitcnt lgkmcnt(0)
	s_barrier
.LBB3_40:
	s_and_b64 vcc, exec, s[16:17]
	s_cbranch_vccz .LBB3_42
; %bb.41:
	s_add_u32 s16, s6, s20
	s_addc_u32 s17, s7, 0
	global_load_ubyte v1, v0, s[16:17]
	global_load_ubyte v2, v0, s[16:17] offset:128
	global_load_ubyte v3, v0, s[16:17] offset:256
	;; [unrolled: 1-line block ×18, first 2 shown]
	s_waitcnt vmcnt(18)
	ds_write_b8 v0, v1
	s_waitcnt vmcnt(17)
	ds_write_b8 v0, v2 offset:128
	s_waitcnt vmcnt(16)
	ds_write_b8 v0, v3 offset:256
	;; [unrolled: 2-line block ×18, first 2 shown]
	s_waitcnt lgkmcnt(0)
	s_barrier
.LBB3_42:
	v_mul_u32_u24_e32 v1, 19, v0
	ds_read_u8 v7, v1
	ds_read_b64 v[4:5], v1 offset:1
	ds_read_u8 v6, v1 offset:9
	ds_read_b64 v[2:3], v1 offset:10
	ds_read_u8 v1, v1 offset:18
	s_cmp_eq_u64 s[2:3], 0
	s_waitcnt lgkmcnt(0)
	s_barrier
	s_cbranch_scc1 .LBB3_47
; %bb.43:
	v_mov_b32_e32 v8, s20
	global_load_ubyte v12, v8, s[6:7] offset:-1
	s_cmp_eq_u64 s[2:3], s[8:9]
	s_cbranch_scc1 .LBB3_48
; %bb.44:
	v_cmp_ne_u32_e32 vcc, 0, v0
	s_waitcnt vmcnt(0)
	v_mov_b32_e32 v8, v12
	ds_write_b8 v0, v1
	s_waitcnt lgkmcnt(0)
	s_barrier
	s_and_saveexec_b64 s[6:7], vcc
	s_cbranch_execz .LBB3_46
; %bb.45:
	v_add_u32_e32 v8, -1, v0
	ds_read_u8 v8, v8
.LBB3_46:
	s_or_b64 exec, exec, s[6:7]
	v_lshrrev_b32_e32 v9, 16, v4
	v_lshlrev_b16_e32 v13, 8, v4
	v_lshlrev_b16_e32 v15, 8, v9
	v_mov_b32_e32 v18, 8
	v_lshrrev_b32_e32 v9, 16, v2
	v_lshrrev_b32_sdwa v13, v18, v13 dst_sel:BYTE_1 dst_unused:UNUSED_PAD src0_sel:DWORD src1_sel:DWORD
	v_lshrrev_b32_sdwa v15, v18, v15 dst_sel:BYTE_1 dst_unused:UNUSED_PAD src0_sel:DWORD src1_sel:DWORD
	v_lshlrev_b16_e32 v16, 8, v2
	v_lshlrev_b16_e32 v17, 8, v9
	v_or_b32_sdwa v13, v7, v13 dst_sel:DWORD dst_unused:UNUSED_PAD src0_sel:BYTE_0 src1_sel:DWORD
	v_or_b32_sdwa v15, v4, v15 dst_sel:WORD_1 dst_unused:UNUSED_PAD src0_sel:BYTE_1 src1_sel:DWORD
	s_mov_b32 s3, 0x2010007
	v_or_b32_sdwa v15, v13, v15 dst_sel:DWORD dst_unused:UNUSED_PAD src0_sel:WORD_0 src1_sel:DWORD
	v_lshrrev_b32_sdwa v13, v18, v16 dst_sel:BYTE_1 dst_unused:UNUSED_PAD src0_sel:DWORD src1_sel:DWORD
	v_lshrrev_b32_sdwa v16, v18, v17 dst_sel:BYTE_1 dst_unused:UNUSED_PAD src0_sel:DWORD src1_sel:DWORD
	v_or_b32_sdwa v13, v6, v13 dst_sel:DWORD dst_unused:UNUSED_PAD src0_sel:BYTE_0 src1_sel:DWORD
	v_or_b32_sdwa v16, v2, v16 dst_sel:WORD_1 dst_unused:UNUSED_PAD src0_sel:BYTE_1 src1_sel:DWORD
	s_waitcnt lgkmcnt(0)
	v_sub_u16_e32 v8, v7, v8
	v_perm_b32 v14, v4, v5, s3
	v_lshrrev_b32_e32 v10, 24, v5
	v_perm_b32 v11, v2, v3, s3
	v_lshrrev_b32_e32 v9, 24, v3
	v_or_b32_sdwa v13, v13, v16 dst_sel:DWORD dst_unused:UNUSED_PAD src0_sel:WORD_0 src1_sel:DWORD
	s_branch .LBB3_52
.LBB3_47:
                                        ; implicit-def: $vgpr11
                                        ; implicit-def: $vgpr13
                                        ; implicit-def: $vgpr14
                                        ; implicit-def: $vgpr15
                                        ; implicit-def: $vgpr8
                                        ; implicit-def: $vgpr10
                                        ; implicit-def: $vgpr9
	s_branch .LBB3_53
.LBB3_48:
                                        ; implicit-def: $vgpr11
                                        ; implicit-def: $vgpr13
                                        ; implicit-def: $vgpr14
                                        ; implicit-def: $vgpr15
                                        ; implicit-def: $vgpr8
                                        ; implicit-def: $vgpr10
                                        ; implicit-def: $vgpr9
	s_cbranch_execz .LBB3_52
; %bb.49:
	v_mul_u32_u24_e32 v8, 19, v0
	v_cmp_ne_u32_e32 vcc, 0, v0
	ds_write_b8 v0, v1
	s_waitcnt lgkmcnt(0)
	s_barrier
	s_and_saveexec_b64 s[6:7], vcc
	s_cbranch_execz .LBB3_51
; %bb.50:
	v_add_u32_e32 v9, -1, v0
	s_waitcnt vmcnt(0)
	ds_read_u8 v12, v9
.LBB3_51:
	s_or_b64 exec, exec, s[6:7]
	s_mulk_i32 s2, 0xf680
	s_add_i32 s2, s2, s14
	v_add_u32_e32 v9, 18, v8
	v_lshrrev_b32_e32 v21, 24, v3
	v_cmp_gt_u32_e32 vcc, s2, v9
	v_lshrrev_b16_e32 v20, 8, v3
	v_add_u32_e32 v22, 17, v8
	v_cndmask_b32_e32 v9, 0, v21, vcc
	v_add_u32_e32 v21, 16, v8
	v_cmp_gt_u32_e32 vcc, s2, v21
	v_lshrrev_b32_e32 v19, 16, v3
	v_add_u32_e32 v23, 14, v8
	v_cndmask_b32_e32 v20, 0, v20, vcc
	v_cmp_gt_u32_e32 vcc, s2, v22
	v_lshrrev_b32_e32 v18, 24, v2
	v_add_u32_e32 v24, 15, v8
	v_cndmask_b32_e32 v19, 0, v19, vcc
	v_cmp_gt_u32_e32 vcc, s2, v23
	v_add_u32_e32 v25, 12, v8
	v_lshrrev_b16_e32 v17, 8, v2
	v_cndmask_b32_e32 v18, 0, v18, vcc
	v_cmp_gt_u32_e32 vcc, s2, v24
	v_add_u32_e32 v26, 13, v8
	v_lshrrev_b32_e32 v10, 16, v2
	v_cndmask_b32_e32 v22, 0, v3, vcc
	v_cmp_gt_u32_e32 vcc, s2, v25
	v_add_u32_e32 v27, 11, v8
	v_add_u32_e32 v28, 10, v8
	v_cndmask_b32_e32 v17, 0, v17, vcc
	v_cmp_gt_u32_e32 vcc, s2, v26
	v_lshrrev_b32_e32 v26, 24, v5
	v_lshrrev_b16_e32 v16, 8, v5
	v_cndmask_b32_e32 v10, 0, v10, vcc
	v_cmp_gt_u32_e32 vcc, s2, v27
	v_lshlrev_b16_e32 v23, 8, v10
	v_add_u32_e32 v27, 8, v8
	v_cndmask_b32_e32 v10, 0, v2, vcc
	v_lshlrev_b16_e32 v24, 8, v10
	v_cmp_gt_u32_e32 vcc, s2, v28
	v_add_u32_e32 v10, 9, v8
	v_lshrrev_b32_e32 v15, 16, v5
	v_cndmask_b32_e32 v25, 0, v6, vcc
	v_cmp_gt_u32_e32 vcc, s2, v10
	v_add_u32_e32 v28, 5, v8
	v_lshrrev_b32_e32 v14, 24, v4
	v_cndmask_b32_e32 v10, 0, v26, vcc
	v_add_u32_e32 v26, 7, v8
	v_cmp_gt_u32_e32 vcc, s2, v26
	v_add_u32_e32 v29, 6, v8
	v_mov_b32_e32 v21, 8
	v_cndmask_b32_e32 v16, 0, v16, vcc
	v_cmp_gt_u32_e32 vcc, s2, v27
	v_add_u32_e32 v30, 3, v8
	v_lshrrev_b16_e32 v13, 8, v4
	v_cndmask_b32_e32 v15, 0, v15, vcc
	v_cmp_gt_u32_e32 vcc, s2, v28
	v_lshlrev_b16_e32 v15, 8, v15
	v_add_u32_e32 v31, 4, v8
	v_cndmask_b32_e32 v14, 0, v14, vcc
	v_cmp_gt_u32_e32 vcc, s2, v29
	v_lshrrev_b32_sdwa v26, v21, v15 dst_sel:BYTE_1 dst_unused:UNUSED_PAD src0_sel:DWORD src1_sel:DWORD
	v_lshrrev_b32_e32 v11, 16, v4
	v_cndmask_b32_e32 v15, 0, v5, vcc
	v_cmp_gt_u32_e32 vcc, s2, v30
	v_add_u32_e32 v32, 2, v8
	v_add_u32_e32 v33, 1, v8
	v_cndmask_b32_e32 v13, 0, v13, vcc
	v_cmp_gt_u32_e32 vcc, s2, v31
	v_lshlrev_b16_e32 v15, 8, v15
	v_lshrrev_b32_sdwa v27, v21, v15 dst_sel:BYTE_1 dst_unused:UNUSED_PAD src0_sel:DWORD src1_sel:DWORD
	v_cndmask_b32_e32 v11, 0, v11, vcc
	v_cmp_gt_u32_e32 vcc, s2, v32
	v_lshlrev_b16_e32 v11, 8, v11
	v_lshrrev_b32_sdwa v11, v21, v11 dst_sel:BYTE_1 dst_unused:UNUSED_PAD src0_sel:DWORD src1_sel:DWORD
	v_cndmask_b32_e32 v15, 0, v4, vcc
	v_cmp_gt_u32_e32 vcc, s2, v33
	v_lshlrev_b16_e32 v15, 8, v15
	v_or_b32_sdwa v11, v13, v11 dst_sel:WORD_1 dst_unused:UNUSED_PAD src0_sel:DWORD src1_sel:DWORD
	v_cndmask_b32_e32 v28, 0, v7, vcc
	v_cmp_gt_u32_e32 vcc, s2, v8
	v_lshlrev_b16_e32 v19, 8, v19
	v_lshlrev_b16_e32 v22, 8, v22
	s_waitcnt vmcnt(0) lgkmcnt(0)
	v_cndmask_b32_e32 v8, 0, v12, vcc
	v_lshrrev_b32_sdwa v12, v21, v15 dst_sel:BYTE_1 dst_unused:UNUSED_PAD src0_sel:DWORD src1_sel:DWORD
	v_lshrrev_b32_sdwa v19, v21, v19 dst_sel:BYTE_1 dst_unused:UNUSED_PAD src0_sel:DWORD src1_sel:DWORD
	v_or_b32_sdwa v12, v28, v12 dst_sel:DWORD dst_unused:UNUSED_PAD src0_sel:BYTE_0 src1_sel:DWORD
	v_or_b32_sdwa v15, v12, v11 dst_sel:DWORD dst_unused:UNUSED_PAD src0_sel:WORD_0 src1_sel:DWORD
	v_or_b32_e32 v11, v14, v27
	v_or_b32_sdwa v12, v16, v26 dst_sel:WORD_1 dst_unused:UNUSED_PAD src0_sel:DWORD src1_sel:DWORD
	v_lshrrev_b32_sdwa v22, v21, v22 dst_sel:BYTE_1 dst_unused:UNUSED_PAD src0_sel:DWORD src1_sel:DWORD
	v_or_b32_sdwa v14, v11, v12 dst_sel:DWORD dst_unused:UNUSED_PAD src0_sel:WORD_0 src1_sel:DWORD
	v_lshrrev_b32_sdwa v11, v21, v24 dst_sel:BYTE_1 dst_unused:UNUSED_PAD src0_sel:DWORD src1_sel:DWORD
	v_lshrrev_b32_sdwa v12, v21, v23 dst_sel:BYTE_1 dst_unused:UNUSED_PAD src0_sel:DWORD src1_sel:DWORD
	v_or_b32_sdwa v11, v25, v11 dst_sel:DWORD dst_unused:UNUSED_PAD src0_sel:BYTE_0 src1_sel:DWORD
	v_or_b32_sdwa v12, v17, v12 dst_sel:WORD_1 dst_unused:UNUSED_PAD src0_sel:DWORD src1_sel:DWORD
	v_sub_u16_e32 v8, v7, v8
	v_or_b32_sdwa v13, v11, v12 dst_sel:DWORD dst_unused:UNUSED_PAD src0_sel:WORD_0 src1_sel:DWORD
	v_or_b32_e32 v11, v18, v22
	v_or_b32_sdwa v12, v20, v19 dst_sel:WORD_1 dst_unused:UNUSED_PAD src0_sel:DWORD src1_sel:DWORD
	s_nop 0
	v_or_b32_sdwa v11, v11, v12 dst_sel:DWORD dst_unused:UNUSED_PAD src0_sel:WORD_0 src1_sel:DWORD
.LBB3_52:
	s_cbranch_execnz .LBB3_61
.LBB3_53:
	s_cmp_eq_u64 s[4:5], 1
	v_cmp_ne_u32_e32 vcc, 0, v0
	s_cbranch_scc1 .LBB3_57
; %bb.54:
	v_lshlrev_b16_e32 v8, 8, v4
	v_lshrrev_b32_e32 v9, 16, v4
	v_mov_b32_e32 v14, 8
	v_lshlrev_b16_e32 v9, 8, v9
	v_lshrrev_b32_sdwa v8, v14, v8 dst_sel:BYTE_1 dst_unused:UNUSED_PAD src0_sel:DWORD src1_sel:DWORD
	v_lshlrev_b16_e32 v10, 8, v2
	v_lshrrev_b32_e32 v11, 16, v2
	s_waitcnt vmcnt(0)
	v_or_b32_sdwa v12, v7, v8 dst_sel:DWORD dst_unused:UNUSED_PAD src0_sel:BYTE_0 src1_sel:DWORD
	v_lshrrev_b32_sdwa v8, v14, v9 dst_sel:BYTE_1 dst_unused:UNUSED_PAD src0_sel:DWORD src1_sel:DWORD
	v_lshlrev_b16_e32 v11, 8, v11
	v_or_b32_sdwa v13, v4, v8 dst_sel:WORD_1 dst_unused:UNUSED_PAD src0_sel:BYTE_1 src1_sel:DWORD
	v_lshrrev_b32_sdwa v8, v14, v10 dst_sel:BYTE_1 dst_unused:UNUSED_PAD src0_sel:DWORD src1_sel:DWORD
	s_mov_b32 s4, 0x2010007
	v_or_b32_sdwa v16, v6, v8 dst_sel:DWORD dst_unused:UNUSED_PAD src0_sel:BYTE_0 src1_sel:DWORD
	v_lshrrev_b32_sdwa v8, v14, v11 dst_sel:BYTE_1 dst_unused:UNUSED_PAD src0_sel:DWORD src1_sel:DWORD
	ds_write_b8 v0, v1
	v_or_b32_sdwa v17, v2, v8 dst_sel:WORD_1 dst_unused:UNUSED_PAD src0_sel:BYTE_1 src1_sel:DWORD
	v_mov_b32_e32 v8, v7
	s_waitcnt lgkmcnt(0)
	s_barrier
	s_and_saveexec_b64 s[2:3], vcc
	s_cbranch_execz .LBB3_56
; %bb.55:
	v_add_u32_e32 v8, -1, v0
	ds_read_u8 v8, v8
	s_waitcnt lgkmcnt(0)
	v_sub_u16_e32 v8, v7, v8
.LBB3_56:
	s_or_b64 exec, exec, s[2:3]
	v_perm_b32 v14, v4, v5, s4
	v_lshrrev_b32_e32 v10, 24, v5
	v_perm_b32 v11, v2, v3, s4
	v_lshrrev_b32_e32 v9, 24, v3
	v_or_b32_sdwa v15, v12, v13 dst_sel:DWORD dst_unused:UNUSED_PAD src0_sel:WORD_0 src1_sel:DWORD
	v_or_b32_sdwa v13, v16, v17 dst_sel:DWORD dst_unused:UNUSED_PAD src0_sel:WORD_0 src1_sel:DWORD
	s_cbranch_execz .LBB3_58
	s_branch .LBB3_61
.LBB3_57:
                                        ; implicit-def: $vgpr11
                                        ; implicit-def: $vgpr13
                                        ; implicit-def: $vgpr14
                                        ; implicit-def: $vgpr15
                                        ; implicit-def: $vgpr8
                                        ; implicit-def: $vgpr10
                                        ; implicit-def: $vgpr9
.LBB3_58:
	v_mad_u32_u24 v20, v0, 19, 16
	v_lshrrev_b16_e32 v18, 8, v3
	v_mad_u32_u24 v21, v0, 19, 17
	v_cmp_gt_u32_e64 s[2:3], s14, v20
	v_lshrrev_b32_e32 v17, 16, v3
	v_mad_u32_u24 v22, v0, 19, 14
	v_cndmask_b32_e64 v20, 0, v18, s[2:3]
	v_cmp_gt_u32_e64 s[2:3], s14, v21
	v_lshrrev_b32_e32 v16, 24, v2
	v_mad_u32_u24 v23, v0, 19, 15
	v_cndmask_b32_e64 v17, 0, v17, s[2:3]
	v_cmp_gt_u32_e64 s[2:3], s14, v22
	v_mad_u32_u24 v24, v0, 19, 12
	v_lshrrev_b16_e32 v15, 8, v2
	v_cndmask_b32_e64 v22, 0, v16, s[2:3]
	v_cmp_gt_u32_e64 s[2:3], s14, v23
	v_mad_u32_u24 v25, v0, 19, 13
	v_lshrrev_b32_e32 v10, 16, v2
	v_cndmask_b32_e64 v16, 0, v3, s[2:3]
	v_cmp_gt_u32_e64 s[2:3], s14, v24
	v_mad_u32_u24 v26, v0, 19, 11
	v_lshrrev_b16_e32 v14, 8, v5
	v_cndmask_b32_e64 v15, 0, v15, s[2:3]
	v_cmp_gt_u32_e64 s[2:3], s14, v25
	v_mad_u32_u24 v25, v0, 19, 7
	v_cmp_gt_u32_e64 s[4:5], s14, v25
	v_cndmask_b32_e64 v10, 0, v10, s[2:3]
	v_cmp_gt_u32_e64 s[2:3], s14, v26
	v_mad_u32_u24 v26, v0, 19, 8
	v_lshrrev_b32_e32 v13, 16, v5
	v_mad_u32_u24 v27, v0, 19, 10
	v_lshlrev_b16_e32 v17, 8, v17
	v_mov_b32_e32 v18, 8
	v_cndmask_b32_e64 v14, 0, v14, s[4:5]
	v_cmp_gt_u32_e64 s[4:5], s14, v26
	v_lshrrev_b32_sdwa v21, v18, v17 dst_sel:BYTE_1 dst_unused:UNUSED_PAD src0_sel:DWORD src1_sel:DWORD
	v_lshlrev_b16_e32 v17, 8, v10
	v_cndmask_b32_e64 v10, 0, v2, s[2:3]
	v_cmp_gt_u32_e64 s[2:3], s14, v27
	v_mad_u32_u24 v27, v0, 19, 5
	v_cndmask_b32_e64 v13, 0, v13, s[4:5]
	s_waitcnt vmcnt(0)
	v_lshrrev_b32_e32 v12, 24, v4
	v_mad_u32_u24 v28, v0, 19, 6
	v_lshlrev_b16_e32 v13, 8, v13
	v_cmp_gt_u32_e64 s[4:5], s14, v27
	v_lshrrev_b32_sdwa v25, v18, v13 dst_sel:BYTE_1 dst_unused:UNUSED_PAD src0_sel:DWORD src1_sel:DWORD
	v_mad_u32_u24 v29, v0, 19, 3
	v_cndmask_b32_e64 v13, 0, v12, s[4:5]
	v_cmp_gt_u32_e64 s[4:5], s14, v28
	v_lshrrev_b16_e32 v11, 8, v4
	v_mad_u32_u24 v30, v0, 19, 4
	v_cndmask_b32_e64 v12, 0, v5, s[4:5]
	v_lshlrev_b16_e32 v12, 8, v12
	v_cmp_gt_u32_e64 s[4:5], s14, v29
	v_lshrrev_b32_e32 v9, 16, v4
	v_lshrrev_b32_sdwa v26, v18, v12 dst_sel:BYTE_1 dst_unused:UNUSED_PAD src0_sel:DWORD src1_sel:DWORD
	v_cndmask_b32_e64 v12, 0, v11, s[4:5]
	v_cmp_gt_u32_e64 s[4:5], s14, v30
	v_mad_u32_u24 v31, v0, 19, 2
	v_lshlrev_b16_e32 v16, 8, v16
	v_cndmask_b32_e64 v9, 0, v9, s[4:5]
	v_lshlrev_b16_e32 v9, 8, v9
	v_cmp_gt_u32_e64 s[4:5], s14, v31
	v_lshrrev_b32_sdwa v23, v18, v16 dst_sel:BYTE_1 dst_unused:UNUSED_PAD src0_sel:DWORD src1_sel:DWORD
	v_lshlrev_b16_e32 v16, 8, v10
	v_mad_u32_u24 v32, v0, 19, 1
	v_cndmask_b32_e64 v11, 0, v4, s[4:5]
	v_lshrrev_b32_sdwa v9, v18, v9 dst_sel:BYTE_1 dst_unused:UNUSED_PAD src0_sel:DWORD src1_sel:DWORD
	v_mul_u32_u24_e32 v19, 19, v0
	v_cndmask_b32_e64 v24, 0, v6, s[2:3]
	v_lshlrev_b16_e32 v11, 8, v11
	v_cmp_gt_u32_e64 s[4:5], s14, v32
	v_or_b32_sdwa v12, v12, v9 dst_sel:WORD_1 dst_unused:UNUSED_PAD src0_sel:DWORD src1_sel:DWORD
	v_lshrrev_b32_sdwa v9, v18, v16 dst_sel:BYTE_1 dst_unused:UNUSED_PAD src0_sel:DWORD src1_sel:DWORD
	v_mad_u32_u24 v8, v0, 19, 18
	v_mad_u32_u24 v10, v0, 19, 9
	v_cndmask_b32_e64 v27, 0, v7, s[4:5]
	v_cmp_ne_u32_e64 s[4:5], 0, v0
	v_cmp_gt_u32_e64 s[6:7], s14, v19
	v_lshrrev_b32_sdwa v11, v18, v11 dst_sel:BYTE_1 dst_unused:UNUSED_PAD src0_sel:DWORD src1_sel:DWORD
	v_or_b32_sdwa v16, v24, v9 dst_sel:DWORD dst_unused:UNUSED_PAD src0_sel:BYTE_0 src1_sel:DWORD
	v_lshrrev_b32_sdwa v9, v18, v17 dst_sel:BYTE_1 dst_unused:UNUSED_PAD src0_sel:DWORD src1_sel:DWORD
	v_cmp_gt_u32_e32 vcc, s14, v8
	v_lshrrev_b32_e32 v8, 24, v3
	v_cmp_gt_u32_e64 s[2:3], s14, v10
	v_lshrrev_b32_e32 v10, 24, v5
	s_and_b64 s[6:7], s[4:5], s[6:7]
	v_or_b32_sdwa v11, v27, v11 dst_sel:DWORD dst_unused:UNUSED_PAD src0_sel:BYTE_0 src1_sel:DWORD
	v_or_b32_e32 v13, v13, v26
	v_or_b32_sdwa v14, v14, v25 dst_sel:WORD_1 dst_unused:UNUSED_PAD src0_sel:DWORD src1_sel:DWORD
	v_or_b32_sdwa v17, v15, v9 dst_sel:WORD_1 dst_unused:UNUSED_PAD src0_sel:DWORD src1_sel:DWORD
	v_or_b32_e32 v18, v22, v23
	v_or_b32_sdwa v19, v20, v21 dst_sel:WORD_1 dst_unused:UNUSED_PAD src0_sel:DWORD src1_sel:DWORD
	ds_write_b8 v0, v1
	s_waitcnt lgkmcnt(0)
	s_barrier
	s_and_saveexec_b64 s[4:5], s[6:7]
	s_cbranch_execz .LBB3_60
; %bb.59:
	v_add_u32_e32 v9, -1, v0
	ds_read_u8 v9, v9
	s_waitcnt lgkmcnt(0)
	v_sub_u16_e32 v7, v7, v9
.LBB3_60:
	s_or_b64 exec, exec, s[4:5]
	v_cndmask_b32_e32 v9, 0, v8, vcc
	v_cndmask_b32_e64 v10, 0, v10, s[2:3]
	v_or_b32_sdwa v15, v11, v12 dst_sel:DWORD dst_unused:UNUSED_PAD src0_sel:WORD_0 src1_sel:DWORD
	v_or_b32_sdwa v14, v13, v14 dst_sel:DWORD dst_unused:UNUSED_PAD src0_sel:WORD_0 src1_sel:DWORD
	;; [unrolled: 1-line block ×4, first 2 shown]
	v_mov_b32_e32 v8, v7
.LBB3_61:
	v_sub_u16_sdwa v7, v5, v14 dst_sel:BYTE_1 dst_unused:UNUSED_PAD src0_sel:BYTE_3 src1_sel:BYTE_3
	s_waitcnt vmcnt(0)
	v_sub_u16_sdwa v12, v5, v14 dst_sel:DWORD dst_unused:UNUSED_PAD src0_sel:WORD_1 src1_sel:WORD_1
	v_or_b32_sdwa v7, v12, v7 dst_sel:WORD_1 dst_unused:UNUSED_PAD src0_sel:BYTE_0 src1_sel:DWORD
	v_sub_u16_sdwa v12, v5, v14 dst_sel:BYTE_1 dst_unused:UNUSED_PAD src0_sel:BYTE_1 src1_sel:BYTE_1
	v_sub_u16_e32 v5, v5, v14
	v_or_b32_sdwa v5, v5, v12 dst_sel:DWORD dst_unused:UNUSED_PAD src0_sel:BYTE_0 src1_sel:DWORD
	v_or_b32_sdwa v5, v5, v7 dst_sel:DWORD dst_unused:UNUSED_PAD src0_sel:WORD_0 src1_sel:DWORD
	v_sub_u16_sdwa v7, v4, v15 dst_sel:BYTE_1 dst_unused:UNUSED_PAD src0_sel:BYTE_3 src1_sel:BYTE_3
	v_sub_u16_sdwa v12, v4, v15 dst_sel:DWORD dst_unused:UNUSED_PAD src0_sel:WORD_1 src1_sel:WORD_1
	v_or_b32_sdwa v7, v12, v7 dst_sel:WORD_1 dst_unused:UNUSED_PAD src0_sel:BYTE_0 src1_sel:DWORD
	v_sub_u16_sdwa v12, v4, v15 dst_sel:BYTE_1 dst_unused:UNUSED_PAD src0_sel:BYTE_1 src1_sel:BYTE_1
	v_sub_u16_e32 v4, v4, v15
	v_or_b32_sdwa v4, v4, v12 dst_sel:DWORD dst_unused:UNUSED_PAD src0_sel:BYTE_0 src1_sel:DWORD
	v_or_b32_sdwa v4, v4, v7 dst_sel:DWORD dst_unused:UNUSED_PAD src0_sel:WORD_0 src1_sel:DWORD
	v_sub_u16_e32 v10, v6, v10
	v_sub_u16_sdwa v6, v3, v11 dst_sel:BYTE_1 dst_unused:UNUSED_PAD src0_sel:BYTE_3 src1_sel:BYTE_3
	v_sub_u16_sdwa v7, v3, v11 dst_sel:DWORD dst_unused:UNUSED_PAD src0_sel:WORD_1 src1_sel:WORD_1
	v_or_b32_sdwa v6, v7, v6 dst_sel:WORD_1 dst_unused:UNUSED_PAD src0_sel:BYTE_0 src1_sel:DWORD
	v_sub_u16_sdwa v7, v3, v11 dst_sel:BYTE_1 dst_unused:UNUSED_PAD src0_sel:BYTE_1 src1_sel:BYTE_1
	v_sub_u16_e32 v3, v3, v11
	v_or_b32_sdwa v3, v3, v7 dst_sel:DWORD dst_unused:UNUSED_PAD src0_sel:BYTE_0 src1_sel:DWORD
	v_or_b32_sdwa v3, v3, v6 dst_sel:DWORD dst_unused:UNUSED_PAD src0_sel:WORD_0 src1_sel:DWORD
	v_sub_u16_sdwa v6, v2, v13 dst_sel:BYTE_1 dst_unused:UNUSED_PAD src0_sel:BYTE_3 src1_sel:BYTE_3
	v_sub_u16_sdwa v7, v2, v13 dst_sel:DWORD dst_unused:UNUSED_PAD src0_sel:WORD_1 src1_sel:WORD_1
	v_or_b32_sdwa v6, v7, v6 dst_sel:WORD_1 dst_unused:UNUSED_PAD src0_sel:BYTE_0 src1_sel:DWORD
	v_sub_u16_sdwa v7, v2, v13 dst_sel:BYTE_1 dst_unused:UNUSED_PAD src0_sel:BYTE_1 src1_sel:BYTE_1
	v_sub_u16_e32 v2, v2, v13
	s_add_u32 s4, s12, s10
	v_or_b32_sdwa v2, v2, v7 dst_sel:DWORD dst_unused:UNUSED_PAD src0_sel:BYTE_0 src1_sel:DWORD
	s_addc_u32 s5, s13, s11
	v_or_b32_sdwa v2, v2, v6 dst_sel:DWORD dst_unused:UNUSED_PAD src0_sel:WORD_0 src1_sel:DWORD
	v_sub_u16_e32 v9, v1, v9
	s_and_b64 vcc, exec, s[0:1]
	v_mul_u32_u24_e32 v11, 19, v0
	s_barrier
	s_cbranch_vccz .LBB3_99
; %bb.62:
	ds_write_b8 v11, v8
	ds_write_b64 v11, v[4:5] offset:1
	ds_write_b8 v11, v10 offset:9
	ds_write_b64 v11, v[2:3] offset:10
	ds_write_b8 v11, v9 offset:18
	s_waitcnt lgkmcnt(0)
	s_barrier
	ds_read_u8 v29, v0 offset:128
	ds_read_u8 v28, v0 offset:256
	;; [unrolled: 1-line block ×18, first 2 shown]
	s_add_i32 s15, s15, s14
	s_add_u32 s0, s4, s20
	s_addc_u32 s1, s5, 0
	v_mov_b32_e32 v1, 0
	v_lshl_add_u64 v[6:7], s[0:1], 0, v[0:1]
	v_cmp_gt_u32_e32 vcc, s15, v0
	s_and_saveexec_b64 s[0:1], vcc
	s_cbranch_execz .LBB3_64
; %bb.63:
	ds_read_u8 v1, v0
	s_waitcnt lgkmcnt(0)
	global_store_byte v[6:7], v1, off
.LBB3_64:
	s_or_b64 exec, exec, s[0:1]
	v_or_b32_e32 v1, 0x80, v0
	v_cmp_gt_u32_e32 vcc, s15, v1
	s_and_saveexec_b64 s[0:1], vcc
	s_cbranch_execz .LBB3_66
; %bb.65:
	s_waitcnt lgkmcnt(14)
	global_store_byte v[6:7], v29, off offset:128
.LBB3_66:
	s_or_b64 exec, exec, s[0:1]
	v_or_b32_e32 v1, 0x100, v0
	v_cmp_gt_u32_e32 vcc, s15, v1
	s_and_saveexec_b64 s[0:1], vcc
	s_cbranch_execz .LBB3_68
; %bb.67:
	s_waitcnt lgkmcnt(14)
	global_store_byte v[6:7], v28, off offset:256
.LBB3_68:
	;; [unrolled: 9-line block ×17, first 2 shown]
	s_or_b64 exec, exec, s[0:1]
	v_or_b32_e32 v1, 0x900, v0
	v_cmp_gt_u32_e64 s[0:1], s15, v1
	s_branch .LBB3_101
.LBB3_99:
	s_mov_b64 s[0:1], 0
                                        ; implicit-def: $vgpr12
                                        ; implicit-def: $vgpr6_vgpr7
	s_cbranch_execz .LBB3_101
; %bb.100:
	ds_write_b8 v11, v8
	ds_write_b64 v11, v[4:5] offset:1
	ds_write_b8 v11, v10 offset:9
	ds_write_b64 v11, v[2:3] offset:10
	ds_write_b8 v11, v9 offset:18
	s_waitcnt lgkmcnt(0)
	s_barrier
	ds_read_u8 v2, v0
	ds_read_u8 v3, v0 offset:128
	ds_read_u8 v4, v0 offset:256
	;; [unrolled: 1-line block ×18, first 2 shown]
	s_add_u32 s2, s4, s20
	s_addc_u32 s3, s5, 0
	v_mov_b32_e32 v1, 0
	v_lshl_add_u64 v[6:7], s[2:3], 0, v[0:1]
	s_or_b64 s[0:1], s[0:1], exec
	s_waitcnt lgkmcnt(14)
	global_store_byte v0, v2, s[2:3]
	global_store_byte v0, v3, s[2:3] offset:128
	global_store_byte v0, v4, s[2:3] offset:256
	;; [unrolled: 1-line block ×4, first 2 shown]
	s_waitcnt lgkmcnt(13)
	global_store_byte v0, v9, s[2:3] offset:640
	s_waitcnt lgkmcnt(12)
	global_store_byte v0, v10, s[2:3] offset:768
	;; [unrolled: 2-line block ×13, first 2 shown]
.LBB3_101:
	s_and_saveexec_b64 s[2:3], s[0:1]
	s_cbranch_execnz .LBB3_103
; %bb.102:
	s_endpgm
.LBB3_103:
	s_waitcnt lgkmcnt(0)
	global_store_byte v[6:7], v12, off offset:2304
	s_endpgm
	.section	.rodata,"a",@progbits
	.p2align	6, 0x0
	.amdhsa_kernel _ZN7rocprim17ROCPRIM_400000_NS6detail17trampoline_kernelINS0_14default_configENS1_35adjacent_difference_config_selectorILb0EaEEZNS1_24adjacent_difference_implIS3_Lb0ELb0EPaS7_N6thrust23THRUST_200600_302600_NS5minusIaEEEE10hipError_tPvRmT2_T3_mT4_P12ihipStream_tbEUlT_E_NS1_11comp_targetILNS1_3genE5ELNS1_11target_archE942ELNS1_3gpuE9ELNS1_3repE0EEENS1_30default_config_static_selectorELNS0_4arch9wavefront6targetE1EEEvT1_
		.amdhsa_group_segment_fixed_size 2432
		.amdhsa_private_segment_fixed_size 0
		.amdhsa_kernarg_size 56
		.amdhsa_user_sgpr_count 2
		.amdhsa_user_sgpr_dispatch_ptr 0
		.amdhsa_user_sgpr_queue_ptr 0
		.amdhsa_user_sgpr_kernarg_segment_ptr 1
		.amdhsa_user_sgpr_dispatch_id 0
		.amdhsa_user_sgpr_kernarg_preload_length 0
		.amdhsa_user_sgpr_kernarg_preload_offset 0
		.amdhsa_user_sgpr_private_segment_size 0
		.amdhsa_uses_dynamic_stack 0
		.amdhsa_enable_private_segment 0
		.amdhsa_system_sgpr_workgroup_id_x 1
		.amdhsa_system_sgpr_workgroup_id_y 0
		.amdhsa_system_sgpr_workgroup_id_z 0
		.amdhsa_system_sgpr_workgroup_info 0
		.amdhsa_system_vgpr_workitem_id 0
		.amdhsa_next_free_vgpr 34
		.amdhsa_next_free_sgpr 22
		.amdhsa_accum_offset 36
		.amdhsa_reserve_vcc 1
		.amdhsa_float_round_mode_32 0
		.amdhsa_float_round_mode_16_64 0
		.amdhsa_float_denorm_mode_32 3
		.amdhsa_float_denorm_mode_16_64 3
		.amdhsa_dx10_clamp 1
		.amdhsa_ieee_mode 1
		.amdhsa_fp16_overflow 0
		.amdhsa_tg_split 0
		.amdhsa_exception_fp_ieee_invalid_op 0
		.amdhsa_exception_fp_denorm_src 0
		.amdhsa_exception_fp_ieee_div_zero 0
		.amdhsa_exception_fp_ieee_overflow 0
		.amdhsa_exception_fp_ieee_underflow 0
		.amdhsa_exception_fp_ieee_inexact 0
		.amdhsa_exception_int_div_zero 0
	.end_amdhsa_kernel
	.section	.text._ZN7rocprim17ROCPRIM_400000_NS6detail17trampoline_kernelINS0_14default_configENS1_35adjacent_difference_config_selectorILb0EaEEZNS1_24adjacent_difference_implIS3_Lb0ELb0EPaS7_N6thrust23THRUST_200600_302600_NS5minusIaEEEE10hipError_tPvRmT2_T3_mT4_P12ihipStream_tbEUlT_E_NS1_11comp_targetILNS1_3genE5ELNS1_11target_archE942ELNS1_3gpuE9ELNS1_3repE0EEENS1_30default_config_static_selectorELNS0_4arch9wavefront6targetE1EEEvT1_,"axG",@progbits,_ZN7rocprim17ROCPRIM_400000_NS6detail17trampoline_kernelINS0_14default_configENS1_35adjacent_difference_config_selectorILb0EaEEZNS1_24adjacent_difference_implIS3_Lb0ELb0EPaS7_N6thrust23THRUST_200600_302600_NS5minusIaEEEE10hipError_tPvRmT2_T3_mT4_P12ihipStream_tbEUlT_E_NS1_11comp_targetILNS1_3genE5ELNS1_11target_archE942ELNS1_3gpuE9ELNS1_3repE0EEENS1_30default_config_static_selectorELNS0_4arch9wavefront6targetE1EEEvT1_,comdat
.Lfunc_end3:
	.size	_ZN7rocprim17ROCPRIM_400000_NS6detail17trampoline_kernelINS0_14default_configENS1_35adjacent_difference_config_selectorILb0EaEEZNS1_24adjacent_difference_implIS3_Lb0ELb0EPaS7_N6thrust23THRUST_200600_302600_NS5minusIaEEEE10hipError_tPvRmT2_T3_mT4_P12ihipStream_tbEUlT_E_NS1_11comp_targetILNS1_3genE5ELNS1_11target_archE942ELNS1_3gpuE9ELNS1_3repE0EEENS1_30default_config_static_selectorELNS0_4arch9wavefront6targetE1EEEvT1_, .Lfunc_end3-_ZN7rocprim17ROCPRIM_400000_NS6detail17trampoline_kernelINS0_14default_configENS1_35adjacent_difference_config_selectorILb0EaEEZNS1_24adjacent_difference_implIS3_Lb0ELb0EPaS7_N6thrust23THRUST_200600_302600_NS5minusIaEEEE10hipError_tPvRmT2_T3_mT4_P12ihipStream_tbEUlT_E_NS1_11comp_targetILNS1_3genE5ELNS1_11target_archE942ELNS1_3gpuE9ELNS1_3repE0EEENS1_30default_config_static_selectorELNS0_4arch9wavefront6targetE1EEEvT1_
                                        ; -- End function
	.section	.AMDGPU.csdata,"",@progbits
; Kernel info:
; codeLenInByte = 5048
; NumSgprs: 28
; NumVgprs: 34
; NumAgprs: 0
; TotalNumVgprs: 34
; ScratchSize: 0
; MemoryBound: 0
; FloatMode: 240
; IeeeMode: 1
; LDSByteSize: 2432 bytes/workgroup (compile time only)
; SGPRBlocks: 3
; VGPRBlocks: 4
; NumSGPRsForWavesPerEU: 28
; NumVGPRsForWavesPerEU: 34
; AccumOffset: 36
; Occupancy: 8
; WaveLimiterHint : 1
; COMPUTE_PGM_RSRC2:SCRATCH_EN: 0
; COMPUTE_PGM_RSRC2:USER_SGPR: 2
; COMPUTE_PGM_RSRC2:TRAP_HANDLER: 0
; COMPUTE_PGM_RSRC2:TGID_X_EN: 1
; COMPUTE_PGM_RSRC2:TGID_Y_EN: 0
; COMPUTE_PGM_RSRC2:TGID_Z_EN: 0
; COMPUTE_PGM_RSRC2:TIDIG_COMP_CNT: 0
; COMPUTE_PGM_RSRC3_GFX90A:ACCUM_OFFSET: 8
; COMPUTE_PGM_RSRC3_GFX90A:TG_SPLIT: 0
	.section	.text._ZN7rocprim17ROCPRIM_400000_NS6detail17trampoline_kernelINS0_14default_configENS1_35adjacent_difference_config_selectorILb0EaEEZNS1_24adjacent_difference_implIS3_Lb0ELb0EPaS7_N6thrust23THRUST_200600_302600_NS5minusIaEEEE10hipError_tPvRmT2_T3_mT4_P12ihipStream_tbEUlT_E_NS1_11comp_targetILNS1_3genE4ELNS1_11target_archE910ELNS1_3gpuE8ELNS1_3repE0EEENS1_30default_config_static_selectorELNS0_4arch9wavefront6targetE1EEEvT1_,"axG",@progbits,_ZN7rocprim17ROCPRIM_400000_NS6detail17trampoline_kernelINS0_14default_configENS1_35adjacent_difference_config_selectorILb0EaEEZNS1_24adjacent_difference_implIS3_Lb0ELb0EPaS7_N6thrust23THRUST_200600_302600_NS5minusIaEEEE10hipError_tPvRmT2_T3_mT4_P12ihipStream_tbEUlT_E_NS1_11comp_targetILNS1_3genE4ELNS1_11target_archE910ELNS1_3gpuE8ELNS1_3repE0EEENS1_30default_config_static_selectorELNS0_4arch9wavefront6targetE1EEEvT1_,comdat
	.protected	_ZN7rocprim17ROCPRIM_400000_NS6detail17trampoline_kernelINS0_14default_configENS1_35adjacent_difference_config_selectorILb0EaEEZNS1_24adjacent_difference_implIS3_Lb0ELb0EPaS7_N6thrust23THRUST_200600_302600_NS5minusIaEEEE10hipError_tPvRmT2_T3_mT4_P12ihipStream_tbEUlT_E_NS1_11comp_targetILNS1_3genE4ELNS1_11target_archE910ELNS1_3gpuE8ELNS1_3repE0EEENS1_30default_config_static_selectorELNS0_4arch9wavefront6targetE1EEEvT1_ ; -- Begin function _ZN7rocprim17ROCPRIM_400000_NS6detail17trampoline_kernelINS0_14default_configENS1_35adjacent_difference_config_selectorILb0EaEEZNS1_24adjacent_difference_implIS3_Lb0ELb0EPaS7_N6thrust23THRUST_200600_302600_NS5minusIaEEEE10hipError_tPvRmT2_T3_mT4_P12ihipStream_tbEUlT_E_NS1_11comp_targetILNS1_3genE4ELNS1_11target_archE910ELNS1_3gpuE8ELNS1_3repE0EEENS1_30default_config_static_selectorELNS0_4arch9wavefront6targetE1EEEvT1_
	.globl	_ZN7rocprim17ROCPRIM_400000_NS6detail17trampoline_kernelINS0_14default_configENS1_35adjacent_difference_config_selectorILb0EaEEZNS1_24adjacent_difference_implIS3_Lb0ELb0EPaS7_N6thrust23THRUST_200600_302600_NS5minusIaEEEE10hipError_tPvRmT2_T3_mT4_P12ihipStream_tbEUlT_E_NS1_11comp_targetILNS1_3genE4ELNS1_11target_archE910ELNS1_3gpuE8ELNS1_3repE0EEENS1_30default_config_static_selectorELNS0_4arch9wavefront6targetE1EEEvT1_
	.p2align	8
	.type	_ZN7rocprim17ROCPRIM_400000_NS6detail17trampoline_kernelINS0_14default_configENS1_35adjacent_difference_config_selectorILb0EaEEZNS1_24adjacent_difference_implIS3_Lb0ELb0EPaS7_N6thrust23THRUST_200600_302600_NS5minusIaEEEE10hipError_tPvRmT2_T3_mT4_P12ihipStream_tbEUlT_E_NS1_11comp_targetILNS1_3genE4ELNS1_11target_archE910ELNS1_3gpuE8ELNS1_3repE0EEENS1_30default_config_static_selectorELNS0_4arch9wavefront6targetE1EEEvT1_,@function
_ZN7rocprim17ROCPRIM_400000_NS6detail17trampoline_kernelINS0_14default_configENS1_35adjacent_difference_config_selectorILb0EaEEZNS1_24adjacent_difference_implIS3_Lb0ELb0EPaS7_N6thrust23THRUST_200600_302600_NS5minusIaEEEE10hipError_tPvRmT2_T3_mT4_P12ihipStream_tbEUlT_E_NS1_11comp_targetILNS1_3genE4ELNS1_11target_archE910ELNS1_3gpuE8ELNS1_3repE0EEENS1_30default_config_static_selectorELNS0_4arch9wavefront6targetE1EEEvT1_: ; @_ZN7rocprim17ROCPRIM_400000_NS6detail17trampoline_kernelINS0_14default_configENS1_35adjacent_difference_config_selectorILb0EaEEZNS1_24adjacent_difference_implIS3_Lb0ELb0EPaS7_N6thrust23THRUST_200600_302600_NS5minusIaEEEE10hipError_tPvRmT2_T3_mT4_P12ihipStream_tbEUlT_E_NS1_11comp_targetILNS1_3genE4ELNS1_11target_archE910ELNS1_3gpuE8ELNS1_3repE0EEENS1_30default_config_static_selectorELNS0_4arch9wavefront6targetE1EEEvT1_
; %bb.0:
	.section	.rodata,"a",@progbits
	.p2align	6, 0x0
	.amdhsa_kernel _ZN7rocprim17ROCPRIM_400000_NS6detail17trampoline_kernelINS0_14default_configENS1_35adjacent_difference_config_selectorILb0EaEEZNS1_24adjacent_difference_implIS3_Lb0ELb0EPaS7_N6thrust23THRUST_200600_302600_NS5minusIaEEEE10hipError_tPvRmT2_T3_mT4_P12ihipStream_tbEUlT_E_NS1_11comp_targetILNS1_3genE4ELNS1_11target_archE910ELNS1_3gpuE8ELNS1_3repE0EEENS1_30default_config_static_selectorELNS0_4arch9wavefront6targetE1EEEvT1_
		.amdhsa_group_segment_fixed_size 0
		.amdhsa_private_segment_fixed_size 0
		.amdhsa_kernarg_size 56
		.amdhsa_user_sgpr_count 2
		.amdhsa_user_sgpr_dispatch_ptr 0
		.amdhsa_user_sgpr_queue_ptr 0
		.amdhsa_user_sgpr_kernarg_segment_ptr 1
		.amdhsa_user_sgpr_dispatch_id 0
		.amdhsa_user_sgpr_kernarg_preload_length 0
		.amdhsa_user_sgpr_kernarg_preload_offset 0
		.amdhsa_user_sgpr_private_segment_size 0
		.amdhsa_uses_dynamic_stack 0
		.amdhsa_enable_private_segment 0
		.amdhsa_system_sgpr_workgroup_id_x 1
		.amdhsa_system_sgpr_workgroup_id_y 0
		.amdhsa_system_sgpr_workgroup_id_z 0
		.amdhsa_system_sgpr_workgroup_info 0
		.amdhsa_system_vgpr_workitem_id 0
		.amdhsa_next_free_vgpr 1
		.amdhsa_next_free_sgpr 0
		.amdhsa_accum_offset 4
		.amdhsa_reserve_vcc 0
		.amdhsa_float_round_mode_32 0
		.amdhsa_float_round_mode_16_64 0
		.amdhsa_float_denorm_mode_32 3
		.amdhsa_float_denorm_mode_16_64 3
		.amdhsa_dx10_clamp 1
		.amdhsa_ieee_mode 1
		.amdhsa_fp16_overflow 0
		.amdhsa_tg_split 0
		.amdhsa_exception_fp_ieee_invalid_op 0
		.amdhsa_exception_fp_denorm_src 0
		.amdhsa_exception_fp_ieee_div_zero 0
		.amdhsa_exception_fp_ieee_overflow 0
		.amdhsa_exception_fp_ieee_underflow 0
		.amdhsa_exception_fp_ieee_inexact 0
		.amdhsa_exception_int_div_zero 0
	.end_amdhsa_kernel
	.section	.text._ZN7rocprim17ROCPRIM_400000_NS6detail17trampoline_kernelINS0_14default_configENS1_35adjacent_difference_config_selectorILb0EaEEZNS1_24adjacent_difference_implIS3_Lb0ELb0EPaS7_N6thrust23THRUST_200600_302600_NS5minusIaEEEE10hipError_tPvRmT2_T3_mT4_P12ihipStream_tbEUlT_E_NS1_11comp_targetILNS1_3genE4ELNS1_11target_archE910ELNS1_3gpuE8ELNS1_3repE0EEENS1_30default_config_static_selectorELNS0_4arch9wavefront6targetE1EEEvT1_,"axG",@progbits,_ZN7rocprim17ROCPRIM_400000_NS6detail17trampoline_kernelINS0_14default_configENS1_35adjacent_difference_config_selectorILb0EaEEZNS1_24adjacent_difference_implIS3_Lb0ELb0EPaS7_N6thrust23THRUST_200600_302600_NS5minusIaEEEE10hipError_tPvRmT2_T3_mT4_P12ihipStream_tbEUlT_E_NS1_11comp_targetILNS1_3genE4ELNS1_11target_archE910ELNS1_3gpuE8ELNS1_3repE0EEENS1_30default_config_static_selectorELNS0_4arch9wavefront6targetE1EEEvT1_,comdat
.Lfunc_end4:
	.size	_ZN7rocprim17ROCPRIM_400000_NS6detail17trampoline_kernelINS0_14default_configENS1_35adjacent_difference_config_selectorILb0EaEEZNS1_24adjacent_difference_implIS3_Lb0ELb0EPaS7_N6thrust23THRUST_200600_302600_NS5minusIaEEEE10hipError_tPvRmT2_T3_mT4_P12ihipStream_tbEUlT_E_NS1_11comp_targetILNS1_3genE4ELNS1_11target_archE910ELNS1_3gpuE8ELNS1_3repE0EEENS1_30default_config_static_selectorELNS0_4arch9wavefront6targetE1EEEvT1_, .Lfunc_end4-_ZN7rocprim17ROCPRIM_400000_NS6detail17trampoline_kernelINS0_14default_configENS1_35adjacent_difference_config_selectorILb0EaEEZNS1_24adjacent_difference_implIS3_Lb0ELb0EPaS7_N6thrust23THRUST_200600_302600_NS5minusIaEEEE10hipError_tPvRmT2_T3_mT4_P12ihipStream_tbEUlT_E_NS1_11comp_targetILNS1_3genE4ELNS1_11target_archE910ELNS1_3gpuE8ELNS1_3repE0EEENS1_30default_config_static_selectorELNS0_4arch9wavefront6targetE1EEEvT1_
                                        ; -- End function
	.section	.AMDGPU.csdata,"",@progbits
; Kernel info:
; codeLenInByte = 0
; NumSgprs: 6
; NumVgprs: 0
; NumAgprs: 0
; TotalNumVgprs: 0
; ScratchSize: 0
; MemoryBound: 0
; FloatMode: 240
; IeeeMode: 1
; LDSByteSize: 0 bytes/workgroup (compile time only)
; SGPRBlocks: 0
; VGPRBlocks: 0
; NumSGPRsForWavesPerEU: 6
; NumVGPRsForWavesPerEU: 1
; AccumOffset: 4
; Occupancy: 8
; WaveLimiterHint : 0
; COMPUTE_PGM_RSRC2:SCRATCH_EN: 0
; COMPUTE_PGM_RSRC2:USER_SGPR: 2
; COMPUTE_PGM_RSRC2:TRAP_HANDLER: 0
; COMPUTE_PGM_RSRC2:TGID_X_EN: 1
; COMPUTE_PGM_RSRC2:TGID_Y_EN: 0
; COMPUTE_PGM_RSRC2:TGID_Z_EN: 0
; COMPUTE_PGM_RSRC2:TIDIG_COMP_CNT: 0
; COMPUTE_PGM_RSRC3_GFX90A:ACCUM_OFFSET: 0
; COMPUTE_PGM_RSRC3_GFX90A:TG_SPLIT: 0
	.section	.text._ZN7rocprim17ROCPRIM_400000_NS6detail17trampoline_kernelINS0_14default_configENS1_35adjacent_difference_config_selectorILb0EaEEZNS1_24adjacent_difference_implIS3_Lb0ELb0EPaS7_N6thrust23THRUST_200600_302600_NS5minusIaEEEE10hipError_tPvRmT2_T3_mT4_P12ihipStream_tbEUlT_E_NS1_11comp_targetILNS1_3genE3ELNS1_11target_archE908ELNS1_3gpuE7ELNS1_3repE0EEENS1_30default_config_static_selectorELNS0_4arch9wavefront6targetE1EEEvT1_,"axG",@progbits,_ZN7rocprim17ROCPRIM_400000_NS6detail17trampoline_kernelINS0_14default_configENS1_35adjacent_difference_config_selectorILb0EaEEZNS1_24adjacent_difference_implIS3_Lb0ELb0EPaS7_N6thrust23THRUST_200600_302600_NS5minusIaEEEE10hipError_tPvRmT2_T3_mT4_P12ihipStream_tbEUlT_E_NS1_11comp_targetILNS1_3genE3ELNS1_11target_archE908ELNS1_3gpuE7ELNS1_3repE0EEENS1_30default_config_static_selectorELNS0_4arch9wavefront6targetE1EEEvT1_,comdat
	.protected	_ZN7rocprim17ROCPRIM_400000_NS6detail17trampoline_kernelINS0_14default_configENS1_35adjacent_difference_config_selectorILb0EaEEZNS1_24adjacent_difference_implIS3_Lb0ELb0EPaS7_N6thrust23THRUST_200600_302600_NS5minusIaEEEE10hipError_tPvRmT2_T3_mT4_P12ihipStream_tbEUlT_E_NS1_11comp_targetILNS1_3genE3ELNS1_11target_archE908ELNS1_3gpuE7ELNS1_3repE0EEENS1_30default_config_static_selectorELNS0_4arch9wavefront6targetE1EEEvT1_ ; -- Begin function _ZN7rocprim17ROCPRIM_400000_NS6detail17trampoline_kernelINS0_14default_configENS1_35adjacent_difference_config_selectorILb0EaEEZNS1_24adjacent_difference_implIS3_Lb0ELb0EPaS7_N6thrust23THRUST_200600_302600_NS5minusIaEEEE10hipError_tPvRmT2_T3_mT4_P12ihipStream_tbEUlT_E_NS1_11comp_targetILNS1_3genE3ELNS1_11target_archE908ELNS1_3gpuE7ELNS1_3repE0EEENS1_30default_config_static_selectorELNS0_4arch9wavefront6targetE1EEEvT1_
	.globl	_ZN7rocprim17ROCPRIM_400000_NS6detail17trampoline_kernelINS0_14default_configENS1_35adjacent_difference_config_selectorILb0EaEEZNS1_24adjacent_difference_implIS3_Lb0ELb0EPaS7_N6thrust23THRUST_200600_302600_NS5minusIaEEEE10hipError_tPvRmT2_T3_mT4_P12ihipStream_tbEUlT_E_NS1_11comp_targetILNS1_3genE3ELNS1_11target_archE908ELNS1_3gpuE7ELNS1_3repE0EEENS1_30default_config_static_selectorELNS0_4arch9wavefront6targetE1EEEvT1_
	.p2align	8
	.type	_ZN7rocprim17ROCPRIM_400000_NS6detail17trampoline_kernelINS0_14default_configENS1_35adjacent_difference_config_selectorILb0EaEEZNS1_24adjacent_difference_implIS3_Lb0ELb0EPaS7_N6thrust23THRUST_200600_302600_NS5minusIaEEEE10hipError_tPvRmT2_T3_mT4_P12ihipStream_tbEUlT_E_NS1_11comp_targetILNS1_3genE3ELNS1_11target_archE908ELNS1_3gpuE7ELNS1_3repE0EEENS1_30default_config_static_selectorELNS0_4arch9wavefront6targetE1EEEvT1_,@function
_ZN7rocprim17ROCPRIM_400000_NS6detail17trampoline_kernelINS0_14default_configENS1_35adjacent_difference_config_selectorILb0EaEEZNS1_24adjacent_difference_implIS3_Lb0ELb0EPaS7_N6thrust23THRUST_200600_302600_NS5minusIaEEEE10hipError_tPvRmT2_T3_mT4_P12ihipStream_tbEUlT_E_NS1_11comp_targetILNS1_3genE3ELNS1_11target_archE908ELNS1_3gpuE7ELNS1_3repE0EEENS1_30default_config_static_selectorELNS0_4arch9wavefront6targetE1EEEvT1_: ; @_ZN7rocprim17ROCPRIM_400000_NS6detail17trampoline_kernelINS0_14default_configENS1_35adjacent_difference_config_selectorILb0EaEEZNS1_24adjacent_difference_implIS3_Lb0ELb0EPaS7_N6thrust23THRUST_200600_302600_NS5minusIaEEEE10hipError_tPvRmT2_T3_mT4_P12ihipStream_tbEUlT_E_NS1_11comp_targetILNS1_3genE3ELNS1_11target_archE908ELNS1_3gpuE7ELNS1_3repE0EEENS1_30default_config_static_selectorELNS0_4arch9wavefront6targetE1EEEvT1_
; %bb.0:
	.section	.rodata,"a",@progbits
	.p2align	6, 0x0
	.amdhsa_kernel _ZN7rocprim17ROCPRIM_400000_NS6detail17trampoline_kernelINS0_14default_configENS1_35adjacent_difference_config_selectorILb0EaEEZNS1_24adjacent_difference_implIS3_Lb0ELb0EPaS7_N6thrust23THRUST_200600_302600_NS5minusIaEEEE10hipError_tPvRmT2_T3_mT4_P12ihipStream_tbEUlT_E_NS1_11comp_targetILNS1_3genE3ELNS1_11target_archE908ELNS1_3gpuE7ELNS1_3repE0EEENS1_30default_config_static_selectorELNS0_4arch9wavefront6targetE1EEEvT1_
		.amdhsa_group_segment_fixed_size 0
		.amdhsa_private_segment_fixed_size 0
		.amdhsa_kernarg_size 56
		.amdhsa_user_sgpr_count 2
		.amdhsa_user_sgpr_dispatch_ptr 0
		.amdhsa_user_sgpr_queue_ptr 0
		.amdhsa_user_sgpr_kernarg_segment_ptr 1
		.amdhsa_user_sgpr_dispatch_id 0
		.amdhsa_user_sgpr_kernarg_preload_length 0
		.amdhsa_user_sgpr_kernarg_preload_offset 0
		.amdhsa_user_sgpr_private_segment_size 0
		.amdhsa_uses_dynamic_stack 0
		.amdhsa_enable_private_segment 0
		.amdhsa_system_sgpr_workgroup_id_x 1
		.amdhsa_system_sgpr_workgroup_id_y 0
		.amdhsa_system_sgpr_workgroup_id_z 0
		.amdhsa_system_sgpr_workgroup_info 0
		.amdhsa_system_vgpr_workitem_id 0
		.amdhsa_next_free_vgpr 1
		.amdhsa_next_free_sgpr 0
		.amdhsa_accum_offset 4
		.amdhsa_reserve_vcc 0
		.amdhsa_float_round_mode_32 0
		.amdhsa_float_round_mode_16_64 0
		.amdhsa_float_denorm_mode_32 3
		.amdhsa_float_denorm_mode_16_64 3
		.amdhsa_dx10_clamp 1
		.amdhsa_ieee_mode 1
		.amdhsa_fp16_overflow 0
		.amdhsa_tg_split 0
		.amdhsa_exception_fp_ieee_invalid_op 0
		.amdhsa_exception_fp_denorm_src 0
		.amdhsa_exception_fp_ieee_div_zero 0
		.amdhsa_exception_fp_ieee_overflow 0
		.amdhsa_exception_fp_ieee_underflow 0
		.amdhsa_exception_fp_ieee_inexact 0
		.amdhsa_exception_int_div_zero 0
	.end_amdhsa_kernel
	.section	.text._ZN7rocprim17ROCPRIM_400000_NS6detail17trampoline_kernelINS0_14default_configENS1_35adjacent_difference_config_selectorILb0EaEEZNS1_24adjacent_difference_implIS3_Lb0ELb0EPaS7_N6thrust23THRUST_200600_302600_NS5minusIaEEEE10hipError_tPvRmT2_T3_mT4_P12ihipStream_tbEUlT_E_NS1_11comp_targetILNS1_3genE3ELNS1_11target_archE908ELNS1_3gpuE7ELNS1_3repE0EEENS1_30default_config_static_selectorELNS0_4arch9wavefront6targetE1EEEvT1_,"axG",@progbits,_ZN7rocprim17ROCPRIM_400000_NS6detail17trampoline_kernelINS0_14default_configENS1_35adjacent_difference_config_selectorILb0EaEEZNS1_24adjacent_difference_implIS3_Lb0ELb0EPaS7_N6thrust23THRUST_200600_302600_NS5minusIaEEEE10hipError_tPvRmT2_T3_mT4_P12ihipStream_tbEUlT_E_NS1_11comp_targetILNS1_3genE3ELNS1_11target_archE908ELNS1_3gpuE7ELNS1_3repE0EEENS1_30default_config_static_selectorELNS0_4arch9wavefront6targetE1EEEvT1_,comdat
.Lfunc_end5:
	.size	_ZN7rocprim17ROCPRIM_400000_NS6detail17trampoline_kernelINS0_14default_configENS1_35adjacent_difference_config_selectorILb0EaEEZNS1_24adjacent_difference_implIS3_Lb0ELb0EPaS7_N6thrust23THRUST_200600_302600_NS5minusIaEEEE10hipError_tPvRmT2_T3_mT4_P12ihipStream_tbEUlT_E_NS1_11comp_targetILNS1_3genE3ELNS1_11target_archE908ELNS1_3gpuE7ELNS1_3repE0EEENS1_30default_config_static_selectorELNS0_4arch9wavefront6targetE1EEEvT1_, .Lfunc_end5-_ZN7rocprim17ROCPRIM_400000_NS6detail17trampoline_kernelINS0_14default_configENS1_35adjacent_difference_config_selectorILb0EaEEZNS1_24adjacent_difference_implIS3_Lb0ELb0EPaS7_N6thrust23THRUST_200600_302600_NS5minusIaEEEE10hipError_tPvRmT2_T3_mT4_P12ihipStream_tbEUlT_E_NS1_11comp_targetILNS1_3genE3ELNS1_11target_archE908ELNS1_3gpuE7ELNS1_3repE0EEENS1_30default_config_static_selectorELNS0_4arch9wavefront6targetE1EEEvT1_
                                        ; -- End function
	.section	.AMDGPU.csdata,"",@progbits
; Kernel info:
; codeLenInByte = 0
; NumSgprs: 6
; NumVgprs: 0
; NumAgprs: 0
; TotalNumVgprs: 0
; ScratchSize: 0
; MemoryBound: 0
; FloatMode: 240
; IeeeMode: 1
; LDSByteSize: 0 bytes/workgroup (compile time only)
; SGPRBlocks: 0
; VGPRBlocks: 0
; NumSGPRsForWavesPerEU: 6
; NumVGPRsForWavesPerEU: 1
; AccumOffset: 4
; Occupancy: 8
; WaveLimiterHint : 0
; COMPUTE_PGM_RSRC2:SCRATCH_EN: 0
; COMPUTE_PGM_RSRC2:USER_SGPR: 2
; COMPUTE_PGM_RSRC2:TRAP_HANDLER: 0
; COMPUTE_PGM_RSRC2:TGID_X_EN: 1
; COMPUTE_PGM_RSRC2:TGID_Y_EN: 0
; COMPUTE_PGM_RSRC2:TGID_Z_EN: 0
; COMPUTE_PGM_RSRC2:TIDIG_COMP_CNT: 0
; COMPUTE_PGM_RSRC3_GFX90A:ACCUM_OFFSET: 0
; COMPUTE_PGM_RSRC3_GFX90A:TG_SPLIT: 0
	.section	.text._ZN7rocprim17ROCPRIM_400000_NS6detail17trampoline_kernelINS0_14default_configENS1_35adjacent_difference_config_selectorILb0EaEEZNS1_24adjacent_difference_implIS3_Lb0ELb0EPaS7_N6thrust23THRUST_200600_302600_NS5minusIaEEEE10hipError_tPvRmT2_T3_mT4_P12ihipStream_tbEUlT_E_NS1_11comp_targetILNS1_3genE2ELNS1_11target_archE906ELNS1_3gpuE6ELNS1_3repE0EEENS1_30default_config_static_selectorELNS0_4arch9wavefront6targetE1EEEvT1_,"axG",@progbits,_ZN7rocprim17ROCPRIM_400000_NS6detail17trampoline_kernelINS0_14default_configENS1_35adjacent_difference_config_selectorILb0EaEEZNS1_24adjacent_difference_implIS3_Lb0ELb0EPaS7_N6thrust23THRUST_200600_302600_NS5minusIaEEEE10hipError_tPvRmT2_T3_mT4_P12ihipStream_tbEUlT_E_NS1_11comp_targetILNS1_3genE2ELNS1_11target_archE906ELNS1_3gpuE6ELNS1_3repE0EEENS1_30default_config_static_selectorELNS0_4arch9wavefront6targetE1EEEvT1_,comdat
	.protected	_ZN7rocprim17ROCPRIM_400000_NS6detail17trampoline_kernelINS0_14default_configENS1_35adjacent_difference_config_selectorILb0EaEEZNS1_24adjacent_difference_implIS3_Lb0ELb0EPaS7_N6thrust23THRUST_200600_302600_NS5minusIaEEEE10hipError_tPvRmT2_T3_mT4_P12ihipStream_tbEUlT_E_NS1_11comp_targetILNS1_3genE2ELNS1_11target_archE906ELNS1_3gpuE6ELNS1_3repE0EEENS1_30default_config_static_selectorELNS0_4arch9wavefront6targetE1EEEvT1_ ; -- Begin function _ZN7rocprim17ROCPRIM_400000_NS6detail17trampoline_kernelINS0_14default_configENS1_35adjacent_difference_config_selectorILb0EaEEZNS1_24adjacent_difference_implIS3_Lb0ELb0EPaS7_N6thrust23THRUST_200600_302600_NS5minusIaEEEE10hipError_tPvRmT2_T3_mT4_P12ihipStream_tbEUlT_E_NS1_11comp_targetILNS1_3genE2ELNS1_11target_archE906ELNS1_3gpuE6ELNS1_3repE0EEENS1_30default_config_static_selectorELNS0_4arch9wavefront6targetE1EEEvT1_
	.globl	_ZN7rocprim17ROCPRIM_400000_NS6detail17trampoline_kernelINS0_14default_configENS1_35adjacent_difference_config_selectorILb0EaEEZNS1_24adjacent_difference_implIS3_Lb0ELb0EPaS7_N6thrust23THRUST_200600_302600_NS5minusIaEEEE10hipError_tPvRmT2_T3_mT4_P12ihipStream_tbEUlT_E_NS1_11comp_targetILNS1_3genE2ELNS1_11target_archE906ELNS1_3gpuE6ELNS1_3repE0EEENS1_30default_config_static_selectorELNS0_4arch9wavefront6targetE1EEEvT1_
	.p2align	8
	.type	_ZN7rocprim17ROCPRIM_400000_NS6detail17trampoline_kernelINS0_14default_configENS1_35adjacent_difference_config_selectorILb0EaEEZNS1_24adjacent_difference_implIS3_Lb0ELb0EPaS7_N6thrust23THRUST_200600_302600_NS5minusIaEEEE10hipError_tPvRmT2_T3_mT4_P12ihipStream_tbEUlT_E_NS1_11comp_targetILNS1_3genE2ELNS1_11target_archE906ELNS1_3gpuE6ELNS1_3repE0EEENS1_30default_config_static_selectorELNS0_4arch9wavefront6targetE1EEEvT1_,@function
_ZN7rocprim17ROCPRIM_400000_NS6detail17trampoline_kernelINS0_14default_configENS1_35adjacent_difference_config_selectorILb0EaEEZNS1_24adjacent_difference_implIS3_Lb0ELb0EPaS7_N6thrust23THRUST_200600_302600_NS5minusIaEEEE10hipError_tPvRmT2_T3_mT4_P12ihipStream_tbEUlT_E_NS1_11comp_targetILNS1_3genE2ELNS1_11target_archE906ELNS1_3gpuE6ELNS1_3repE0EEENS1_30default_config_static_selectorELNS0_4arch9wavefront6targetE1EEEvT1_: ; @_ZN7rocprim17ROCPRIM_400000_NS6detail17trampoline_kernelINS0_14default_configENS1_35adjacent_difference_config_selectorILb0EaEEZNS1_24adjacent_difference_implIS3_Lb0ELb0EPaS7_N6thrust23THRUST_200600_302600_NS5minusIaEEEE10hipError_tPvRmT2_T3_mT4_P12ihipStream_tbEUlT_E_NS1_11comp_targetILNS1_3genE2ELNS1_11target_archE906ELNS1_3gpuE6ELNS1_3repE0EEENS1_30default_config_static_selectorELNS0_4arch9wavefront6targetE1EEEvT1_
; %bb.0:
	.section	.rodata,"a",@progbits
	.p2align	6, 0x0
	.amdhsa_kernel _ZN7rocprim17ROCPRIM_400000_NS6detail17trampoline_kernelINS0_14default_configENS1_35adjacent_difference_config_selectorILb0EaEEZNS1_24adjacent_difference_implIS3_Lb0ELb0EPaS7_N6thrust23THRUST_200600_302600_NS5minusIaEEEE10hipError_tPvRmT2_T3_mT4_P12ihipStream_tbEUlT_E_NS1_11comp_targetILNS1_3genE2ELNS1_11target_archE906ELNS1_3gpuE6ELNS1_3repE0EEENS1_30default_config_static_selectorELNS0_4arch9wavefront6targetE1EEEvT1_
		.amdhsa_group_segment_fixed_size 0
		.amdhsa_private_segment_fixed_size 0
		.amdhsa_kernarg_size 56
		.amdhsa_user_sgpr_count 2
		.amdhsa_user_sgpr_dispatch_ptr 0
		.amdhsa_user_sgpr_queue_ptr 0
		.amdhsa_user_sgpr_kernarg_segment_ptr 1
		.amdhsa_user_sgpr_dispatch_id 0
		.amdhsa_user_sgpr_kernarg_preload_length 0
		.amdhsa_user_sgpr_kernarg_preload_offset 0
		.amdhsa_user_sgpr_private_segment_size 0
		.amdhsa_uses_dynamic_stack 0
		.amdhsa_enable_private_segment 0
		.amdhsa_system_sgpr_workgroup_id_x 1
		.amdhsa_system_sgpr_workgroup_id_y 0
		.amdhsa_system_sgpr_workgroup_id_z 0
		.amdhsa_system_sgpr_workgroup_info 0
		.amdhsa_system_vgpr_workitem_id 0
		.amdhsa_next_free_vgpr 1
		.amdhsa_next_free_sgpr 0
		.amdhsa_accum_offset 4
		.amdhsa_reserve_vcc 0
		.amdhsa_float_round_mode_32 0
		.amdhsa_float_round_mode_16_64 0
		.amdhsa_float_denorm_mode_32 3
		.amdhsa_float_denorm_mode_16_64 3
		.amdhsa_dx10_clamp 1
		.amdhsa_ieee_mode 1
		.amdhsa_fp16_overflow 0
		.amdhsa_tg_split 0
		.amdhsa_exception_fp_ieee_invalid_op 0
		.amdhsa_exception_fp_denorm_src 0
		.amdhsa_exception_fp_ieee_div_zero 0
		.amdhsa_exception_fp_ieee_overflow 0
		.amdhsa_exception_fp_ieee_underflow 0
		.amdhsa_exception_fp_ieee_inexact 0
		.amdhsa_exception_int_div_zero 0
	.end_amdhsa_kernel
	.section	.text._ZN7rocprim17ROCPRIM_400000_NS6detail17trampoline_kernelINS0_14default_configENS1_35adjacent_difference_config_selectorILb0EaEEZNS1_24adjacent_difference_implIS3_Lb0ELb0EPaS7_N6thrust23THRUST_200600_302600_NS5minusIaEEEE10hipError_tPvRmT2_T3_mT4_P12ihipStream_tbEUlT_E_NS1_11comp_targetILNS1_3genE2ELNS1_11target_archE906ELNS1_3gpuE6ELNS1_3repE0EEENS1_30default_config_static_selectorELNS0_4arch9wavefront6targetE1EEEvT1_,"axG",@progbits,_ZN7rocprim17ROCPRIM_400000_NS6detail17trampoline_kernelINS0_14default_configENS1_35adjacent_difference_config_selectorILb0EaEEZNS1_24adjacent_difference_implIS3_Lb0ELb0EPaS7_N6thrust23THRUST_200600_302600_NS5minusIaEEEE10hipError_tPvRmT2_T3_mT4_P12ihipStream_tbEUlT_E_NS1_11comp_targetILNS1_3genE2ELNS1_11target_archE906ELNS1_3gpuE6ELNS1_3repE0EEENS1_30default_config_static_selectorELNS0_4arch9wavefront6targetE1EEEvT1_,comdat
.Lfunc_end6:
	.size	_ZN7rocprim17ROCPRIM_400000_NS6detail17trampoline_kernelINS0_14default_configENS1_35adjacent_difference_config_selectorILb0EaEEZNS1_24adjacent_difference_implIS3_Lb0ELb0EPaS7_N6thrust23THRUST_200600_302600_NS5minusIaEEEE10hipError_tPvRmT2_T3_mT4_P12ihipStream_tbEUlT_E_NS1_11comp_targetILNS1_3genE2ELNS1_11target_archE906ELNS1_3gpuE6ELNS1_3repE0EEENS1_30default_config_static_selectorELNS0_4arch9wavefront6targetE1EEEvT1_, .Lfunc_end6-_ZN7rocprim17ROCPRIM_400000_NS6detail17trampoline_kernelINS0_14default_configENS1_35adjacent_difference_config_selectorILb0EaEEZNS1_24adjacent_difference_implIS3_Lb0ELb0EPaS7_N6thrust23THRUST_200600_302600_NS5minusIaEEEE10hipError_tPvRmT2_T3_mT4_P12ihipStream_tbEUlT_E_NS1_11comp_targetILNS1_3genE2ELNS1_11target_archE906ELNS1_3gpuE6ELNS1_3repE0EEENS1_30default_config_static_selectorELNS0_4arch9wavefront6targetE1EEEvT1_
                                        ; -- End function
	.section	.AMDGPU.csdata,"",@progbits
; Kernel info:
; codeLenInByte = 0
; NumSgprs: 6
; NumVgprs: 0
; NumAgprs: 0
; TotalNumVgprs: 0
; ScratchSize: 0
; MemoryBound: 0
; FloatMode: 240
; IeeeMode: 1
; LDSByteSize: 0 bytes/workgroup (compile time only)
; SGPRBlocks: 0
; VGPRBlocks: 0
; NumSGPRsForWavesPerEU: 6
; NumVGPRsForWavesPerEU: 1
; AccumOffset: 4
; Occupancy: 8
; WaveLimiterHint : 0
; COMPUTE_PGM_RSRC2:SCRATCH_EN: 0
; COMPUTE_PGM_RSRC2:USER_SGPR: 2
; COMPUTE_PGM_RSRC2:TRAP_HANDLER: 0
; COMPUTE_PGM_RSRC2:TGID_X_EN: 1
; COMPUTE_PGM_RSRC2:TGID_Y_EN: 0
; COMPUTE_PGM_RSRC2:TGID_Z_EN: 0
; COMPUTE_PGM_RSRC2:TIDIG_COMP_CNT: 0
; COMPUTE_PGM_RSRC3_GFX90A:ACCUM_OFFSET: 0
; COMPUTE_PGM_RSRC3_GFX90A:TG_SPLIT: 0
	.section	.text._ZN7rocprim17ROCPRIM_400000_NS6detail17trampoline_kernelINS0_14default_configENS1_35adjacent_difference_config_selectorILb0EaEEZNS1_24adjacent_difference_implIS3_Lb0ELb0EPaS7_N6thrust23THRUST_200600_302600_NS5minusIaEEEE10hipError_tPvRmT2_T3_mT4_P12ihipStream_tbEUlT_E_NS1_11comp_targetILNS1_3genE9ELNS1_11target_archE1100ELNS1_3gpuE3ELNS1_3repE0EEENS1_30default_config_static_selectorELNS0_4arch9wavefront6targetE1EEEvT1_,"axG",@progbits,_ZN7rocprim17ROCPRIM_400000_NS6detail17trampoline_kernelINS0_14default_configENS1_35adjacent_difference_config_selectorILb0EaEEZNS1_24adjacent_difference_implIS3_Lb0ELb0EPaS7_N6thrust23THRUST_200600_302600_NS5minusIaEEEE10hipError_tPvRmT2_T3_mT4_P12ihipStream_tbEUlT_E_NS1_11comp_targetILNS1_3genE9ELNS1_11target_archE1100ELNS1_3gpuE3ELNS1_3repE0EEENS1_30default_config_static_selectorELNS0_4arch9wavefront6targetE1EEEvT1_,comdat
	.protected	_ZN7rocprim17ROCPRIM_400000_NS6detail17trampoline_kernelINS0_14default_configENS1_35adjacent_difference_config_selectorILb0EaEEZNS1_24adjacent_difference_implIS3_Lb0ELb0EPaS7_N6thrust23THRUST_200600_302600_NS5minusIaEEEE10hipError_tPvRmT2_T3_mT4_P12ihipStream_tbEUlT_E_NS1_11comp_targetILNS1_3genE9ELNS1_11target_archE1100ELNS1_3gpuE3ELNS1_3repE0EEENS1_30default_config_static_selectorELNS0_4arch9wavefront6targetE1EEEvT1_ ; -- Begin function _ZN7rocprim17ROCPRIM_400000_NS6detail17trampoline_kernelINS0_14default_configENS1_35adjacent_difference_config_selectorILb0EaEEZNS1_24adjacent_difference_implIS3_Lb0ELb0EPaS7_N6thrust23THRUST_200600_302600_NS5minusIaEEEE10hipError_tPvRmT2_T3_mT4_P12ihipStream_tbEUlT_E_NS1_11comp_targetILNS1_3genE9ELNS1_11target_archE1100ELNS1_3gpuE3ELNS1_3repE0EEENS1_30default_config_static_selectorELNS0_4arch9wavefront6targetE1EEEvT1_
	.globl	_ZN7rocprim17ROCPRIM_400000_NS6detail17trampoline_kernelINS0_14default_configENS1_35adjacent_difference_config_selectorILb0EaEEZNS1_24adjacent_difference_implIS3_Lb0ELb0EPaS7_N6thrust23THRUST_200600_302600_NS5minusIaEEEE10hipError_tPvRmT2_T3_mT4_P12ihipStream_tbEUlT_E_NS1_11comp_targetILNS1_3genE9ELNS1_11target_archE1100ELNS1_3gpuE3ELNS1_3repE0EEENS1_30default_config_static_selectorELNS0_4arch9wavefront6targetE1EEEvT1_
	.p2align	8
	.type	_ZN7rocprim17ROCPRIM_400000_NS6detail17trampoline_kernelINS0_14default_configENS1_35adjacent_difference_config_selectorILb0EaEEZNS1_24adjacent_difference_implIS3_Lb0ELb0EPaS7_N6thrust23THRUST_200600_302600_NS5minusIaEEEE10hipError_tPvRmT2_T3_mT4_P12ihipStream_tbEUlT_E_NS1_11comp_targetILNS1_3genE9ELNS1_11target_archE1100ELNS1_3gpuE3ELNS1_3repE0EEENS1_30default_config_static_selectorELNS0_4arch9wavefront6targetE1EEEvT1_,@function
_ZN7rocprim17ROCPRIM_400000_NS6detail17trampoline_kernelINS0_14default_configENS1_35adjacent_difference_config_selectorILb0EaEEZNS1_24adjacent_difference_implIS3_Lb0ELb0EPaS7_N6thrust23THRUST_200600_302600_NS5minusIaEEEE10hipError_tPvRmT2_T3_mT4_P12ihipStream_tbEUlT_E_NS1_11comp_targetILNS1_3genE9ELNS1_11target_archE1100ELNS1_3gpuE3ELNS1_3repE0EEENS1_30default_config_static_selectorELNS0_4arch9wavefront6targetE1EEEvT1_: ; @_ZN7rocprim17ROCPRIM_400000_NS6detail17trampoline_kernelINS0_14default_configENS1_35adjacent_difference_config_selectorILb0EaEEZNS1_24adjacent_difference_implIS3_Lb0ELb0EPaS7_N6thrust23THRUST_200600_302600_NS5minusIaEEEE10hipError_tPvRmT2_T3_mT4_P12ihipStream_tbEUlT_E_NS1_11comp_targetILNS1_3genE9ELNS1_11target_archE1100ELNS1_3gpuE3ELNS1_3repE0EEENS1_30default_config_static_selectorELNS0_4arch9wavefront6targetE1EEEvT1_
; %bb.0:
	.section	.rodata,"a",@progbits
	.p2align	6, 0x0
	.amdhsa_kernel _ZN7rocprim17ROCPRIM_400000_NS6detail17trampoline_kernelINS0_14default_configENS1_35adjacent_difference_config_selectorILb0EaEEZNS1_24adjacent_difference_implIS3_Lb0ELb0EPaS7_N6thrust23THRUST_200600_302600_NS5minusIaEEEE10hipError_tPvRmT2_T3_mT4_P12ihipStream_tbEUlT_E_NS1_11comp_targetILNS1_3genE9ELNS1_11target_archE1100ELNS1_3gpuE3ELNS1_3repE0EEENS1_30default_config_static_selectorELNS0_4arch9wavefront6targetE1EEEvT1_
		.amdhsa_group_segment_fixed_size 0
		.amdhsa_private_segment_fixed_size 0
		.amdhsa_kernarg_size 56
		.amdhsa_user_sgpr_count 2
		.amdhsa_user_sgpr_dispatch_ptr 0
		.amdhsa_user_sgpr_queue_ptr 0
		.amdhsa_user_sgpr_kernarg_segment_ptr 1
		.amdhsa_user_sgpr_dispatch_id 0
		.amdhsa_user_sgpr_kernarg_preload_length 0
		.amdhsa_user_sgpr_kernarg_preload_offset 0
		.amdhsa_user_sgpr_private_segment_size 0
		.amdhsa_uses_dynamic_stack 0
		.amdhsa_enable_private_segment 0
		.amdhsa_system_sgpr_workgroup_id_x 1
		.amdhsa_system_sgpr_workgroup_id_y 0
		.amdhsa_system_sgpr_workgroup_id_z 0
		.amdhsa_system_sgpr_workgroup_info 0
		.amdhsa_system_vgpr_workitem_id 0
		.amdhsa_next_free_vgpr 1
		.amdhsa_next_free_sgpr 0
		.amdhsa_accum_offset 4
		.amdhsa_reserve_vcc 0
		.amdhsa_float_round_mode_32 0
		.amdhsa_float_round_mode_16_64 0
		.amdhsa_float_denorm_mode_32 3
		.amdhsa_float_denorm_mode_16_64 3
		.amdhsa_dx10_clamp 1
		.amdhsa_ieee_mode 1
		.amdhsa_fp16_overflow 0
		.amdhsa_tg_split 0
		.amdhsa_exception_fp_ieee_invalid_op 0
		.amdhsa_exception_fp_denorm_src 0
		.amdhsa_exception_fp_ieee_div_zero 0
		.amdhsa_exception_fp_ieee_overflow 0
		.amdhsa_exception_fp_ieee_underflow 0
		.amdhsa_exception_fp_ieee_inexact 0
		.amdhsa_exception_int_div_zero 0
	.end_amdhsa_kernel
	.section	.text._ZN7rocprim17ROCPRIM_400000_NS6detail17trampoline_kernelINS0_14default_configENS1_35adjacent_difference_config_selectorILb0EaEEZNS1_24adjacent_difference_implIS3_Lb0ELb0EPaS7_N6thrust23THRUST_200600_302600_NS5minusIaEEEE10hipError_tPvRmT2_T3_mT4_P12ihipStream_tbEUlT_E_NS1_11comp_targetILNS1_3genE9ELNS1_11target_archE1100ELNS1_3gpuE3ELNS1_3repE0EEENS1_30default_config_static_selectorELNS0_4arch9wavefront6targetE1EEEvT1_,"axG",@progbits,_ZN7rocprim17ROCPRIM_400000_NS6detail17trampoline_kernelINS0_14default_configENS1_35adjacent_difference_config_selectorILb0EaEEZNS1_24adjacent_difference_implIS3_Lb0ELb0EPaS7_N6thrust23THRUST_200600_302600_NS5minusIaEEEE10hipError_tPvRmT2_T3_mT4_P12ihipStream_tbEUlT_E_NS1_11comp_targetILNS1_3genE9ELNS1_11target_archE1100ELNS1_3gpuE3ELNS1_3repE0EEENS1_30default_config_static_selectorELNS0_4arch9wavefront6targetE1EEEvT1_,comdat
.Lfunc_end7:
	.size	_ZN7rocprim17ROCPRIM_400000_NS6detail17trampoline_kernelINS0_14default_configENS1_35adjacent_difference_config_selectorILb0EaEEZNS1_24adjacent_difference_implIS3_Lb0ELb0EPaS7_N6thrust23THRUST_200600_302600_NS5minusIaEEEE10hipError_tPvRmT2_T3_mT4_P12ihipStream_tbEUlT_E_NS1_11comp_targetILNS1_3genE9ELNS1_11target_archE1100ELNS1_3gpuE3ELNS1_3repE0EEENS1_30default_config_static_selectorELNS0_4arch9wavefront6targetE1EEEvT1_, .Lfunc_end7-_ZN7rocprim17ROCPRIM_400000_NS6detail17trampoline_kernelINS0_14default_configENS1_35adjacent_difference_config_selectorILb0EaEEZNS1_24adjacent_difference_implIS3_Lb0ELb0EPaS7_N6thrust23THRUST_200600_302600_NS5minusIaEEEE10hipError_tPvRmT2_T3_mT4_P12ihipStream_tbEUlT_E_NS1_11comp_targetILNS1_3genE9ELNS1_11target_archE1100ELNS1_3gpuE3ELNS1_3repE0EEENS1_30default_config_static_selectorELNS0_4arch9wavefront6targetE1EEEvT1_
                                        ; -- End function
	.section	.AMDGPU.csdata,"",@progbits
; Kernel info:
; codeLenInByte = 0
; NumSgprs: 6
; NumVgprs: 0
; NumAgprs: 0
; TotalNumVgprs: 0
; ScratchSize: 0
; MemoryBound: 0
; FloatMode: 240
; IeeeMode: 1
; LDSByteSize: 0 bytes/workgroup (compile time only)
; SGPRBlocks: 0
; VGPRBlocks: 0
; NumSGPRsForWavesPerEU: 6
; NumVGPRsForWavesPerEU: 1
; AccumOffset: 4
; Occupancy: 8
; WaveLimiterHint : 0
; COMPUTE_PGM_RSRC2:SCRATCH_EN: 0
; COMPUTE_PGM_RSRC2:USER_SGPR: 2
; COMPUTE_PGM_RSRC2:TRAP_HANDLER: 0
; COMPUTE_PGM_RSRC2:TGID_X_EN: 1
; COMPUTE_PGM_RSRC2:TGID_Y_EN: 0
; COMPUTE_PGM_RSRC2:TGID_Z_EN: 0
; COMPUTE_PGM_RSRC2:TIDIG_COMP_CNT: 0
; COMPUTE_PGM_RSRC3_GFX90A:ACCUM_OFFSET: 0
; COMPUTE_PGM_RSRC3_GFX90A:TG_SPLIT: 0
	.section	.text._ZN7rocprim17ROCPRIM_400000_NS6detail17trampoline_kernelINS0_14default_configENS1_35adjacent_difference_config_selectorILb0EaEEZNS1_24adjacent_difference_implIS3_Lb0ELb0EPaS7_N6thrust23THRUST_200600_302600_NS5minusIaEEEE10hipError_tPvRmT2_T3_mT4_P12ihipStream_tbEUlT_E_NS1_11comp_targetILNS1_3genE8ELNS1_11target_archE1030ELNS1_3gpuE2ELNS1_3repE0EEENS1_30default_config_static_selectorELNS0_4arch9wavefront6targetE1EEEvT1_,"axG",@progbits,_ZN7rocprim17ROCPRIM_400000_NS6detail17trampoline_kernelINS0_14default_configENS1_35adjacent_difference_config_selectorILb0EaEEZNS1_24adjacent_difference_implIS3_Lb0ELb0EPaS7_N6thrust23THRUST_200600_302600_NS5minusIaEEEE10hipError_tPvRmT2_T3_mT4_P12ihipStream_tbEUlT_E_NS1_11comp_targetILNS1_3genE8ELNS1_11target_archE1030ELNS1_3gpuE2ELNS1_3repE0EEENS1_30default_config_static_selectorELNS0_4arch9wavefront6targetE1EEEvT1_,comdat
	.protected	_ZN7rocprim17ROCPRIM_400000_NS6detail17trampoline_kernelINS0_14default_configENS1_35adjacent_difference_config_selectorILb0EaEEZNS1_24adjacent_difference_implIS3_Lb0ELb0EPaS7_N6thrust23THRUST_200600_302600_NS5minusIaEEEE10hipError_tPvRmT2_T3_mT4_P12ihipStream_tbEUlT_E_NS1_11comp_targetILNS1_3genE8ELNS1_11target_archE1030ELNS1_3gpuE2ELNS1_3repE0EEENS1_30default_config_static_selectorELNS0_4arch9wavefront6targetE1EEEvT1_ ; -- Begin function _ZN7rocprim17ROCPRIM_400000_NS6detail17trampoline_kernelINS0_14default_configENS1_35adjacent_difference_config_selectorILb0EaEEZNS1_24adjacent_difference_implIS3_Lb0ELb0EPaS7_N6thrust23THRUST_200600_302600_NS5minusIaEEEE10hipError_tPvRmT2_T3_mT4_P12ihipStream_tbEUlT_E_NS1_11comp_targetILNS1_3genE8ELNS1_11target_archE1030ELNS1_3gpuE2ELNS1_3repE0EEENS1_30default_config_static_selectorELNS0_4arch9wavefront6targetE1EEEvT1_
	.globl	_ZN7rocprim17ROCPRIM_400000_NS6detail17trampoline_kernelINS0_14default_configENS1_35adjacent_difference_config_selectorILb0EaEEZNS1_24adjacent_difference_implIS3_Lb0ELb0EPaS7_N6thrust23THRUST_200600_302600_NS5minusIaEEEE10hipError_tPvRmT2_T3_mT4_P12ihipStream_tbEUlT_E_NS1_11comp_targetILNS1_3genE8ELNS1_11target_archE1030ELNS1_3gpuE2ELNS1_3repE0EEENS1_30default_config_static_selectorELNS0_4arch9wavefront6targetE1EEEvT1_
	.p2align	8
	.type	_ZN7rocprim17ROCPRIM_400000_NS6detail17trampoline_kernelINS0_14default_configENS1_35adjacent_difference_config_selectorILb0EaEEZNS1_24adjacent_difference_implIS3_Lb0ELb0EPaS7_N6thrust23THRUST_200600_302600_NS5minusIaEEEE10hipError_tPvRmT2_T3_mT4_P12ihipStream_tbEUlT_E_NS1_11comp_targetILNS1_3genE8ELNS1_11target_archE1030ELNS1_3gpuE2ELNS1_3repE0EEENS1_30default_config_static_selectorELNS0_4arch9wavefront6targetE1EEEvT1_,@function
_ZN7rocprim17ROCPRIM_400000_NS6detail17trampoline_kernelINS0_14default_configENS1_35adjacent_difference_config_selectorILb0EaEEZNS1_24adjacent_difference_implIS3_Lb0ELb0EPaS7_N6thrust23THRUST_200600_302600_NS5minusIaEEEE10hipError_tPvRmT2_T3_mT4_P12ihipStream_tbEUlT_E_NS1_11comp_targetILNS1_3genE8ELNS1_11target_archE1030ELNS1_3gpuE2ELNS1_3repE0EEENS1_30default_config_static_selectorELNS0_4arch9wavefront6targetE1EEEvT1_: ; @_ZN7rocprim17ROCPRIM_400000_NS6detail17trampoline_kernelINS0_14default_configENS1_35adjacent_difference_config_selectorILb0EaEEZNS1_24adjacent_difference_implIS3_Lb0ELb0EPaS7_N6thrust23THRUST_200600_302600_NS5minusIaEEEE10hipError_tPvRmT2_T3_mT4_P12ihipStream_tbEUlT_E_NS1_11comp_targetILNS1_3genE8ELNS1_11target_archE1030ELNS1_3gpuE2ELNS1_3repE0EEENS1_30default_config_static_selectorELNS0_4arch9wavefront6targetE1EEEvT1_
; %bb.0:
	.section	.rodata,"a",@progbits
	.p2align	6, 0x0
	.amdhsa_kernel _ZN7rocprim17ROCPRIM_400000_NS6detail17trampoline_kernelINS0_14default_configENS1_35adjacent_difference_config_selectorILb0EaEEZNS1_24adjacent_difference_implIS3_Lb0ELb0EPaS7_N6thrust23THRUST_200600_302600_NS5minusIaEEEE10hipError_tPvRmT2_T3_mT4_P12ihipStream_tbEUlT_E_NS1_11comp_targetILNS1_3genE8ELNS1_11target_archE1030ELNS1_3gpuE2ELNS1_3repE0EEENS1_30default_config_static_selectorELNS0_4arch9wavefront6targetE1EEEvT1_
		.amdhsa_group_segment_fixed_size 0
		.amdhsa_private_segment_fixed_size 0
		.amdhsa_kernarg_size 56
		.amdhsa_user_sgpr_count 2
		.amdhsa_user_sgpr_dispatch_ptr 0
		.amdhsa_user_sgpr_queue_ptr 0
		.amdhsa_user_sgpr_kernarg_segment_ptr 1
		.amdhsa_user_sgpr_dispatch_id 0
		.amdhsa_user_sgpr_kernarg_preload_length 0
		.amdhsa_user_sgpr_kernarg_preload_offset 0
		.amdhsa_user_sgpr_private_segment_size 0
		.amdhsa_uses_dynamic_stack 0
		.amdhsa_enable_private_segment 0
		.amdhsa_system_sgpr_workgroup_id_x 1
		.amdhsa_system_sgpr_workgroup_id_y 0
		.amdhsa_system_sgpr_workgroup_id_z 0
		.amdhsa_system_sgpr_workgroup_info 0
		.amdhsa_system_vgpr_workitem_id 0
		.amdhsa_next_free_vgpr 1
		.amdhsa_next_free_sgpr 0
		.amdhsa_accum_offset 4
		.amdhsa_reserve_vcc 0
		.amdhsa_float_round_mode_32 0
		.amdhsa_float_round_mode_16_64 0
		.amdhsa_float_denorm_mode_32 3
		.amdhsa_float_denorm_mode_16_64 3
		.amdhsa_dx10_clamp 1
		.amdhsa_ieee_mode 1
		.amdhsa_fp16_overflow 0
		.amdhsa_tg_split 0
		.amdhsa_exception_fp_ieee_invalid_op 0
		.amdhsa_exception_fp_denorm_src 0
		.amdhsa_exception_fp_ieee_div_zero 0
		.amdhsa_exception_fp_ieee_overflow 0
		.amdhsa_exception_fp_ieee_underflow 0
		.amdhsa_exception_fp_ieee_inexact 0
		.amdhsa_exception_int_div_zero 0
	.end_amdhsa_kernel
	.section	.text._ZN7rocprim17ROCPRIM_400000_NS6detail17trampoline_kernelINS0_14default_configENS1_35adjacent_difference_config_selectorILb0EaEEZNS1_24adjacent_difference_implIS3_Lb0ELb0EPaS7_N6thrust23THRUST_200600_302600_NS5minusIaEEEE10hipError_tPvRmT2_T3_mT4_P12ihipStream_tbEUlT_E_NS1_11comp_targetILNS1_3genE8ELNS1_11target_archE1030ELNS1_3gpuE2ELNS1_3repE0EEENS1_30default_config_static_selectorELNS0_4arch9wavefront6targetE1EEEvT1_,"axG",@progbits,_ZN7rocprim17ROCPRIM_400000_NS6detail17trampoline_kernelINS0_14default_configENS1_35adjacent_difference_config_selectorILb0EaEEZNS1_24adjacent_difference_implIS3_Lb0ELb0EPaS7_N6thrust23THRUST_200600_302600_NS5minusIaEEEE10hipError_tPvRmT2_T3_mT4_P12ihipStream_tbEUlT_E_NS1_11comp_targetILNS1_3genE8ELNS1_11target_archE1030ELNS1_3gpuE2ELNS1_3repE0EEENS1_30default_config_static_selectorELNS0_4arch9wavefront6targetE1EEEvT1_,comdat
.Lfunc_end8:
	.size	_ZN7rocprim17ROCPRIM_400000_NS6detail17trampoline_kernelINS0_14default_configENS1_35adjacent_difference_config_selectorILb0EaEEZNS1_24adjacent_difference_implIS3_Lb0ELb0EPaS7_N6thrust23THRUST_200600_302600_NS5minusIaEEEE10hipError_tPvRmT2_T3_mT4_P12ihipStream_tbEUlT_E_NS1_11comp_targetILNS1_3genE8ELNS1_11target_archE1030ELNS1_3gpuE2ELNS1_3repE0EEENS1_30default_config_static_selectorELNS0_4arch9wavefront6targetE1EEEvT1_, .Lfunc_end8-_ZN7rocprim17ROCPRIM_400000_NS6detail17trampoline_kernelINS0_14default_configENS1_35adjacent_difference_config_selectorILb0EaEEZNS1_24adjacent_difference_implIS3_Lb0ELb0EPaS7_N6thrust23THRUST_200600_302600_NS5minusIaEEEE10hipError_tPvRmT2_T3_mT4_P12ihipStream_tbEUlT_E_NS1_11comp_targetILNS1_3genE8ELNS1_11target_archE1030ELNS1_3gpuE2ELNS1_3repE0EEENS1_30default_config_static_selectorELNS0_4arch9wavefront6targetE1EEEvT1_
                                        ; -- End function
	.section	.AMDGPU.csdata,"",@progbits
; Kernel info:
; codeLenInByte = 0
; NumSgprs: 6
; NumVgprs: 0
; NumAgprs: 0
; TotalNumVgprs: 0
; ScratchSize: 0
; MemoryBound: 0
; FloatMode: 240
; IeeeMode: 1
; LDSByteSize: 0 bytes/workgroup (compile time only)
; SGPRBlocks: 0
; VGPRBlocks: 0
; NumSGPRsForWavesPerEU: 6
; NumVGPRsForWavesPerEU: 1
; AccumOffset: 4
; Occupancy: 8
; WaveLimiterHint : 0
; COMPUTE_PGM_RSRC2:SCRATCH_EN: 0
; COMPUTE_PGM_RSRC2:USER_SGPR: 2
; COMPUTE_PGM_RSRC2:TRAP_HANDLER: 0
; COMPUTE_PGM_RSRC2:TGID_X_EN: 1
; COMPUTE_PGM_RSRC2:TGID_Y_EN: 0
; COMPUTE_PGM_RSRC2:TGID_Z_EN: 0
; COMPUTE_PGM_RSRC2:TIDIG_COMP_CNT: 0
; COMPUTE_PGM_RSRC3_GFX90A:ACCUM_OFFSET: 0
; COMPUTE_PGM_RSRC3_GFX90A:TG_SPLIT: 0
	.section	.text._ZN7rocprim17ROCPRIM_400000_NS6detail17trampoline_kernelINS0_14default_configENS1_25transform_config_selectorIaLb0EEEZNS1_14transform_implILb0ES3_S5_NS0_18transform_iteratorINS0_17counting_iteratorImlEEZNS1_24adjacent_difference_implIS3_Lb1ELb0EPaSB_N6thrust23THRUST_200600_302600_NS5minusIaEEEE10hipError_tPvRmT2_T3_mT4_P12ihipStream_tbEUlmE_aEESB_NS0_8identityIvEEEESG_SJ_SK_mSL_SN_bEUlT_E_NS1_11comp_targetILNS1_3genE0ELNS1_11target_archE4294967295ELNS1_3gpuE0ELNS1_3repE0EEENS1_30default_config_static_selectorELNS0_4arch9wavefront6targetE1EEEvT1_,"axG",@progbits,_ZN7rocprim17ROCPRIM_400000_NS6detail17trampoline_kernelINS0_14default_configENS1_25transform_config_selectorIaLb0EEEZNS1_14transform_implILb0ES3_S5_NS0_18transform_iteratorINS0_17counting_iteratorImlEEZNS1_24adjacent_difference_implIS3_Lb1ELb0EPaSB_N6thrust23THRUST_200600_302600_NS5minusIaEEEE10hipError_tPvRmT2_T3_mT4_P12ihipStream_tbEUlmE_aEESB_NS0_8identityIvEEEESG_SJ_SK_mSL_SN_bEUlT_E_NS1_11comp_targetILNS1_3genE0ELNS1_11target_archE4294967295ELNS1_3gpuE0ELNS1_3repE0EEENS1_30default_config_static_selectorELNS0_4arch9wavefront6targetE1EEEvT1_,comdat
	.protected	_ZN7rocprim17ROCPRIM_400000_NS6detail17trampoline_kernelINS0_14default_configENS1_25transform_config_selectorIaLb0EEEZNS1_14transform_implILb0ES3_S5_NS0_18transform_iteratorINS0_17counting_iteratorImlEEZNS1_24adjacent_difference_implIS3_Lb1ELb0EPaSB_N6thrust23THRUST_200600_302600_NS5minusIaEEEE10hipError_tPvRmT2_T3_mT4_P12ihipStream_tbEUlmE_aEESB_NS0_8identityIvEEEESG_SJ_SK_mSL_SN_bEUlT_E_NS1_11comp_targetILNS1_3genE0ELNS1_11target_archE4294967295ELNS1_3gpuE0ELNS1_3repE0EEENS1_30default_config_static_selectorELNS0_4arch9wavefront6targetE1EEEvT1_ ; -- Begin function _ZN7rocprim17ROCPRIM_400000_NS6detail17trampoline_kernelINS0_14default_configENS1_25transform_config_selectorIaLb0EEEZNS1_14transform_implILb0ES3_S5_NS0_18transform_iteratorINS0_17counting_iteratorImlEEZNS1_24adjacent_difference_implIS3_Lb1ELb0EPaSB_N6thrust23THRUST_200600_302600_NS5minusIaEEEE10hipError_tPvRmT2_T3_mT4_P12ihipStream_tbEUlmE_aEESB_NS0_8identityIvEEEESG_SJ_SK_mSL_SN_bEUlT_E_NS1_11comp_targetILNS1_3genE0ELNS1_11target_archE4294967295ELNS1_3gpuE0ELNS1_3repE0EEENS1_30default_config_static_selectorELNS0_4arch9wavefront6targetE1EEEvT1_
	.globl	_ZN7rocprim17ROCPRIM_400000_NS6detail17trampoline_kernelINS0_14default_configENS1_25transform_config_selectorIaLb0EEEZNS1_14transform_implILb0ES3_S5_NS0_18transform_iteratorINS0_17counting_iteratorImlEEZNS1_24adjacent_difference_implIS3_Lb1ELb0EPaSB_N6thrust23THRUST_200600_302600_NS5minusIaEEEE10hipError_tPvRmT2_T3_mT4_P12ihipStream_tbEUlmE_aEESB_NS0_8identityIvEEEESG_SJ_SK_mSL_SN_bEUlT_E_NS1_11comp_targetILNS1_3genE0ELNS1_11target_archE4294967295ELNS1_3gpuE0ELNS1_3repE0EEENS1_30default_config_static_selectorELNS0_4arch9wavefront6targetE1EEEvT1_
	.p2align	8
	.type	_ZN7rocprim17ROCPRIM_400000_NS6detail17trampoline_kernelINS0_14default_configENS1_25transform_config_selectorIaLb0EEEZNS1_14transform_implILb0ES3_S5_NS0_18transform_iteratorINS0_17counting_iteratorImlEEZNS1_24adjacent_difference_implIS3_Lb1ELb0EPaSB_N6thrust23THRUST_200600_302600_NS5minusIaEEEE10hipError_tPvRmT2_T3_mT4_P12ihipStream_tbEUlmE_aEESB_NS0_8identityIvEEEESG_SJ_SK_mSL_SN_bEUlT_E_NS1_11comp_targetILNS1_3genE0ELNS1_11target_archE4294967295ELNS1_3gpuE0ELNS1_3repE0EEENS1_30default_config_static_selectorELNS0_4arch9wavefront6targetE1EEEvT1_,@function
_ZN7rocprim17ROCPRIM_400000_NS6detail17trampoline_kernelINS0_14default_configENS1_25transform_config_selectorIaLb0EEEZNS1_14transform_implILb0ES3_S5_NS0_18transform_iteratorINS0_17counting_iteratorImlEEZNS1_24adjacent_difference_implIS3_Lb1ELb0EPaSB_N6thrust23THRUST_200600_302600_NS5minusIaEEEE10hipError_tPvRmT2_T3_mT4_P12ihipStream_tbEUlmE_aEESB_NS0_8identityIvEEEESG_SJ_SK_mSL_SN_bEUlT_E_NS1_11comp_targetILNS1_3genE0ELNS1_11target_archE4294967295ELNS1_3gpuE0ELNS1_3repE0EEENS1_30default_config_static_selectorELNS0_4arch9wavefront6targetE1EEEvT1_: ; @_ZN7rocprim17ROCPRIM_400000_NS6detail17trampoline_kernelINS0_14default_configENS1_25transform_config_selectorIaLb0EEEZNS1_14transform_implILb0ES3_S5_NS0_18transform_iteratorINS0_17counting_iteratorImlEEZNS1_24adjacent_difference_implIS3_Lb1ELb0EPaSB_N6thrust23THRUST_200600_302600_NS5minusIaEEEE10hipError_tPvRmT2_T3_mT4_P12ihipStream_tbEUlmE_aEESB_NS0_8identityIvEEEESG_SJ_SK_mSL_SN_bEUlT_E_NS1_11comp_targetILNS1_3genE0ELNS1_11target_archE4294967295ELNS1_3gpuE0ELNS1_3repE0EEENS1_30default_config_static_selectorELNS0_4arch9wavefront6targetE1EEEvT1_
; %bb.0:
	.section	.rodata,"a",@progbits
	.p2align	6, 0x0
	.amdhsa_kernel _ZN7rocprim17ROCPRIM_400000_NS6detail17trampoline_kernelINS0_14default_configENS1_25transform_config_selectorIaLb0EEEZNS1_14transform_implILb0ES3_S5_NS0_18transform_iteratorINS0_17counting_iteratorImlEEZNS1_24adjacent_difference_implIS3_Lb1ELb0EPaSB_N6thrust23THRUST_200600_302600_NS5minusIaEEEE10hipError_tPvRmT2_T3_mT4_P12ihipStream_tbEUlmE_aEESB_NS0_8identityIvEEEESG_SJ_SK_mSL_SN_bEUlT_E_NS1_11comp_targetILNS1_3genE0ELNS1_11target_archE4294967295ELNS1_3gpuE0ELNS1_3repE0EEENS1_30default_config_static_selectorELNS0_4arch9wavefront6targetE1EEEvT1_
		.amdhsa_group_segment_fixed_size 0
		.amdhsa_private_segment_fixed_size 0
		.amdhsa_kernarg_size 56
		.amdhsa_user_sgpr_count 2
		.amdhsa_user_sgpr_dispatch_ptr 0
		.amdhsa_user_sgpr_queue_ptr 0
		.amdhsa_user_sgpr_kernarg_segment_ptr 1
		.amdhsa_user_sgpr_dispatch_id 0
		.amdhsa_user_sgpr_kernarg_preload_length 0
		.amdhsa_user_sgpr_kernarg_preload_offset 0
		.amdhsa_user_sgpr_private_segment_size 0
		.amdhsa_uses_dynamic_stack 0
		.amdhsa_enable_private_segment 0
		.amdhsa_system_sgpr_workgroup_id_x 1
		.amdhsa_system_sgpr_workgroup_id_y 0
		.amdhsa_system_sgpr_workgroup_id_z 0
		.amdhsa_system_sgpr_workgroup_info 0
		.amdhsa_system_vgpr_workitem_id 0
		.amdhsa_next_free_vgpr 1
		.amdhsa_next_free_sgpr 0
		.amdhsa_accum_offset 4
		.amdhsa_reserve_vcc 0
		.amdhsa_float_round_mode_32 0
		.amdhsa_float_round_mode_16_64 0
		.amdhsa_float_denorm_mode_32 3
		.amdhsa_float_denorm_mode_16_64 3
		.amdhsa_dx10_clamp 1
		.amdhsa_ieee_mode 1
		.amdhsa_fp16_overflow 0
		.amdhsa_tg_split 0
		.amdhsa_exception_fp_ieee_invalid_op 0
		.amdhsa_exception_fp_denorm_src 0
		.amdhsa_exception_fp_ieee_div_zero 0
		.amdhsa_exception_fp_ieee_overflow 0
		.amdhsa_exception_fp_ieee_underflow 0
		.amdhsa_exception_fp_ieee_inexact 0
		.amdhsa_exception_int_div_zero 0
	.end_amdhsa_kernel
	.section	.text._ZN7rocprim17ROCPRIM_400000_NS6detail17trampoline_kernelINS0_14default_configENS1_25transform_config_selectorIaLb0EEEZNS1_14transform_implILb0ES3_S5_NS0_18transform_iteratorINS0_17counting_iteratorImlEEZNS1_24adjacent_difference_implIS3_Lb1ELb0EPaSB_N6thrust23THRUST_200600_302600_NS5minusIaEEEE10hipError_tPvRmT2_T3_mT4_P12ihipStream_tbEUlmE_aEESB_NS0_8identityIvEEEESG_SJ_SK_mSL_SN_bEUlT_E_NS1_11comp_targetILNS1_3genE0ELNS1_11target_archE4294967295ELNS1_3gpuE0ELNS1_3repE0EEENS1_30default_config_static_selectorELNS0_4arch9wavefront6targetE1EEEvT1_,"axG",@progbits,_ZN7rocprim17ROCPRIM_400000_NS6detail17trampoline_kernelINS0_14default_configENS1_25transform_config_selectorIaLb0EEEZNS1_14transform_implILb0ES3_S5_NS0_18transform_iteratorINS0_17counting_iteratorImlEEZNS1_24adjacent_difference_implIS3_Lb1ELb0EPaSB_N6thrust23THRUST_200600_302600_NS5minusIaEEEE10hipError_tPvRmT2_T3_mT4_P12ihipStream_tbEUlmE_aEESB_NS0_8identityIvEEEESG_SJ_SK_mSL_SN_bEUlT_E_NS1_11comp_targetILNS1_3genE0ELNS1_11target_archE4294967295ELNS1_3gpuE0ELNS1_3repE0EEENS1_30default_config_static_selectorELNS0_4arch9wavefront6targetE1EEEvT1_,comdat
.Lfunc_end9:
	.size	_ZN7rocprim17ROCPRIM_400000_NS6detail17trampoline_kernelINS0_14default_configENS1_25transform_config_selectorIaLb0EEEZNS1_14transform_implILb0ES3_S5_NS0_18transform_iteratorINS0_17counting_iteratorImlEEZNS1_24adjacent_difference_implIS3_Lb1ELb0EPaSB_N6thrust23THRUST_200600_302600_NS5minusIaEEEE10hipError_tPvRmT2_T3_mT4_P12ihipStream_tbEUlmE_aEESB_NS0_8identityIvEEEESG_SJ_SK_mSL_SN_bEUlT_E_NS1_11comp_targetILNS1_3genE0ELNS1_11target_archE4294967295ELNS1_3gpuE0ELNS1_3repE0EEENS1_30default_config_static_selectorELNS0_4arch9wavefront6targetE1EEEvT1_, .Lfunc_end9-_ZN7rocprim17ROCPRIM_400000_NS6detail17trampoline_kernelINS0_14default_configENS1_25transform_config_selectorIaLb0EEEZNS1_14transform_implILb0ES3_S5_NS0_18transform_iteratorINS0_17counting_iteratorImlEEZNS1_24adjacent_difference_implIS3_Lb1ELb0EPaSB_N6thrust23THRUST_200600_302600_NS5minusIaEEEE10hipError_tPvRmT2_T3_mT4_P12ihipStream_tbEUlmE_aEESB_NS0_8identityIvEEEESG_SJ_SK_mSL_SN_bEUlT_E_NS1_11comp_targetILNS1_3genE0ELNS1_11target_archE4294967295ELNS1_3gpuE0ELNS1_3repE0EEENS1_30default_config_static_selectorELNS0_4arch9wavefront6targetE1EEEvT1_
                                        ; -- End function
	.section	.AMDGPU.csdata,"",@progbits
; Kernel info:
; codeLenInByte = 0
; NumSgprs: 6
; NumVgprs: 0
; NumAgprs: 0
; TotalNumVgprs: 0
; ScratchSize: 0
; MemoryBound: 0
; FloatMode: 240
; IeeeMode: 1
; LDSByteSize: 0 bytes/workgroup (compile time only)
; SGPRBlocks: 0
; VGPRBlocks: 0
; NumSGPRsForWavesPerEU: 6
; NumVGPRsForWavesPerEU: 1
; AccumOffset: 4
; Occupancy: 8
; WaveLimiterHint : 0
; COMPUTE_PGM_RSRC2:SCRATCH_EN: 0
; COMPUTE_PGM_RSRC2:USER_SGPR: 2
; COMPUTE_PGM_RSRC2:TRAP_HANDLER: 0
; COMPUTE_PGM_RSRC2:TGID_X_EN: 1
; COMPUTE_PGM_RSRC2:TGID_Y_EN: 0
; COMPUTE_PGM_RSRC2:TGID_Z_EN: 0
; COMPUTE_PGM_RSRC2:TIDIG_COMP_CNT: 0
; COMPUTE_PGM_RSRC3_GFX90A:ACCUM_OFFSET: 0
; COMPUTE_PGM_RSRC3_GFX90A:TG_SPLIT: 0
	.section	.text._ZN7rocprim17ROCPRIM_400000_NS6detail17trampoline_kernelINS0_14default_configENS1_25transform_config_selectorIaLb0EEEZNS1_14transform_implILb0ES3_S5_NS0_18transform_iteratorINS0_17counting_iteratorImlEEZNS1_24adjacent_difference_implIS3_Lb1ELb0EPaSB_N6thrust23THRUST_200600_302600_NS5minusIaEEEE10hipError_tPvRmT2_T3_mT4_P12ihipStream_tbEUlmE_aEESB_NS0_8identityIvEEEESG_SJ_SK_mSL_SN_bEUlT_E_NS1_11comp_targetILNS1_3genE5ELNS1_11target_archE942ELNS1_3gpuE9ELNS1_3repE0EEENS1_30default_config_static_selectorELNS0_4arch9wavefront6targetE1EEEvT1_,"axG",@progbits,_ZN7rocprim17ROCPRIM_400000_NS6detail17trampoline_kernelINS0_14default_configENS1_25transform_config_selectorIaLb0EEEZNS1_14transform_implILb0ES3_S5_NS0_18transform_iteratorINS0_17counting_iteratorImlEEZNS1_24adjacent_difference_implIS3_Lb1ELb0EPaSB_N6thrust23THRUST_200600_302600_NS5minusIaEEEE10hipError_tPvRmT2_T3_mT4_P12ihipStream_tbEUlmE_aEESB_NS0_8identityIvEEEESG_SJ_SK_mSL_SN_bEUlT_E_NS1_11comp_targetILNS1_3genE5ELNS1_11target_archE942ELNS1_3gpuE9ELNS1_3repE0EEENS1_30default_config_static_selectorELNS0_4arch9wavefront6targetE1EEEvT1_,comdat
	.protected	_ZN7rocprim17ROCPRIM_400000_NS6detail17trampoline_kernelINS0_14default_configENS1_25transform_config_selectorIaLb0EEEZNS1_14transform_implILb0ES3_S5_NS0_18transform_iteratorINS0_17counting_iteratorImlEEZNS1_24adjacent_difference_implIS3_Lb1ELb0EPaSB_N6thrust23THRUST_200600_302600_NS5minusIaEEEE10hipError_tPvRmT2_T3_mT4_P12ihipStream_tbEUlmE_aEESB_NS0_8identityIvEEEESG_SJ_SK_mSL_SN_bEUlT_E_NS1_11comp_targetILNS1_3genE5ELNS1_11target_archE942ELNS1_3gpuE9ELNS1_3repE0EEENS1_30default_config_static_selectorELNS0_4arch9wavefront6targetE1EEEvT1_ ; -- Begin function _ZN7rocprim17ROCPRIM_400000_NS6detail17trampoline_kernelINS0_14default_configENS1_25transform_config_selectorIaLb0EEEZNS1_14transform_implILb0ES3_S5_NS0_18transform_iteratorINS0_17counting_iteratorImlEEZNS1_24adjacent_difference_implIS3_Lb1ELb0EPaSB_N6thrust23THRUST_200600_302600_NS5minusIaEEEE10hipError_tPvRmT2_T3_mT4_P12ihipStream_tbEUlmE_aEESB_NS0_8identityIvEEEESG_SJ_SK_mSL_SN_bEUlT_E_NS1_11comp_targetILNS1_3genE5ELNS1_11target_archE942ELNS1_3gpuE9ELNS1_3repE0EEENS1_30default_config_static_selectorELNS0_4arch9wavefront6targetE1EEEvT1_
	.globl	_ZN7rocprim17ROCPRIM_400000_NS6detail17trampoline_kernelINS0_14default_configENS1_25transform_config_selectorIaLb0EEEZNS1_14transform_implILb0ES3_S5_NS0_18transform_iteratorINS0_17counting_iteratorImlEEZNS1_24adjacent_difference_implIS3_Lb1ELb0EPaSB_N6thrust23THRUST_200600_302600_NS5minusIaEEEE10hipError_tPvRmT2_T3_mT4_P12ihipStream_tbEUlmE_aEESB_NS0_8identityIvEEEESG_SJ_SK_mSL_SN_bEUlT_E_NS1_11comp_targetILNS1_3genE5ELNS1_11target_archE942ELNS1_3gpuE9ELNS1_3repE0EEENS1_30default_config_static_selectorELNS0_4arch9wavefront6targetE1EEEvT1_
	.p2align	8
	.type	_ZN7rocprim17ROCPRIM_400000_NS6detail17trampoline_kernelINS0_14default_configENS1_25transform_config_selectorIaLb0EEEZNS1_14transform_implILb0ES3_S5_NS0_18transform_iteratorINS0_17counting_iteratorImlEEZNS1_24adjacent_difference_implIS3_Lb1ELb0EPaSB_N6thrust23THRUST_200600_302600_NS5minusIaEEEE10hipError_tPvRmT2_T3_mT4_P12ihipStream_tbEUlmE_aEESB_NS0_8identityIvEEEESG_SJ_SK_mSL_SN_bEUlT_E_NS1_11comp_targetILNS1_3genE5ELNS1_11target_archE942ELNS1_3gpuE9ELNS1_3repE0EEENS1_30default_config_static_selectorELNS0_4arch9wavefront6targetE1EEEvT1_,@function
_ZN7rocprim17ROCPRIM_400000_NS6detail17trampoline_kernelINS0_14default_configENS1_25transform_config_selectorIaLb0EEEZNS1_14transform_implILb0ES3_S5_NS0_18transform_iteratorINS0_17counting_iteratorImlEEZNS1_24adjacent_difference_implIS3_Lb1ELb0EPaSB_N6thrust23THRUST_200600_302600_NS5minusIaEEEE10hipError_tPvRmT2_T3_mT4_P12ihipStream_tbEUlmE_aEESB_NS0_8identityIvEEEESG_SJ_SK_mSL_SN_bEUlT_E_NS1_11comp_targetILNS1_3genE5ELNS1_11target_archE942ELNS1_3gpuE9ELNS1_3repE0EEENS1_30default_config_static_selectorELNS0_4arch9wavefront6targetE1EEEvT1_: ; @_ZN7rocprim17ROCPRIM_400000_NS6detail17trampoline_kernelINS0_14default_configENS1_25transform_config_selectorIaLb0EEEZNS1_14transform_implILb0ES3_S5_NS0_18transform_iteratorINS0_17counting_iteratorImlEEZNS1_24adjacent_difference_implIS3_Lb1ELb0EPaSB_N6thrust23THRUST_200600_302600_NS5minusIaEEEE10hipError_tPvRmT2_T3_mT4_P12ihipStream_tbEUlmE_aEESB_NS0_8identityIvEEEESG_SJ_SK_mSL_SN_bEUlT_E_NS1_11comp_targetILNS1_3genE5ELNS1_11target_archE942ELNS1_3gpuE9ELNS1_3repE0EEENS1_30default_config_static_selectorELNS0_4arch9wavefront6targetE1EEEvT1_
; %bb.0:
	s_load_dwordx4 s[4:7], s[0:1], 0x18
	s_load_dwordx2 s[8:9], s[0:1], 0x28
	s_load_dword s3, s[0:1], 0x38
	s_load_dwordx4 s[12:15], s[0:1], 0x0
	s_load_dword s18, s[0:1], 0x10
	s_mov_b32 s19, 0
	s_waitcnt lgkmcnt(0)
	s_add_u32 s24, s8, s4
	s_addc_u32 s25, s9, s5
	s_lshl_b32 s26, s2, 13
	s_add_i32 s3, s3, -1
	s_add_u32 s0, s12, s26
	s_addc_u32 s1, s13, 0
	s_add_u32 s20, s0, s4
	s_addc_u32 s21, s1, s5
	s_cmp_lg_u32 s2, s3
	s_cbranch_scc0 .LBB10_2
; %bb.1:
	v_mov_b32_e32 v1, 0
	v_lshl_add_u64 v[2:3], s[20:21], 0, v[0:1]
	v_mov_b64_e32 v[4:5], s[14:15]
	v_mad_u64_u32 v[4:5], s[0:1], v2, s18, v[4:5]
	v_mov_b32_e32 v2, v5
	v_mad_u64_u32 v[2:3], s[0:1], v3, s18, v[2:3]
	v_mov_b32_e32 v5, v2
	s_lshl_b64 s[0:1], s[18:19], 10
	v_lshl_add_u64 v[2:3], v[4:5], 0, s[0:1]
	global_load_ubyte v10, v[4:5], off
	v_lshl_add_u64 v[4:5], v[2:3], 0, s[0:1]
	v_lshl_add_u64 v[6:7], v[4:5], 0, s[0:1]
	;; [unrolled: 1-line block ×3, first 2 shown]
	global_load_ubyte v11, v[2:3], off
	global_load_ubyte v12, v[4:5], off
	;; [unrolled: 1-line block ×4, first 2 shown]
	v_lshl_add_u64 v[2:3], v[8:9], 0, s[0:1]
	global_load_ubyte v4, v[2:3], off
	v_lshl_add_u64 v[2:3], v[2:3], 0, s[0:1]
	global_load_ubyte v8, v[2:3], off
	;; [unrolled: 2-line block ×3, first 2 shown]
	s_add_u32 s2, s24, s26
	s_addc_u32 s3, s25, 0
	v_lshl_add_u64 v[2:3], s[2:3], 0, v[0:1]
	v_add_co_u32_e32 v6, vcc, 0x1000, v2
	s_nop 1
	v_addc_co_u32_e32 v7, vcc, 0, v3, vcc
	s_mov_b64 s[16:17], -1
	s_waitcnt vmcnt(7)
	global_store_byte v0, v10, s[2:3]
	s_waitcnt vmcnt(7)
	global_store_byte v0, v11, s[2:3] offset:1024
	s_waitcnt vmcnt(7)
	global_store_byte v0, v12, s[2:3] offset:2048
	;; [unrolled: 2-line block ×3, first 2 shown]
	s_waitcnt vmcnt(7)
	global_store_byte v[6:7], v14, off
	s_waitcnt vmcnt(7)
	global_store_byte v[6:7], v4, off offset:1024
	s_waitcnt vmcnt(7)
	global_store_byte v[6:7], v8, off offset:2048
	s_cbranch_execz .LBB10_3
	s_branch .LBB10_36
.LBB10_2:
	s_mov_b64 s[16:17], 0
                                        ; implicit-def: $vgpr5
                                        ; implicit-def: $vgpr2_vgpr3
.LBB10_3:
	s_sub_i32 s19, s6, s26
	v_cmp_gt_u32_e32 vcc, s19, v0
                                        ; implicit-def: $vgpr1
	s_and_saveexec_b64 s[0:1], vcc
	s_cbranch_execz .LBB10_5
; %bb.4:
	v_mov_b32_e32 v1, 0
	v_lshl_add_u64 v[2:3], s[20:21], 0, v[0:1]
	s_waitcnt vmcnt(7)
	v_mov_b64_e32 v[4:5], s[14:15]
	v_mad_u64_u32 v[4:5], s[2:3], v2, s18, v[4:5]
	v_mov_b32_e32 v2, v5
	v_mad_u64_u32 v[2:3], s[2:3], v3, s18, v[2:3]
	v_mov_b32_e32 v5, v2
	global_load_ubyte v1, v[4:5], off
.LBB10_5:
	s_or_b64 exec, exec, s[0:1]
	v_or_b32_e32 v2, 0x400, v0
	v_cmp_gt_u32_e64 s[0:1], s19, v2
                                        ; implicit-def: $vgpr4
	s_and_saveexec_b64 s[2:3], s[0:1]
	s_cbranch_execz .LBB10_7
; %bb.6:
	v_mov_b32_e32 v3, 0
	v_lshl_add_u64 v[2:3], s[20:21], 0, v[2:3]
	s_waitcnt vmcnt(7)
	v_mov_b64_e32 v[4:5], s[14:15]
	v_mad_u64_u32 v[4:5], s[4:5], v2, s18, v[4:5]
	v_mov_b32_e32 v2, v5
	v_mad_u64_u32 v[2:3], s[4:5], v3, s18, v[2:3]
	v_mov_b32_e32 v5, v2
	global_load_ubyte v4, v[4:5], off
.LBB10_7:
	s_or_b64 exec, exec, s[2:3]
	v_or_b32_e32 v2, 0x800, v0
	v_cmp_gt_u32_e64 s[2:3], s19, v2
                                        ; implicit-def: $vgpr5
	s_and_saveexec_b64 s[4:5], s[2:3]
	s_cbranch_execz .LBB10_9
; %bb.8:
	v_mov_b32_e32 v3, 0
	v_lshl_add_u64 v[2:3], s[20:21], 0, v[2:3]
	v_mov_b64_e32 v[6:7], s[14:15]
	v_mad_u64_u32 v[6:7], s[6:7], v2, s18, v[6:7]
	v_mov_b32_e32 v2, v7
	v_mad_u64_u32 v[2:3], s[6:7], v3, s18, v[2:3]
	v_mov_b32_e32 v7, v2
	global_load_ubyte v5, v[6:7], off
.LBB10_9:
	s_or_b64 exec, exec, s[4:5]
	v_or_b32_e32 v2, 0xc00, v0
	v_cmp_gt_u32_e64 s[4:5], s19, v2
                                        ; implicit-def: $vgpr6
	s_and_saveexec_b64 s[6:7], s[4:5]
	s_cbranch_execz .LBB10_11
; %bb.10:
	v_mov_b32_e32 v3, 0
	v_lshl_add_u64 v[2:3], s[20:21], 0, v[2:3]
	v_mov_b64_e32 v[6:7], s[14:15]
	v_mad_u64_u32 v[6:7], s[8:9], v2, s18, v[6:7]
	v_mov_b32_e32 v2, v7
	v_mad_u64_u32 v[2:3], s[8:9], v3, s18, v[2:3]
	v_mov_b32_e32 v7, v2
	global_load_ubyte v6, v[6:7], off
.LBB10_11:
	s_or_b64 exec, exec, s[6:7]
	v_or_b32_e32 v2, 0x1000, v0
	v_cmp_gt_u32_e64 s[6:7], s19, v2
                                        ; implicit-def: $vgpr7
	s_and_saveexec_b64 s[8:9], s[6:7]
	s_cbranch_execz .LBB10_13
; %bb.12:
	v_mov_b32_e32 v3, 0
	v_lshl_add_u64 v[2:3], s[20:21], 0, v[2:3]
	v_mov_b64_e32 v[8:9], s[14:15]
	v_mad_u64_u32 v[8:9], s[10:11], v2, s18, v[8:9]
	v_mov_b32_e32 v2, v9
	v_mad_u64_u32 v[2:3], s[10:11], v3, s18, v[2:3]
	v_mov_b32_e32 v9, v2
	global_load_ubyte v7, v[8:9], off
.LBB10_13:
	s_or_b64 exec, exec, s[8:9]
	v_or_b32_e32 v2, 0x1400, v0
	v_cmp_gt_u32_e64 s[8:9], s19, v2
                                        ; implicit-def: $vgpr8
	s_and_saveexec_b64 s[10:11], s[8:9]
	s_cbranch_execz .LBB10_15
; %bb.14:
	v_mov_b32_e32 v3, 0
	v_lshl_add_u64 v[2:3], s[20:21], 0, v[2:3]
	v_mov_b64_e32 v[8:9], s[14:15]
	v_mad_u64_u32 v[8:9], s[12:13], v2, s18, v[8:9]
	v_mov_b32_e32 v2, v9
	v_mad_u64_u32 v[2:3], s[12:13], v3, s18, v[2:3]
	v_mov_b32_e32 v9, v2
	global_load_ubyte v8, v[8:9], off
.LBB10_15:
	s_or_b64 exec, exec, s[10:11]
	v_or_b32_e32 v2, 0x1800, v0
	v_cmp_gt_u32_e64 s[10:11], s19, v2
                                        ; implicit-def: $vgpr9
	s_and_saveexec_b64 s[12:13], s[10:11]
	s_cbranch_execz .LBB10_17
; %bb.16:
	v_mov_b32_e32 v3, 0
	v_lshl_add_u64 v[2:3], s[20:21], 0, v[2:3]
	v_mov_b64_e32 v[10:11], s[14:15]
	v_mad_u64_u32 v[10:11], s[22:23], v2, s18, v[10:11]
	v_mov_b32_e32 v2, v11
	v_mad_u64_u32 v[2:3], s[22:23], v3, s18, v[2:3]
	v_mov_b32_e32 v11, v2
	global_load_ubyte v9, v[10:11], off
.LBB10_17:
	s_or_b64 exec, exec, s[12:13]
	v_or_b32_e32 v2, 0x1c00, v0
	v_cmp_gt_u32_e64 s[12:13], s19, v2
                                        ; implicit-def: $vgpr3
	s_and_saveexec_b64 s[22:23], s[12:13]
	s_cbranch_execz .LBB10_19
; %bb.18:
	v_mov_b32_e32 v3, 0
	v_lshl_add_u64 v[2:3], s[20:21], 0, v[2:3]
	v_mov_b64_e32 v[10:11], s[14:15]
	v_mad_u64_u32 v[10:11], s[14:15], v2, s18, v[10:11]
	v_mov_b32_e32 v2, v11
	v_mad_u64_u32 v[2:3], s[14:15], v3, s18, v[2:3]
	v_mov_b32_e32 v11, v2
	global_load_ubyte v3, v[10:11], off
.LBB10_19:
	s_or_b64 exec, exec, s[22:23]
	s_waitcnt vmcnt(0)
	v_lshlrev_b16_e32 v2, 8, v4
	v_or_b32_sdwa v1, v1, v2 dst_sel:DWORD dst_unused:UNUSED_PAD src0_sel:BYTE_0 src1_sel:DWORD
	v_lshlrev_b16_e32 v2, 8, v6
	v_or_b32_sdwa v2, v5, v2 dst_sel:WORD_1 dst_unused:UNUSED_PAD src0_sel:BYTE_0 src1_sel:DWORD
	s_add_u32 s14, s24, s26
	v_or_b32_sdwa v5, v1, v2 dst_sel:DWORD dst_unused:UNUSED_PAD src0_sel:WORD_0 src1_sel:DWORD
	v_lshlrev_b16_e32 v1, 8, v8
	v_lshlrev_b16_e32 v2, 8, v3
	v_or_b32_sdwa v1, v7, v1 dst_sel:DWORD dst_unused:UNUSED_PAD src0_sel:BYTE_0 src1_sel:DWORD
	v_or_b32_sdwa v2, v9, v2 dst_sel:WORD_1 dst_unused:UNUSED_PAD src0_sel:BYTE_0 src1_sel:DWORD
	s_addc_u32 s15, s25, 0
	v_or_b32_sdwa v4, v1, v2 dst_sel:DWORD dst_unused:UNUSED_PAD src0_sel:WORD_0 src1_sel:DWORD
	v_mov_b32_e32 v1, 0
	v_lshl_add_u64 v[2:3], s[14:15], 0, v[0:1]
	s_and_saveexec_b64 s[14:15], vcc
	s_cbranch_execz .LBB10_21
; %bb.20:
	global_store_byte v[2:3], v5, off
.LBB10_21:
	s_or_b64 exec, exec, s[14:15]
	s_and_saveexec_b64 s[14:15], s[0:1]
	s_cbranch_execz .LBB10_23
; %bb.22:
	v_lshrrev_b32_e32 v0, 8, v5
	global_store_byte v[2:3], v0, off offset:1024
.LBB10_23:
	s_or_b64 exec, exec, s[14:15]
	s_mov_b32 s0, 0x7060104
	v_perm_b32 v0, v5, v5, s0
	s_movk_i32 s15, 0xff
	s_mov_b32 s14, 0xffff
	v_cndmask_b32_e64 v1, v0, v5, s[2:3]
	s_and_saveexec_b64 s[0:1], s[2:3]
	s_cbranch_execz .LBB10_25
; %bb.24:
	global_store_byte_d16_hi v[2:3], v1, off offset:2048
.LBB10_25:
	s_or_b64 exec, exec, s[0:1]
	s_movk_i32 s0, 0xff00
	v_and_b32_sdwa v6, v0, s0 dst_sel:DWORD dst_unused:UNUSED_PAD src0_sel:WORD_1 src1_sel:DWORD
	v_and_b32_sdwa v1, v1, s15 dst_sel:DWORD dst_unused:UNUSED_PAD src0_sel:WORD_1 src1_sel:DWORD
	v_or_b32_sdwa v1, v1, v6 dst_sel:WORD_1 dst_unused:UNUSED_PAD src0_sel:DWORD src1_sel:DWORD
	s_nop 0
	v_and_or_b32 v0, v0, s14, v1
	v_cndmask_b32_e64 v0, v0, v5, s[4:5]
	s_and_saveexec_b64 s[0:1], s[4:5]
	s_cbranch_execz .LBB10_27
; %bb.26:
	v_lshrrev_b32_e32 v0, 24, v0
	global_store_byte v[2:3], v0, off offset:3072
.LBB10_27:
	s_or_b64 exec, exec, s[0:1]
	s_and_saveexec_b64 s[0:1], s[6:7]
	s_cbranch_execz .LBB10_29
; %bb.28:
	v_add_co_u32_e32 v0, vcc, 0x1000, v2
	s_nop 1
	v_addc_co_u32_e32 v1, vcc, 0, v3, vcc
	global_store_byte v[0:1], v4, off
.LBB10_29:
	s_or_b64 exec, exec, s[0:1]
	s_mov_b32 s0, 0x3020104
	v_perm_b32 v1, v4, v4, s0
	v_cndmask_b32_e64 v0, v1, v4, s[8:9]
	s_and_saveexec_b64 s[0:1], s[8:9]
	s_cbranch_execz .LBB10_31
; %bb.30:
	v_add_co_u32_e32 v6, vcc, 0x1000, v2
	v_lshrrev_b32_e32 v5, 8, v0
	s_nop 0
	v_addc_co_u32_e32 v7, vcc, 0, v3, vcc
	global_store_byte v[6:7], v5, off offset:1024
.LBB10_31:
	s_or_b64 exec, exec, s[0:1]
	s_mov_b32 s0, 0x7060104
	v_perm_b32 v0, v1, v0, s0
	s_and_saveexec_b64 s[0:1], s[10:11]
	s_cbranch_execz .LBB10_33
; %bb.32:
	v_add_co_u32_e32 v6, vcc, 0x1000, v2
	v_cndmask_b32_e64 v1, v0, v4, s[10:11]
	s_nop 0
	v_addc_co_u32_e32 v7, vcc, 0, v3, vcc
	global_store_byte_d16_hi v[6:7], v1, off offset:2048
.LBB10_33:
	s_or_b64 exec, exec, s[0:1]
                                        ; implicit-def: $vgpr5
	s_and_saveexec_b64 s[0:1], s[12:13]
; %bb.34:
	v_cndmask_b32_e64 v0, v0, v4, s[12:13]
	v_lshrrev_b32_e32 v5, 24, v0
	s_or_b64 s[16:17], s[16:17], exec
; %bb.35:
	s_or_b64 exec, exec, s[0:1]
.LBB10_36:
	s_and_saveexec_b64 s[0:1], s[16:17]
	s_cbranch_execnz .LBB10_38
; %bb.37:
	s_endpgm
.LBB10_38:
	v_add_co_u32_e32 v0, vcc, 0x1000, v2
	s_nop 1
	v_addc_co_u32_e32 v1, vcc, 0, v3, vcc
	s_waitcnt vmcnt(7)
	global_store_byte v[0:1], v5, off offset:3072
	s_endpgm
	.section	.rodata,"a",@progbits
	.p2align	6, 0x0
	.amdhsa_kernel _ZN7rocprim17ROCPRIM_400000_NS6detail17trampoline_kernelINS0_14default_configENS1_25transform_config_selectorIaLb0EEEZNS1_14transform_implILb0ES3_S5_NS0_18transform_iteratorINS0_17counting_iteratorImlEEZNS1_24adjacent_difference_implIS3_Lb1ELb0EPaSB_N6thrust23THRUST_200600_302600_NS5minusIaEEEE10hipError_tPvRmT2_T3_mT4_P12ihipStream_tbEUlmE_aEESB_NS0_8identityIvEEEESG_SJ_SK_mSL_SN_bEUlT_E_NS1_11comp_targetILNS1_3genE5ELNS1_11target_archE942ELNS1_3gpuE9ELNS1_3repE0EEENS1_30default_config_static_selectorELNS0_4arch9wavefront6targetE1EEEvT1_
		.amdhsa_group_segment_fixed_size 0
		.amdhsa_private_segment_fixed_size 0
		.amdhsa_kernarg_size 312
		.amdhsa_user_sgpr_count 2
		.amdhsa_user_sgpr_dispatch_ptr 0
		.amdhsa_user_sgpr_queue_ptr 0
		.amdhsa_user_sgpr_kernarg_segment_ptr 1
		.amdhsa_user_sgpr_dispatch_id 0
		.amdhsa_user_sgpr_kernarg_preload_length 0
		.amdhsa_user_sgpr_kernarg_preload_offset 0
		.amdhsa_user_sgpr_private_segment_size 0
		.amdhsa_uses_dynamic_stack 0
		.amdhsa_enable_private_segment 0
		.amdhsa_system_sgpr_workgroup_id_x 1
		.amdhsa_system_sgpr_workgroup_id_y 0
		.amdhsa_system_sgpr_workgroup_id_z 0
		.amdhsa_system_sgpr_workgroup_info 0
		.amdhsa_system_vgpr_workitem_id 0
		.amdhsa_next_free_vgpr 15
		.amdhsa_next_free_sgpr 27
		.amdhsa_accum_offset 16
		.amdhsa_reserve_vcc 1
		.amdhsa_float_round_mode_32 0
		.amdhsa_float_round_mode_16_64 0
		.amdhsa_float_denorm_mode_32 3
		.amdhsa_float_denorm_mode_16_64 3
		.amdhsa_dx10_clamp 1
		.amdhsa_ieee_mode 1
		.amdhsa_fp16_overflow 0
		.amdhsa_tg_split 0
		.amdhsa_exception_fp_ieee_invalid_op 0
		.amdhsa_exception_fp_denorm_src 0
		.amdhsa_exception_fp_ieee_div_zero 0
		.amdhsa_exception_fp_ieee_overflow 0
		.amdhsa_exception_fp_ieee_underflow 0
		.amdhsa_exception_fp_ieee_inexact 0
		.amdhsa_exception_int_div_zero 0
	.end_amdhsa_kernel
	.section	.text._ZN7rocprim17ROCPRIM_400000_NS6detail17trampoline_kernelINS0_14default_configENS1_25transform_config_selectorIaLb0EEEZNS1_14transform_implILb0ES3_S5_NS0_18transform_iteratorINS0_17counting_iteratorImlEEZNS1_24adjacent_difference_implIS3_Lb1ELb0EPaSB_N6thrust23THRUST_200600_302600_NS5minusIaEEEE10hipError_tPvRmT2_T3_mT4_P12ihipStream_tbEUlmE_aEESB_NS0_8identityIvEEEESG_SJ_SK_mSL_SN_bEUlT_E_NS1_11comp_targetILNS1_3genE5ELNS1_11target_archE942ELNS1_3gpuE9ELNS1_3repE0EEENS1_30default_config_static_selectorELNS0_4arch9wavefront6targetE1EEEvT1_,"axG",@progbits,_ZN7rocprim17ROCPRIM_400000_NS6detail17trampoline_kernelINS0_14default_configENS1_25transform_config_selectorIaLb0EEEZNS1_14transform_implILb0ES3_S5_NS0_18transform_iteratorINS0_17counting_iteratorImlEEZNS1_24adjacent_difference_implIS3_Lb1ELb0EPaSB_N6thrust23THRUST_200600_302600_NS5minusIaEEEE10hipError_tPvRmT2_T3_mT4_P12ihipStream_tbEUlmE_aEESB_NS0_8identityIvEEEESG_SJ_SK_mSL_SN_bEUlT_E_NS1_11comp_targetILNS1_3genE5ELNS1_11target_archE942ELNS1_3gpuE9ELNS1_3repE0EEENS1_30default_config_static_selectorELNS0_4arch9wavefront6targetE1EEEvT1_,comdat
.Lfunc_end10:
	.size	_ZN7rocprim17ROCPRIM_400000_NS6detail17trampoline_kernelINS0_14default_configENS1_25transform_config_selectorIaLb0EEEZNS1_14transform_implILb0ES3_S5_NS0_18transform_iteratorINS0_17counting_iteratorImlEEZNS1_24adjacent_difference_implIS3_Lb1ELb0EPaSB_N6thrust23THRUST_200600_302600_NS5minusIaEEEE10hipError_tPvRmT2_T3_mT4_P12ihipStream_tbEUlmE_aEESB_NS0_8identityIvEEEESG_SJ_SK_mSL_SN_bEUlT_E_NS1_11comp_targetILNS1_3genE5ELNS1_11target_archE942ELNS1_3gpuE9ELNS1_3repE0EEENS1_30default_config_static_selectorELNS0_4arch9wavefront6targetE1EEEvT1_, .Lfunc_end10-_ZN7rocprim17ROCPRIM_400000_NS6detail17trampoline_kernelINS0_14default_configENS1_25transform_config_selectorIaLb0EEEZNS1_14transform_implILb0ES3_S5_NS0_18transform_iteratorINS0_17counting_iteratorImlEEZNS1_24adjacent_difference_implIS3_Lb1ELb0EPaSB_N6thrust23THRUST_200600_302600_NS5minusIaEEEE10hipError_tPvRmT2_T3_mT4_P12ihipStream_tbEUlmE_aEESB_NS0_8identityIvEEEESG_SJ_SK_mSL_SN_bEUlT_E_NS1_11comp_targetILNS1_3genE5ELNS1_11target_archE942ELNS1_3gpuE9ELNS1_3repE0EEENS1_30default_config_static_selectorELNS0_4arch9wavefront6targetE1EEEvT1_
                                        ; -- End function
	.section	.AMDGPU.csdata,"",@progbits
; Kernel info:
; codeLenInByte = 1480
; NumSgprs: 33
; NumVgprs: 15
; NumAgprs: 0
; TotalNumVgprs: 15
; ScratchSize: 0
; MemoryBound: 0
; FloatMode: 240
; IeeeMode: 1
; LDSByteSize: 0 bytes/workgroup (compile time only)
; SGPRBlocks: 4
; VGPRBlocks: 1
; NumSGPRsForWavesPerEU: 33
; NumVGPRsForWavesPerEU: 15
; AccumOffset: 16
; Occupancy: 8
; WaveLimiterHint : 1
; COMPUTE_PGM_RSRC2:SCRATCH_EN: 0
; COMPUTE_PGM_RSRC2:USER_SGPR: 2
; COMPUTE_PGM_RSRC2:TRAP_HANDLER: 0
; COMPUTE_PGM_RSRC2:TGID_X_EN: 1
; COMPUTE_PGM_RSRC2:TGID_Y_EN: 0
; COMPUTE_PGM_RSRC2:TGID_Z_EN: 0
; COMPUTE_PGM_RSRC2:TIDIG_COMP_CNT: 0
; COMPUTE_PGM_RSRC3_GFX90A:ACCUM_OFFSET: 3
; COMPUTE_PGM_RSRC3_GFX90A:TG_SPLIT: 0
	.section	.text._ZN7rocprim17ROCPRIM_400000_NS6detail17trampoline_kernelINS0_14default_configENS1_25transform_config_selectorIaLb0EEEZNS1_14transform_implILb0ES3_S5_NS0_18transform_iteratorINS0_17counting_iteratorImlEEZNS1_24adjacent_difference_implIS3_Lb1ELb0EPaSB_N6thrust23THRUST_200600_302600_NS5minusIaEEEE10hipError_tPvRmT2_T3_mT4_P12ihipStream_tbEUlmE_aEESB_NS0_8identityIvEEEESG_SJ_SK_mSL_SN_bEUlT_E_NS1_11comp_targetILNS1_3genE4ELNS1_11target_archE910ELNS1_3gpuE8ELNS1_3repE0EEENS1_30default_config_static_selectorELNS0_4arch9wavefront6targetE1EEEvT1_,"axG",@progbits,_ZN7rocprim17ROCPRIM_400000_NS6detail17trampoline_kernelINS0_14default_configENS1_25transform_config_selectorIaLb0EEEZNS1_14transform_implILb0ES3_S5_NS0_18transform_iteratorINS0_17counting_iteratorImlEEZNS1_24adjacent_difference_implIS3_Lb1ELb0EPaSB_N6thrust23THRUST_200600_302600_NS5minusIaEEEE10hipError_tPvRmT2_T3_mT4_P12ihipStream_tbEUlmE_aEESB_NS0_8identityIvEEEESG_SJ_SK_mSL_SN_bEUlT_E_NS1_11comp_targetILNS1_3genE4ELNS1_11target_archE910ELNS1_3gpuE8ELNS1_3repE0EEENS1_30default_config_static_selectorELNS0_4arch9wavefront6targetE1EEEvT1_,comdat
	.protected	_ZN7rocprim17ROCPRIM_400000_NS6detail17trampoline_kernelINS0_14default_configENS1_25transform_config_selectorIaLb0EEEZNS1_14transform_implILb0ES3_S5_NS0_18transform_iteratorINS0_17counting_iteratorImlEEZNS1_24adjacent_difference_implIS3_Lb1ELb0EPaSB_N6thrust23THRUST_200600_302600_NS5minusIaEEEE10hipError_tPvRmT2_T3_mT4_P12ihipStream_tbEUlmE_aEESB_NS0_8identityIvEEEESG_SJ_SK_mSL_SN_bEUlT_E_NS1_11comp_targetILNS1_3genE4ELNS1_11target_archE910ELNS1_3gpuE8ELNS1_3repE0EEENS1_30default_config_static_selectorELNS0_4arch9wavefront6targetE1EEEvT1_ ; -- Begin function _ZN7rocprim17ROCPRIM_400000_NS6detail17trampoline_kernelINS0_14default_configENS1_25transform_config_selectorIaLb0EEEZNS1_14transform_implILb0ES3_S5_NS0_18transform_iteratorINS0_17counting_iteratorImlEEZNS1_24adjacent_difference_implIS3_Lb1ELb0EPaSB_N6thrust23THRUST_200600_302600_NS5minusIaEEEE10hipError_tPvRmT2_T3_mT4_P12ihipStream_tbEUlmE_aEESB_NS0_8identityIvEEEESG_SJ_SK_mSL_SN_bEUlT_E_NS1_11comp_targetILNS1_3genE4ELNS1_11target_archE910ELNS1_3gpuE8ELNS1_3repE0EEENS1_30default_config_static_selectorELNS0_4arch9wavefront6targetE1EEEvT1_
	.globl	_ZN7rocprim17ROCPRIM_400000_NS6detail17trampoline_kernelINS0_14default_configENS1_25transform_config_selectorIaLb0EEEZNS1_14transform_implILb0ES3_S5_NS0_18transform_iteratorINS0_17counting_iteratorImlEEZNS1_24adjacent_difference_implIS3_Lb1ELb0EPaSB_N6thrust23THRUST_200600_302600_NS5minusIaEEEE10hipError_tPvRmT2_T3_mT4_P12ihipStream_tbEUlmE_aEESB_NS0_8identityIvEEEESG_SJ_SK_mSL_SN_bEUlT_E_NS1_11comp_targetILNS1_3genE4ELNS1_11target_archE910ELNS1_3gpuE8ELNS1_3repE0EEENS1_30default_config_static_selectorELNS0_4arch9wavefront6targetE1EEEvT1_
	.p2align	8
	.type	_ZN7rocprim17ROCPRIM_400000_NS6detail17trampoline_kernelINS0_14default_configENS1_25transform_config_selectorIaLb0EEEZNS1_14transform_implILb0ES3_S5_NS0_18transform_iteratorINS0_17counting_iteratorImlEEZNS1_24adjacent_difference_implIS3_Lb1ELb0EPaSB_N6thrust23THRUST_200600_302600_NS5minusIaEEEE10hipError_tPvRmT2_T3_mT4_P12ihipStream_tbEUlmE_aEESB_NS0_8identityIvEEEESG_SJ_SK_mSL_SN_bEUlT_E_NS1_11comp_targetILNS1_3genE4ELNS1_11target_archE910ELNS1_3gpuE8ELNS1_3repE0EEENS1_30default_config_static_selectorELNS0_4arch9wavefront6targetE1EEEvT1_,@function
_ZN7rocprim17ROCPRIM_400000_NS6detail17trampoline_kernelINS0_14default_configENS1_25transform_config_selectorIaLb0EEEZNS1_14transform_implILb0ES3_S5_NS0_18transform_iteratorINS0_17counting_iteratorImlEEZNS1_24adjacent_difference_implIS3_Lb1ELb0EPaSB_N6thrust23THRUST_200600_302600_NS5minusIaEEEE10hipError_tPvRmT2_T3_mT4_P12ihipStream_tbEUlmE_aEESB_NS0_8identityIvEEEESG_SJ_SK_mSL_SN_bEUlT_E_NS1_11comp_targetILNS1_3genE4ELNS1_11target_archE910ELNS1_3gpuE8ELNS1_3repE0EEENS1_30default_config_static_selectorELNS0_4arch9wavefront6targetE1EEEvT1_: ; @_ZN7rocprim17ROCPRIM_400000_NS6detail17trampoline_kernelINS0_14default_configENS1_25transform_config_selectorIaLb0EEEZNS1_14transform_implILb0ES3_S5_NS0_18transform_iteratorINS0_17counting_iteratorImlEEZNS1_24adjacent_difference_implIS3_Lb1ELb0EPaSB_N6thrust23THRUST_200600_302600_NS5minusIaEEEE10hipError_tPvRmT2_T3_mT4_P12ihipStream_tbEUlmE_aEESB_NS0_8identityIvEEEESG_SJ_SK_mSL_SN_bEUlT_E_NS1_11comp_targetILNS1_3genE4ELNS1_11target_archE910ELNS1_3gpuE8ELNS1_3repE0EEENS1_30default_config_static_selectorELNS0_4arch9wavefront6targetE1EEEvT1_
; %bb.0:
	.section	.rodata,"a",@progbits
	.p2align	6, 0x0
	.amdhsa_kernel _ZN7rocprim17ROCPRIM_400000_NS6detail17trampoline_kernelINS0_14default_configENS1_25transform_config_selectorIaLb0EEEZNS1_14transform_implILb0ES3_S5_NS0_18transform_iteratorINS0_17counting_iteratorImlEEZNS1_24adjacent_difference_implIS3_Lb1ELb0EPaSB_N6thrust23THRUST_200600_302600_NS5minusIaEEEE10hipError_tPvRmT2_T3_mT4_P12ihipStream_tbEUlmE_aEESB_NS0_8identityIvEEEESG_SJ_SK_mSL_SN_bEUlT_E_NS1_11comp_targetILNS1_3genE4ELNS1_11target_archE910ELNS1_3gpuE8ELNS1_3repE0EEENS1_30default_config_static_selectorELNS0_4arch9wavefront6targetE1EEEvT1_
		.amdhsa_group_segment_fixed_size 0
		.amdhsa_private_segment_fixed_size 0
		.amdhsa_kernarg_size 56
		.amdhsa_user_sgpr_count 2
		.amdhsa_user_sgpr_dispatch_ptr 0
		.amdhsa_user_sgpr_queue_ptr 0
		.amdhsa_user_sgpr_kernarg_segment_ptr 1
		.amdhsa_user_sgpr_dispatch_id 0
		.amdhsa_user_sgpr_kernarg_preload_length 0
		.amdhsa_user_sgpr_kernarg_preload_offset 0
		.amdhsa_user_sgpr_private_segment_size 0
		.amdhsa_uses_dynamic_stack 0
		.amdhsa_enable_private_segment 0
		.amdhsa_system_sgpr_workgroup_id_x 1
		.amdhsa_system_sgpr_workgroup_id_y 0
		.amdhsa_system_sgpr_workgroup_id_z 0
		.amdhsa_system_sgpr_workgroup_info 0
		.amdhsa_system_vgpr_workitem_id 0
		.amdhsa_next_free_vgpr 1
		.amdhsa_next_free_sgpr 0
		.amdhsa_accum_offset 4
		.amdhsa_reserve_vcc 0
		.amdhsa_float_round_mode_32 0
		.amdhsa_float_round_mode_16_64 0
		.amdhsa_float_denorm_mode_32 3
		.amdhsa_float_denorm_mode_16_64 3
		.amdhsa_dx10_clamp 1
		.amdhsa_ieee_mode 1
		.amdhsa_fp16_overflow 0
		.amdhsa_tg_split 0
		.amdhsa_exception_fp_ieee_invalid_op 0
		.amdhsa_exception_fp_denorm_src 0
		.amdhsa_exception_fp_ieee_div_zero 0
		.amdhsa_exception_fp_ieee_overflow 0
		.amdhsa_exception_fp_ieee_underflow 0
		.amdhsa_exception_fp_ieee_inexact 0
		.amdhsa_exception_int_div_zero 0
	.end_amdhsa_kernel
	.section	.text._ZN7rocprim17ROCPRIM_400000_NS6detail17trampoline_kernelINS0_14default_configENS1_25transform_config_selectorIaLb0EEEZNS1_14transform_implILb0ES3_S5_NS0_18transform_iteratorINS0_17counting_iteratorImlEEZNS1_24adjacent_difference_implIS3_Lb1ELb0EPaSB_N6thrust23THRUST_200600_302600_NS5minusIaEEEE10hipError_tPvRmT2_T3_mT4_P12ihipStream_tbEUlmE_aEESB_NS0_8identityIvEEEESG_SJ_SK_mSL_SN_bEUlT_E_NS1_11comp_targetILNS1_3genE4ELNS1_11target_archE910ELNS1_3gpuE8ELNS1_3repE0EEENS1_30default_config_static_selectorELNS0_4arch9wavefront6targetE1EEEvT1_,"axG",@progbits,_ZN7rocprim17ROCPRIM_400000_NS6detail17trampoline_kernelINS0_14default_configENS1_25transform_config_selectorIaLb0EEEZNS1_14transform_implILb0ES3_S5_NS0_18transform_iteratorINS0_17counting_iteratorImlEEZNS1_24adjacent_difference_implIS3_Lb1ELb0EPaSB_N6thrust23THRUST_200600_302600_NS5minusIaEEEE10hipError_tPvRmT2_T3_mT4_P12ihipStream_tbEUlmE_aEESB_NS0_8identityIvEEEESG_SJ_SK_mSL_SN_bEUlT_E_NS1_11comp_targetILNS1_3genE4ELNS1_11target_archE910ELNS1_3gpuE8ELNS1_3repE0EEENS1_30default_config_static_selectorELNS0_4arch9wavefront6targetE1EEEvT1_,comdat
.Lfunc_end11:
	.size	_ZN7rocprim17ROCPRIM_400000_NS6detail17trampoline_kernelINS0_14default_configENS1_25transform_config_selectorIaLb0EEEZNS1_14transform_implILb0ES3_S5_NS0_18transform_iteratorINS0_17counting_iteratorImlEEZNS1_24adjacent_difference_implIS3_Lb1ELb0EPaSB_N6thrust23THRUST_200600_302600_NS5minusIaEEEE10hipError_tPvRmT2_T3_mT4_P12ihipStream_tbEUlmE_aEESB_NS0_8identityIvEEEESG_SJ_SK_mSL_SN_bEUlT_E_NS1_11comp_targetILNS1_3genE4ELNS1_11target_archE910ELNS1_3gpuE8ELNS1_3repE0EEENS1_30default_config_static_selectorELNS0_4arch9wavefront6targetE1EEEvT1_, .Lfunc_end11-_ZN7rocprim17ROCPRIM_400000_NS6detail17trampoline_kernelINS0_14default_configENS1_25transform_config_selectorIaLb0EEEZNS1_14transform_implILb0ES3_S5_NS0_18transform_iteratorINS0_17counting_iteratorImlEEZNS1_24adjacent_difference_implIS3_Lb1ELb0EPaSB_N6thrust23THRUST_200600_302600_NS5minusIaEEEE10hipError_tPvRmT2_T3_mT4_P12ihipStream_tbEUlmE_aEESB_NS0_8identityIvEEEESG_SJ_SK_mSL_SN_bEUlT_E_NS1_11comp_targetILNS1_3genE4ELNS1_11target_archE910ELNS1_3gpuE8ELNS1_3repE0EEENS1_30default_config_static_selectorELNS0_4arch9wavefront6targetE1EEEvT1_
                                        ; -- End function
	.section	.AMDGPU.csdata,"",@progbits
; Kernel info:
; codeLenInByte = 0
; NumSgprs: 6
; NumVgprs: 0
; NumAgprs: 0
; TotalNumVgprs: 0
; ScratchSize: 0
; MemoryBound: 0
; FloatMode: 240
; IeeeMode: 1
; LDSByteSize: 0 bytes/workgroup (compile time only)
; SGPRBlocks: 0
; VGPRBlocks: 0
; NumSGPRsForWavesPerEU: 6
; NumVGPRsForWavesPerEU: 1
; AccumOffset: 4
; Occupancy: 8
; WaveLimiterHint : 0
; COMPUTE_PGM_RSRC2:SCRATCH_EN: 0
; COMPUTE_PGM_RSRC2:USER_SGPR: 2
; COMPUTE_PGM_RSRC2:TRAP_HANDLER: 0
; COMPUTE_PGM_RSRC2:TGID_X_EN: 1
; COMPUTE_PGM_RSRC2:TGID_Y_EN: 0
; COMPUTE_PGM_RSRC2:TGID_Z_EN: 0
; COMPUTE_PGM_RSRC2:TIDIG_COMP_CNT: 0
; COMPUTE_PGM_RSRC3_GFX90A:ACCUM_OFFSET: 0
; COMPUTE_PGM_RSRC3_GFX90A:TG_SPLIT: 0
	.section	.text._ZN7rocprim17ROCPRIM_400000_NS6detail17trampoline_kernelINS0_14default_configENS1_25transform_config_selectorIaLb0EEEZNS1_14transform_implILb0ES3_S5_NS0_18transform_iteratorINS0_17counting_iteratorImlEEZNS1_24adjacent_difference_implIS3_Lb1ELb0EPaSB_N6thrust23THRUST_200600_302600_NS5minusIaEEEE10hipError_tPvRmT2_T3_mT4_P12ihipStream_tbEUlmE_aEESB_NS0_8identityIvEEEESG_SJ_SK_mSL_SN_bEUlT_E_NS1_11comp_targetILNS1_3genE3ELNS1_11target_archE908ELNS1_3gpuE7ELNS1_3repE0EEENS1_30default_config_static_selectorELNS0_4arch9wavefront6targetE1EEEvT1_,"axG",@progbits,_ZN7rocprim17ROCPRIM_400000_NS6detail17trampoline_kernelINS0_14default_configENS1_25transform_config_selectorIaLb0EEEZNS1_14transform_implILb0ES3_S5_NS0_18transform_iteratorINS0_17counting_iteratorImlEEZNS1_24adjacent_difference_implIS3_Lb1ELb0EPaSB_N6thrust23THRUST_200600_302600_NS5minusIaEEEE10hipError_tPvRmT2_T3_mT4_P12ihipStream_tbEUlmE_aEESB_NS0_8identityIvEEEESG_SJ_SK_mSL_SN_bEUlT_E_NS1_11comp_targetILNS1_3genE3ELNS1_11target_archE908ELNS1_3gpuE7ELNS1_3repE0EEENS1_30default_config_static_selectorELNS0_4arch9wavefront6targetE1EEEvT1_,comdat
	.protected	_ZN7rocprim17ROCPRIM_400000_NS6detail17trampoline_kernelINS0_14default_configENS1_25transform_config_selectorIaLb0EEEZNS1_14transform_implILb0ES3_S5_NS0_18transform_iteratorINS0_17counting_iteratorImlEEZNS1_24adjacent_difference_implIS3_Lb1ELb0EPaSB_N6thrust23THRUST_200600_302600_NS5minusIaEEEE10hipError_tPvRmT2_T3_mT4_P12ihipStream_tbEUlmE_aEESB_NS0_8identityIvEEEESG_SJ_SK_mSL_SN_bEUlT_E_NS1_11comp_targetILNS1_3genE3ELNS1_11target_archE908ELNS1_3gpuE7ELNS1_3repE0EEENS1_30default_config_static_selectorELNS0_4arch9wavefront6targetE1EEEvT1_ ; -- Begin function _ZN7rocprim17ROCPRIM_400000_NS6detail17trampoline_kernelINS0_14default_configENS1_25transform_config_selectorIaLb0EEEZNS1_14transform_implILb0ES3_S5_NS0_18transform_iteratorINS0_17counting_iteratorImlEEZNS1_24adjacent_difference_implIS3_Lb1ELb0EPaSB_N6thrust23THRUST_200600_302600_NS5minusIaEEEE10hipError_tPvRmT2_T3_mT4_P12ihipStream_tbEUlmE_aEESB_NS0_8identityIvEEEESG_SJ_SK_mSL_SN_bEUlT_E_NS1_11comp_targetILNS1_3genE3ELNS1_11target_archE908ELNS1_3gpuE7ELNS1_3repE0EEENS1_30default_config_static_selectorELNS0_4arch9wavefront6targetE1EEEvT1_
	.globl	_ZN7rocprim17ROCPRIM_400000_NS6detail17trampoline_kernelINS0_14default_configENS1_25transform_config_selectorIaLb0EEEZNS1_14transform_implILb0ES3_S5_NS0_18transform_iteratorINS0_17counting_iteratorImlEEZNS1_24adjacent_difference_implIS3_Lb1ELb0EPaSB_N6thrust23THRUST_200600_302600_NS5minusIaEEEE10hipError_tPvRmT2_T3_mT4_P12ihipStream_tbEUlmE_aEESB_NS0_8identityIvEEEESG_SJ_SK_mSL_SN_bEUlT_E_NS1_11comp_targetILNS1_3genE3ELNS1_11target_archE908ELNS1_3gpuE7ELNS1_3repE0EEENS1_30default_config_static_selectorELNS0_4arch9wavefront6targetE1EEEvT1_
	.p2align	8
	.type	_ZN7rocprim17ROCPRIM_400000_NS6detail17trampoline_kernelINS0_14default_configENS1_25transform_config_selectorIaLb0EEEZNS1_14transform_implILb0ES3_S5_NS0_18transform_iteratorINS0_17counting_iteratorImlEEZNS1_24adjacent_difference_implIS3_Lb1ELb0EPaSB_N6thrust23THRUST_200600_302600_NS5minusIaEEEE10hipError_tPvRmT2_T3_mT4_P12ihipStream_tbEUlmE_aEESB_NS0_8identityIvEEEESG_SJ_SK_mSL_SN_bEUlT_E_NS1_11comp_targetILNS1_3genE3ELNS1_11target_archE908ELNS1_3gpuE7ELNS1_3repE0EEENS1_30default_config_static_selectorELNS0_4arch9wavefront6targetE1EEEvT1_,@function
_ZN7rocprim17ROCPRIM_400000_NS6detail17trampoline_kernelINS0_14default_configENS1_25transform_config_selectorIaLb0EEEZNS1_14transform_implILb0ES3_S5_NS0_18transform_iteratorINS0_17counting_iteratorImlEEZNS1_24adjacent_difference_implIS3_Lb1ELb0EPaSB_N6thrust23THRUST_200600_302600_NS5minusIaEEEE10hipError_tPvRmT2_T3_mT4_P12ihipStream_tbEUlmE_aEESB_NS0_8identityIvEEEESG_SJ_SK_mSL_SN_bEUlT_E_NS1_11comp_targetILNS1_3genE3ELNS1_11target_archE908ELNS1_3gpuE7ELNS1_3repE0EEENS1_30default_config_static_selectorELNS0_4arch9wavefront6targetE1EEEvT1_: ; @_ZN7rocprim17ROCPRIM_400000_NS6detail17trampoline_kernelINS0_14default_configENS1_25transform_config_selectorIaLb0EEEZNS1_14transform_implILb0ES3_S5_NS0_18transform_iteratorINS0_17counting_iteratorImlEEZNS1_24adjacent_difference_implIS3_Lb1ELb0EPaSB_N6thrust23THRUST_200600_302600_NS5minusIaEEEE10hipError_tPvRmT2_T3_mT4_P12ihipStream_tbEUlmE_aEESB_NS0_8identityIvEEEESG_SJ_SK_mSL_SN_bEUlT_E_NS1_11comp_targetILNS1_3genE3ELNS1_11target_archE908ELNS1_3gpuE7ELNS1_3repE0EEENS1_30default_config_static_selectorELNS0_4arch9wavefront6targetE1EEEvT1_
; %bb.0:
	.section	.rodata,"a",@progbits
	.p2align	6, 0x0
	.amdhsa_kernel _ZN7rocprim17ROCPRIM_400000_NS6detail17trampoline_kernelINS0_14default_configENS1_25transform_config_selectorIaLb0EEEZNS1_14transform_implILb0ES3_S5_NS0_18transform_iteratorINS0_17counting_iteratorImlEEZNS1_24adjacent_difference_implIS3_Lb1ELb0EPaSB_N6thrust23THRUST_200600_302600_NS5minusIaEEEE10hipError_tPvRmT2_T3_mT4_P12ihipStream_tbEUlmE_aEESB_NS0_8identityIvEEEESG_SJ_SK_mSL_SN_bEUlT_E_NS1_11comp_targetILNS1_3genE3ELNS1_11target_archE908ELNS1_3gpuE7ELNS1_3repE0EEENS1_30default_config_static_selectorELNS0_4arch9wavefront6targetE1EEEvT1_
		.amdhsa_group_segment_fixed_size 0
		.amdhsa_private_segment_fixed_size 0
		.amdhsa_kernarg_size 56
		.amdhsa_user_sgpr_count 2
		.amdhsa_user_sgpr_dispatch_ptr 0
		.amdhsa_user_sgpr_queue_ptr 0
		.amdhsa_user_sgpr_kernarg_segment_ptr 1
		.amdhsa_user_sgpr_dispatch_id 0
		.amdhsa_user_sgpr_kernarg_preload_length 0
		.amdhsa_user_sgpr_kernarg_preload_offset 0
		.amdhsa_user_sgpr_private_segment_size 0
		.amdhsa_uses_dynamic_stack 0
		.amdhsa_enable_private_segment 0
		.amdhsa_system_sgpr_workgroup_id_x 1
		.amdhsa_system_sgpr_workgroup_id_y 0
		.amdhsa_system_sgpr_workgroup_id_z 0
		.amdhsa_system_sgpr_workgroup_info 0
		.amdhsa_system_vgpr_workitem_id 0
		.amdhsa_next_free_vgpr 1
		.amdhsa_next_free_sgpr 0
		.amdhsa_accum_offset 4
		.amdhsa_reserve_vcc 0
		.amdhsa_float_round_mode_32 0
		.amdhsa_float_round_mode_16_64 0
		.amdhsa_float_denorm_mode_32 3
		.amdhsa_float_denorm_mode_16_64 3
		.amdhsa_dx10_clamp 1
		.amdhsa_ieee_mode 1
		.amdhsa_fp16_overflow 0
		.amdhsa_tg_split 0
		.amdhsa_exception_fp_ieee_invalid_op 0
		.amdhsa_exception_fp_denorm_src 0
		.amdhsa_exception_fp_ieee_div_zero 0
		.amdhsa_exception_fp_ieee_overflow 0
		.amdhsa_exception_fp_ieee_underflow 0
		.amdhsa_exception_fp_ieee_inexact 0
		.amdhsa_exception_int_div_zero 0
	.end_amdhsa_kernel
	.section	.text._ZN7rocprim17ROCPRIM_400000_NS6detail17trampoline_kernelINS0_14default_configENS1_25transform_config_selectorIaLb0EEEZNS1_14transform_implILb0ES3_S5_NS0_18transform_iteratorINS0_17counting_iteratorImlEEZNS1_24adjacent_difference_implIS3_Lb1ELb0EPaSB_N6thrust23THRUST_200600_302600_NS5minusIaEEEE10hipError_tPvRmT2_T3_mT4_P12ihipStream_tbEUlmE_aEESB_NS0_8identityIvEEEESG_SJ_SK_mSL_SN_bEUlT_E_NS1_11comp_targetILNS1_3genE3ELNS1_11target_archE908ELNS1_3gpuE7ELNS1_3repE0EEENS1_30default_config_static_selectorELNS0_4arch9wavefront6targetE1EEEvT1_,"axG",@progbits,_ZN7rocprim17ROCPRIM_400000_NS6detail17trampoline_kernelINS0_14default_configENS1_25transform_config_selectorIaLb0EEEZNS1_14transform_implILb0ES3_S5_NS0_18transform_iteratorINS0_17counting_iteratorImlEEZNS1_24adjacent_difference_implIS3_Lb1ELb0EPaSB_N6thrust23THRUST_200600_302600_NS5minusIaEEEE10hipError_tPvRmT2_T3_mT4_P12ihipStream_tbEUlmE_aEESB_NS0_8identityIvEEEESG_SJ_SK_mSL_SN_bEUlT_E_NS1_11comp_targetILNS1_3genE3ELNS1_11target_archE908ELNS1_3gpuE7ELNS1_3repE0EEENS1_30default_config_static_selectorELNS0_4arch9wavefront6targetE1EEEvT1_,comdat
.Lfunc_end12:
	.size	_ZN7rocprim17ROCPRIM_400000_NS6detail17trampoline_kernelINS0_14default_configENS1_25transform_config_selectorIaLb0EEEZNS1_14transform_implILb0ES3_S5_NS0_18transform_iteratorINS0_17counting_iteratorImlEEZNS1_24adjacent_difference_implIS3_Lb1ELb0EPaSB_N6thrust23THRUST_200600_302600_NS5minusIaEEEE10hipError_tPvRmT2_T3_mT4_P12ihipStream_tbEUlmE_aEESB_NS0_8identityIvEEEESG_SJ_SK_mSL_SN_bEUlT_E_NS1_11comp_targetILNS1_3genE3ELNS1_11target_archE908ELNS1_3gpuE7ELNS1_3repE0EEENS1_30default_config_static_selectorELNS0_4arch9wavefront6targetE1EEEvT1_, .Lfunc_end12-_ZN7rocprim17ROCPRIM_400000_NS6detail17trampoline_kernelINS0_14default_configENS1_25transform_config_selectorIaLb0EEEZNS1_14transform_implILb0ES3_S5_NS0_18transform_iteratorINS0_17counting_iteratorImlEEZNS1_24adjacent_difference_implIS3_Lb1ELb0EPaSB_N6thrust23THRUST_200600_302600_NS5minusIaEEEE10hipError_tPvRmT2_T3_mT4_P12ihipStream_tbEUlmE_aEESB_NS0_8identityIvEEEESG_SJ_SK_mSL_SN_bEUlT_E_NS1_11comp_targetILNS1_3genE3ELNS1_11target_archE908ELNS1_3gpuE7ELNS1_3repE0EEENS1_30default_config_static_selectorELNS0_4arch9wavefront6targetE1EEEvT1_
                                        ; -- End function
	.section	.AMDGPU.csdata,"",@progbits
; Kernel info:
; codeLenInByte = 0
; NumSgprs: 6
; NumVgprs: 0
; NumAgprs: 0
; TotalNumVgprs: 0
; ScratchSize: 0
; MemoryBound: 0
; FloatMode: 240
; IeeeMode: 1
; LDSByteSize: 0 bytes/workgroup (compile time only)
; SGPRBlocks: 0
; VGPRBlocks: 0
; NumSGPRsForWavesPerEU: 6
; NumVGPRsForWavesPerEU: 1
; AccumOffset: 4
; Occupancy: 8
; WaveLimiterHint : 0
; COMPUTE_PGM_RSRC2:SCRATCH_EN: 0
; COMPUTE_PGM_RSRC2:USER_SGPR: 2
; COMPUTE_PGM_RSRC2:TRAP_HANDLER: 0
; COMPUTE_PGM_RSRC2:TGID_X_EN: 1
; COMPUTE_PGM_RSRC2:TGID_Y_EN: 0
; COMPUTE_PGM_RSRC2:TGID_Z_EN: 0
; COMPUTE_PGM_RSRC2:TIDIG_COMP_CNT: 0
; COMPUTE_PGM_RSRC3_GFX90A:ACCUM_OFFSET: 0
; COMPUTE_PGM_RSRC3_GFX90A:TG_SPLIT: 0
	.section	.text._ZN7rocprim17ROCPRIM_400000_NS6detail17trampoline_kernelINS0_14default_configENS1_25transform_config_selectorIaLb0EEEZNS1_14transform_implILb0ES3_S5_NS0_18transform_iteratorINS0_17counting_iteratorImlEEZNS1_24adjacent_difference_implIS3_Lb1ELb0EPaSB_N6thrust23THRUST_200600_302600_NS5minusIaEEEE10hipError_tPvRmT2_T3_mT4_P12ihipStream_tbEUlmE_aEESB_NS0_8identityIvEEEESG_SJ_SK_mSL_SN_bEUlT_E_NS1_11comp_targetILNS1_3genE2ELNS1_11target_archE906ELNS1_3gpuE6ELNS1_3repE0EEENS1_30default_config_static_selectorELNS0_4arch9wavefront6targetE1EEEvT1_,"axG",@progbits,_ZN7rocprim17ROCPRIM_400000_NS6detail17trampoline_kernelINS0_14default_configENS1_25transform_config_selectorIaLb0EEEZNS1_14transform_implILb0ES3_S5_NS0_18transform_iteratorINS0_17counting_iteratorImlEEZNS1_24adjacent_difference_implIS3_Lb1ELb0EPaSB_N6thrust23THRUST_200600_302600_NS5minusIaEEEE10hipError_tPvRmT2_T3_mT4_P12ihipStream_tbEUlmE_aEESB_NS0_8identityIvEEEESG_SJ_SK_mSL_SN_bEUlT_E_NS1_11comp_targetILNS1_3genE2ELNS1_11target_archE906ELNS1_3gpuE6ELNS1_3repE0EEENS1_30default_config_static_selectorELNS0_4arch9wavefront6targetE1EEEvT1_,comdat
	.protected	_ZN7rocprim17ROCPRIM_400000_NS6detail17trampoline_kernelINS0_14default_configENS1_25transform_config_selectorIaLb0EEEZNS1_14transform_implILb0ES3_S5_NS0_18transform_iteratorINS0_17counting_iteratorImlEEZNS1_24adjacent_difference_implIS3_Lb1ELb0EPaSB_N6thrust23THRUST_200600_302600_NS5minusIaEEEE10hipError_tPvRmT2_T3_mT4_P12ihipStream_tbEUlmE_aEESB_NS0_8identityIvEEEESG_SJ_SK_mSL_SN_bEUlT_E_NS1_11comp_targetILNS1_3genE2ELNS1_11target_archE906ELNS1_3gpuE6ELNS1_3repE0EEENS1_30default_config_static_selectorELNS0_4arch9wavefront6targetE1EEEvT1_ ; -- Begin function _ZN7rocprim17ROCPRIM_400000_NS6detail17trampoline_kernelINS0_14default_configENS1_25transform_config_selectorIaLb0EEEZNS1_14transform_implILb0ES3_S5_NS0_18transform_iteratorINS0_17counting_iteratorImlEEZNS1_24adjacent_difference_implIS3_Lb1ELb0EPaSB_N6thrust23THRUST_200600_302600_NS5minusIaEEEE10hipError_tPvRmT2_T3_mT4_P12ihipStream_tbEUlmE_aEESB_NS0_8identityIvEEEESG_SJ_SK_mSL_SN_bEUlT_E_NS1_11comp_targetILNS1_3genE2ELNS1_11target_archE906ELNS1_3gpuE6ELNS1_3repE0EEENS1_30default_config_static_selectorELNS0_4arch9wavefront6targetE1EEEvT1_
	.globl	_ZN7rocprim17ROCPRIM_400000_NS6detail17trampoline_kernelINS0_14default_configENS1_25transform_config_selectorIaLb0EEEZNS1_14transform_implILb0ES3_S5_NS0_18transform_iteratorINS0_17counting_iteratorImlEEZNS1_24adjacent_difference_implIS3_Lb1ELb0EPaSB_N6thrust23THRUST_200600_302600_NS5minusIaEEEE10hipError_tPvRmT2_T3_mT4_P12ihipStream_tbEUlmE_aEESB_NS0_8identityIvEEEESG_SJ_SK_mSL_SN_bEUlT_E_NS1_11comp_targetILNS1_3genE2ELNS1_11target_archE906ELNS1_3gpuE6ELNS1_3repE0EEENS1_30default_config_static_selectorELNS0_4arch9wavefront6targetE1EEEvT1_
	.p2align	8
	.type	_ZN7rocprim17ROCPRIM_400000_NS6detail17trampoline_kernelINS0_14default_configENS1_25transform_config_selectorIaLb0EEEZNS1_14transform_implILb0ES3_S5_NS0_18transform_iteratorINS0_17counting_iteratorImlEEZNS1_24adjacent_difference_implIS3_Lb1ELb0EPaSB_N6thrust23THRUST_200600_302600_NS5minusIaEEEE10hipError_tPvRmT2_T3_mT4_P12ihipStream_tbEUlmE_aEESB_NS0_8identityIvEEEESG_SJ_SK_mSL_SN_bEUlT_E_NS1_11comp_targetILNS1_3genE2ELNS1_11target_archE906ELNS1_3gpuE6ELNS1_3repE0EEENS1_30default_config_static_selectorELNS0_4arch9wavefront6targetE1EEEvT1_,@function
_ZN7rocprim17ROCPRIM_400000_NS6detail17trampoline_kernelINS0_14default_configENS1_25transform_config_selectorIaLb0EEEZNS1_14transform_implILb0ES3_S5_NS0_18transform_iteratorINS0_17counting_iteratorImlEEZNS1_24adjacent_difference_implIS3_Lb1ELb0EPaSB_N6thrust23THRUST_200600_302600_NS5minusIaEEEE10hipError_tPvRmT2_T3_mT4_P12ihipStream_tbEUlmE_aEESB_NS0_8identityIvEEEESG_SJ_SK_mSL_SN_bEUlT_E_NS1_11comp_targetILNS1_3genE2ELNS1_11target_archE906ELNS1_3gpuE6ELNS1_3repE0EEENS1_30default_config_static_selectorELNS0_4arch9wavefront6targetE1EEEvT1_: ; @_ZN7rocprim17ROCPRIM_400000_NS6detail17trampoline_kernelINS0_14default_configENS1_25transform_config_selectorIaLb0EEEZNS1_14transform_implILb0ES3_S5_NS0_18transform_iteratorINS0_17counting_iteratorImlEEZNS1_24adjacent_difference_implIS3_Lb1ELb0EPaSB_N6thrust23THRUST_200600_302600_NS5minusIaEEEE10hipError_tPvRmT2_T3_mT4_P12ihipStream_tbEUlmE_aEESB_NS0_8identityIvEEEESG_SJ_SK_mSL_SN_bEUlT_E_NS1_11comp_targetILNS1_3genE2ELNS1_11target_archE906ELNS1_3gpuE6ELNS1_3repE0EEENS1_30default_config_static_selectorELNS0_4arch9wavefront6targetE1EEEvT1_
; %bb.0:
	.section	.rodata,"a",@progbits
	.p2align	6, 0x0
	.amdhsa_kernel _ZN7rocprim17ROCPRIM_400000_NS6detail17trampoline_kernelINS0_14default_configENS1_25transform_config_selectorIaLb0EEEZNS1_14transform_implILb0ES3_S5_NS0_18transform_iteratorINS0_17counting_iteratorImlEEZNS1_24adjacent_difference_implIS3_Lb1ELb0EPaSB_N6thrust23THRUST_200600_302600_NS5minusIaEEEE10hipError_tPvRmT2_T3_mT4_P12ihipStream_tbEUlmE_aEESB_NS0_8identityIvEEEESG_SJ_SK_mSL_SN_bEUlT_E_NS1_11comp_targetILNS1_3genE2ELNS1_11target_archE906ELNS1_3gpuE6ELNS1_3repE0EEENS1_30default_config_static_selectorELNS0_4arch9wavefront6targetE1EEEvT1_
		.amdhsa_group_segment_fixed_size 0
		.amdhsa_private_segment_fixed_size 0
		.amdhsa_kernarg_size 56
		.amdhsa_user_sgpr_count 2
		.amdhsa_user_sgpr_dispatch_ptr 0
		.amdhsa_user_sgpr_queue_ptr 0
		.amdhsa_user_sgpr_kernarg_segment_ptr 1
		.amdhsa_user_sgpr_dispatch_id 0
		.amdhsa_user_sgpr_kernarg_preload_length 0
		.amdhsa_user_sgpr_kernarg_preload_offset 0
		.amdhsa_user_sgpr_private_segment_size 0
		.amdhsa_uses_dynamic_stack 0
		.amdhsa_enable_private_segment 0
		.amdhsa_system_sgpr_workgroup_id_x 1
		.amdhsa_system_sgpr_workgroup_id_y 0
		.amdhsa_system_sgpr_workgroup_id_z 0
		.amdhsa_system_sgpr_workgroup_info 0
		.amdhsa_system_vgpr_workitem_id 0
		.amdhsa_next_free_vgpr 1
		.amdhsa_next_free_sgpr 0
		.amdhsa_accum_offset 4
		.amdhsa_reserve_vcc 0
		.amdhsa_float_round_mode_32 0
		.amdhsa_float_round_mode_16_64 0
		.amdhsa_float_denorm_mode_32 3
		.amdhsa_float_denorm_mode_16_64 3
		.amdhsa_dx10_clamp 1
		.amdhsa_ieee_mode 1
		.amdhsa_fp16_overflow 0
		.amdhsa_tg_split 0
		.amdhsa_exception_fp_ieee_invalid_op 0
		.amdhsa_exception_fp_denorm_src 0
		.amdhsa_exception_fp_ieee_div_zero 0
		.amdhsa_exception_fp_ieee_overflow 0
		.amdhsa_exception_fp_ieee_underflow 0
		.amdhsa_exception_fp_ieee_inexact 0
		.amdhsa_exception_int_div_zero 0
	.end_amdhsa_kernel
	.section	.text._ZN7rocprim17ROCPRIM_400000_NS6detail17trampoline_kernelINS0_14default_configENS1_25transform_config_selectorIaLb0EEEZNS1_14transform_implILb0ES3_S5_NS0_18transform_iteratorINS0_17counting_iteratorImlEEZNS1_24adjacent_difference_implIS3_Lb1ELb0EPaSB_N6thrust23THRUST_200600_302600_NS5minusIaEEEE10hipError_tPvRmT2_T3_mT4_P12ihipStream_tbEUlmE_aEESB_NS0_8identityIvEEEESG_SJ_SK_mSL_SN_bEUlT_E_NS1_11comp_targetILNS1_3genE2ELNS1_11target_archE906ELNS1_3gpuE6ELNS1_3repE0EEENS1_30default_config_static_selectorELNS0_4arch9wavefront6targetE1EEEvT1_,"axG",@progbits,_ZN7rocprim17ROCPRIM_400000_NS6detail17trampoline_kernelINS0_14default_configENS1_25transform_config_selectorIaLb0EEEZNS1_14transform_implILb0ES3_S5_NS0_18transform_iteratorINS0_17counting_iteratorImlEEZNS1_24adjacent_difference_implIS3_Lb1ELb0EPaSB_N6thrust23THRUST_200600_302600_NS5minusIaEEEE10hipError_tPvRmT2_T3_mT4_P12ihipStream_tbEUlmE_aEESB_NS0_8identityIvEEEESG_SJ_SK_mSL_SN_bEUlT_E_NS1_11comp_targetILNS1_3genE2ELNS1_11target_archE906ELNS1_3gpuE6ELNS1_3repE0EEENS1_30default_config_static_selectorELNS0_4arch9wavefront6targetE1EEEvT1_,comdat
.Lfunc_end13:
	.size	_ZN7rocprim17ROCPRIM_400000_NS6detail17trampoline_kernelINS0_14default_configENS1_25transform_config_selectorIaLb0EEEZNS1_14transform_implILb0ES3_S5_NS0_18transform_iteratorINS0_17counting_iteratorImlEEZNS1_24adjacent_difference_implIS3_Lb1ELb0EPaSB_N6thrust23THRUST_200600_302600_NS5minusIaEEEE10hipError_tPvRmT2_T3_mT4_P12ihipStream_tbEUlmE_aEESB_NS0_8identityIvEEEESG_SJ_SK_mSL_SN_bEUlT_E_NS1_11comp_targetILNS1_3genE2ELNS1_11target_archE906ELNS1_3gpuE6ELNS1_3repE0EEENS1_30default_config_static_selectorELNS0_4arch9wavefront6targetE1EEEvT1_, .Lfunc_end13-_ZN7rocprim17ROCPRIM_400000_NS6detail17trampoline_kernelINS0_14default_configENS1_25transform_config_selectorIaLb0EEEZNS1_14transform_implILb0ES3_S5_NS0_18transform_iteratorINS0_17counting_iteratorImlEEZNS1_24adjacent_difference_implIS3_Lb1ELb0EPaSB_N6thrust23THRUST_200600_302600_NS5minusIaEEEE10hipError_tPvRmT2_T3_mT4_P12ihipStream_tbEUlmE_aEESB_NS0_8identityIvEEEESG_SJ_SK_mSL_SN_bEUlT_E_NS1_11comp_targetILNS1_3genE2ELNS1_11target_archE906ELNS1_3gpuE6ELNS1_3repE0EEENS1_30default_config_static_selectorELNS0_4arch9wavefront6targetE1EEEvT1_
                                        ; -- End function
	.section	.AMDGPU.csdata,"",@progbits
; Kernel info:
; codeLenInByte = 0
; NumSgprs: 6
; NumVgprs: 0
; NumAgprs: 0
; TotalNumVgprs: 0
; ScratchSize: 0
; MemoryBound: 0
; FloatMode: 240
; IeeeMode: 1
; LDSByteSize: 0 bytes/workgroup (compile time only)
; SGPRBlocks: 0
; VGPRBlocks: 0
; NumSGPRsForWavesPerEU: 6
; NumVGPRsForWavesPerEU: 1
; AccumOffset: 4
; Occupancy: 8
; WaveLimiterHint : 0
; COMPUTE_PGM_RSRC2:SCRATCH_EN: 0
; COMPUTE_PGM_RSRC2:USER_SGPR: 2
; COMPUTE_PGM_RSRC2:TRAP_HANDLER: 0
; COMPUTE_PGM_RSRC2:TGID_X_EN: 1
; COMPUTE_PGM_RSRC2:TGID_Y_EN: 0
; COMPUTE_PGM_RSRC2:TGID_Z_EN: 0
; COMPUTE_PGM_RSRC2:TIDIG_COMP_CNT: 0
; COMPUTE_PGM_RSRC3_GFX90A:ACCUM_OFFSET: 0
; COMPUTE_PGM_RSRC3_GFX90A:TG_SPLIT: 0
	.section	.text._ZN7rocprim17ROCPRIM_400000_NS6detail17trampoline_kernelINS0_14default_configENS1_25transform_config_selectorIaLb0EEEZNS1_14transform_implILb0ES3_S5_NS0_18transform_iteratorINS0_17counting_iteratorImlEEZNS1_24adjacent_difference_implIS3_Lb1ELb0EPaSB_N6thrust23THRUST_200600_302600_NS5minusIaEEEE10hipError_tPvRmT2_T3_mT4_P12ihipStream_tbEUlmE_aEESB_NS0_8identityIvEEEESG_SJ_SK_mSL_SN_bEUlT_E_NS1_11comp_targetILNS1_3genE10ELNS1_11target_archE1201ELNS1_3gpuE5ELNS1_3repE0EEENS1_30default_config_static_selectorELNS0_4arch9wavefront6targetE1EEEvT1_,"axG",@progbits,_ZN7rocprim17ROCPRIM_400000_NS6detail17trampoline_kernelINS0_14default_configENS1_25transform_config_selectorIaLb0EEEZNS1_14transform_implILb0ES3_S5_NS0_18transform_iteratorINS0_17counting_iteratorImlEEZNS1_24adjacent_difference_implIS3_Lb1ELb0EPaSB_N6thrust23THRUST_200600_302600_NS5minusIaEEEE10hipError_tPvRmT2_T3_mT4_P12ihipStream_tbEUlmE_aEESB_NS0_8identityIvEEEESG_SJ_SK_mSL_SN_bEUlT_E_NS1_11comp_targetILNS1_3genE10ELNS1_11target_archE1201ELNS1_3gpuE5ELNS1_3repE0EEENS1_30default_config_static_selectorELNS0_4arch9wavefront6targetE1EEEvT1_,comdat
	.protected	_ZN7rocprim17ROCPRIM_400000_NS6detail17trampoline_kernelINS0_14default_configENS1_25transform_config_selectorIaLb0EEEZNS1_14transform_implILb0ES3_S5_NS0_18transform_iteratorINS0_17counting_iteratorImlEEZNS1_24adjacent_difference_implIS3_Lb1ELb0EPaSB_N6thrust23THRUST_200600_302600_NS5minusIaEEEE10hipError_tPvRmT2_T3_mT4_P12ihipStream_tbEUlmE_aEESB_NS0_8identityIvEEEESG_SJ_SK_mSL_SN_bEUlT_E_NS1_11comp_targetILNS1_3genE10ELNS1_11target_archE1201ELNS1_3gpuE5ELNS1_3repE0EEENS1_30default_config_static_selectorELNS0_4arch9wavefront6targetE1EEEvT1_ ; -- Begin function _ZN7rocprim17ROCPRIM_400000_NS6detail17trampoline_kernelINS0_14default_configENS1_25transform_config_selectorIaLb0EEEZNS1_14transform_implILb0ES3_S5_NS0_18transform_iteratorINS0_17counting_iteratorImlEEZNS1_24adjacent_difference_implIS3_Lb1ELb0EPaSB_N6thrust23THRUST_200600_302600_NS5minusIaEEEE10hipError_tPvRmT2_T3_mT4_P12ihipStream_tbEUlmE_aEESB_NS0_8identityIvEEEESG_SJ_SK_mSL_SN_bEUlT_E_NS1_11comp_targetILNS1_3genE10ELNS1_11target_archE1201ELNS1_3gpuE5ELNS1_3repE0EEENS1_30default_config_static_selectorELNS0_4arch9wavefront6targetE1EEEvT1_
	.globl	_ZN7rocprim17ROCPRIM_400000_NS6detail17trampoline_kernelINS0_14default_configENS1_25transform_config_selectorIaLb0EEEZNS1_14transform_implILb0ES3_S5_NS0_18transform_iteratorINS0_17counting_iteratorImlEEZNS1_24adjacent_difference_implIS3_Lb1ELb0EPaSB_N6thrust23THRUST_200600_302600_NS5minusIaEEEE10hipError_tPvRmT2_T3_mT4_P12ihipStream_tbEUlmE_aEESB_NS0_8identityIvEEEESG_SJ_SK_mSL_SN_bEUlT_E_NS1_11comp_targetILNS1_3genE10ELNS1_11target_archE1201ELNS1_3gpuE5ELNS1_3repE0EEENS1_30default_config_static_selectorELNS0_4arch9wavefront6targetE1EEEvT1_
	.p2align	8
	.type	_ZN7rocprim17ROCPRIM_400000_NS6detail17trampoline_kernelINS0_14default_configENS1_25transform_config_selectorIaLb0EEEZNS1_14transform_implILb0ES3_S5_NS0_18transform_iteratorINS0_17counting_iteratorImlEEZNS1_24adjacent_difference_implIS3_Lb1ELb0EPaSB_N6thrust23THRUST_200600_302600_NS5minusIaEEEE10hipError_tPvRmT2_T3_mT4_P12ihipStream_tbEUlmE_aEESB_NS0_8identityIvEEEESG_SJ_SK_mSL_SN_bEUlT_E_NS1_11comp_targetILNS1_3genE10ELNS1_11target_archE1201ELNS1_3gpuE5ELNS1_3repE0EEENS1_30default_config_static_selectorELNS0_4arch9wavefront6targetE1EEEvT1_,@function
_ZN7rocprim17ROCPRIM_400000_NS6detail17trampoline_kernelINS0_14default_configENS1_25transform_config_selectorIaLb0EEEZNS1_14transform_implILb0ES3_S5_NS0_18transform_iteratorINS0_17counting_iteratorImlEEZNS1_24adjacent_difference_implIS3_Lb1ELb0EPaSB_N6thrust23THRUST_200600_302600_NS5minusIaEEEE10hipError_tPvRmT2_T3_mT4_P12ihipStream_tbEUlmE_aEESB_NS0_8identityIvEEEESG_SJ_SK_mSL_SN_bEUlT_E_NS1_11comp_targetILNS1_3genE10ELNS1_11target_archE1201ELNS1_3gpuE5ELNS1_3repE0EEENS1_30default_config_static_selectorELNS0_4arch9wavefront6targetE1EEEvT1_: ; @_ZN7rocprim17ROCPRIM_400000_NS6detail17trampoline_kernelINS0_14default_configENS1_25transform_config_selectorIaLb0EEEZNS1_14transform_implILb0ES3_S5_NS0_18transform_iteratorINS0_17counting_iteratorImlEEZNS1_24adjacent_difference_implIS3_Lb1ELb0EPaSB_N6thrust23THRUST_200600_302600_NS5minusIaEEEE10hipError_tPvRmT2_T3_mT4_P12ihipStream_tbEUlmE_aEESB_NS0_8identityIvEEEESG_SJ_SK_mSL_SN_bEUlT_E_NS1_11comp_targetILNS1_3genE10ELNS1_11target_archE1201ELNS1_3gpuE5ELNS1_3repE0EEENS1_30default_config_static_selectorELNS0_4arch9wavefront6targetE1EEEvT1_
; %bb.0:
	.section	.rodata,"a",@progbits
	.p2align	6, 0x0
	.amdhsa_kernel _ZN7rocprim17ROCPRIM_400000_NS6detail17trampoline_kernelINS0_14default_configENS1_25transform_config_selectorIaLb0EEEZNS1_14transform_implILb0ES3_S5_NS0_18transform_iteratorINS0_17counting_iteratorImlEEZNS1_24adjacent_difference_implIS3_Lb1ELb0EPaSB_N6thrust23THRUST_200600_302600_NS5minusIaEEEE10hipError_tPvRmT2_T3_mT4_P12ihipStream_tbEUlmE_aEESB_NS0_8identityIvEEEESG_SJ_SK_mSL_SN_bEUlT_E_NS1_11comp_targetILNS1_3genE10ELNS1_11target_archE1201ELNS1_3gpuE5ELNS1_3repE0EEENS1_30default_config_static_selectorELNS0_4arch9wavefront6targetE1EEEvT1_
		.amdhsa_group_segment_fixed_size 0
		.amdhsa_private_segment_fixed_size 0
		.amdhsa_kernarg_size 56
		.amdhsa_user_sgpr_count 2
		.amdhsa_user_sgpr_dispatch_ptr 0
		.amdhsa_user_sgpr_queue_ptr 0
		.amdhsa_user_sgpr_kernarg_segment_ptr 1
		.amdhsa_user_sgpr_dispatch_id 0
		.amdhsa_user_sgpr_kernarg_preload_length 0
		.amdhsa_user_sgpr_kernarg_preload_offset 0
		.amdhsa_user_sgpr_private_segment_size 0
		.amdhsa_uses_dynamic_stack 0
		.amdhsa_enable_private_segment 0
		.amdhsa_system_sgpr_workgroup_id_x 1
		.amdhsa_system_sgpr_workgroup_id_y 0
		.amdhsa_system_sgpr_workgroup_id_z 0
		.amdhsa_system_sgpr_workgroup_info 0
		.amdhsa_system_vgpr_workitem_id 0
		.amdhsa_next_free_vgpr 1
		.amdhsa_next_free_sgpr 0
		.amdhsa_accum_offset 4
		.amdhsa_reserve_vcc 0
		.amdhsa_float_round_mode_32 0
		.amdhsa_float_round_mode_16_64 0
		.amdhsa_float_denorm_mode_32 3
		.amdhsa_float_denorm_mode_16_64 3
		.amdhsa_dx10_clamp 1
		.amdhsa_ieee_mode 1
		.amdhsa_fp16_overflow 0
		.amdhsa_tg_split 0
		.amdhsa_exception_fp_ieee_invalid_op 0
		.amdhsa_exception_fp_denorm_src 0
		.amdhsa_exception_fp_ieee_div_zero 0
		.amdhsa_exception_fp_ieee_overflow 0
		.amdhsa_exception_fp_ieee_underflow 0
		.amdhsa_exception_fp_ieee_inexact 0
		.amdhsa_exception_int_div_zero 0
	.end_amdhsa_kernel
	.section	.text._ZN7rocprim17ROCPRIM_400000_NS6detail17trampoline_kernelINS0_14default_configENS1_25transform_config_selectorIaLb0EEEZNS1_14transform_implILb0ES3_S5_NS0_18transform_iteratorINS0_17counting_iteratorImlEEZNS1_24adjacent_difference_implIS3_Lb1ELb0EPaSB_N6thrust23THRUST_200600_302600_NS5minusIaEEEE10hipError_tPvRmT2_T3_mT4_P12ihipStream_tbEUlmE_aEESB_NS0_8identityIvEEEESG_SJ_SK_mSL_SN_bEUlT_E_NS1_11comp_targetILNS1_3genE10ELNS1_11target_archE1201ELNS1_3gpuE5ELNS1_3repE0EEENS1_30default_config_static_selectorELNS0_4arch9wavefront6targetE1EEEvT1_,"axG",@progbits,_ZN7rocprim17ROCPRIM_400000_NS6detail17trampoline_kernelINS0_14default_configENS1_25transform_config_selectorIaLb0EEEZNS1_14transform_implILb0ES3_S5_NS0_18transform_iteratorINS0_17counting_iteratorImlEEZNS1_24adjacent_difference_implIS3_Lb1ELb0EPaSB_N6thrust23THRUST_200600_302600_NS5minusIaEEEE10hipError_tPvRmT2_T3_mT4_P12ihipStream_tbEUlmE_aEESB_NS0_8identityIvEEEESG_SJ_SK_mSL_SN_bEUlT_E_NS1_11comp_targetILNS1_3genE10ELNS1_11target_archE1201ELNS1_3gpuE5ELNS1_3repE0EEENS1_30default_config_static_selectorELNS0_4arch9wavefront6targetE1EEEvT1_,comdat
.Lfunc_end14:
	.size	_ZN7rocprim17ROCPRIM_400000_NS6detail17trampoline_kernelINS0_14default_configENS1_25transform_config_selectorIaLb0EEEZNS1_14transform_implILb0ES3_S5_NS0_18transform_iteratorINS0_17counting_iteratorImlEEZNS1_24adjacent_difference_implIS3_Lb1ELb0EPaSB_N6thrust23THRUST_200600_302600_NS5minusIaEEEE10hipError_tPvRmT2_T3_mT4_P12ihipStream_tbEUlmE_aEESB_NS0_8identityIvEEEESG_SJ_SK_mSL_SN_bEUlT_E_NS1_11comp_targetILNS1_3genE10ELNS1_11target_archE1201ELNS1_3gpuE5ELNS1_3repE0EEENS1_30default_config_static_selectorELNS0_4arch9wavefront6targetE1EEEvT1_, .Lfunc_end14-_ZN7rocprim17ROCPRIM_400000_NS6detail17trampoline_kernelINS0_14default_configENS1_25transform_config_selectorIaLb0EEEZNS1_14transform_implILb0ES3_S5_NS0_18transform_iteratorINS0_17counting_iteratorImlEEZNS1_24adjacent_difference_implIS3_Lb1ELb0EPaSB_N6thrust23THRUST_200600_302600_NS5minusIaEEEE10hipError_tPvRmT2_T3_mT4_P12ihipStream_tbEUlmE_aEESB_NS0_8identityIvEEEESG_SJ_SK_mSL_SN_bEUlT_E_NS1_11comp_targetILNS1_3genE10ELNS1_11target_archE1201ELNS1_3gpuE5ELNS1_3repE0EEENS1_30default_config_static_selectorELNS0_4arch9wavefront6targetE1EEEvT1_
                                        ; -- End function
	.section	.AMDGPU.csdata,"",@progbits
; Kernel info:
; codeLenInByte = 0
; NumSgprs: 6
; NumVgprs: 0
; NumAgprs: 0
; TotalNumVgprs: 0
; ScratchSize: 0
; MemoryBound: 0
; FloatMode: 240
; IeeeMode: 1
; LDSByteSize: 0 bytes/workgroup (compile time only)
; SGPRBlocks: 0
; VGPRBlocks: 0
; NumSGPRsForWavesPerEU: 6
; NumVGPRsForWavesPerEU: 1
; AccumOffset: 4
; Occupancy: 8
; WaveLimiterHint : 0
; COMPUTE_PGM_RSRC2:SCRATCH_EN: 0
; COMPUTE_PGM_RSRC2:USER_SGPR: 2
; COMPUTE_PGM_RSRC2:TRAP_HANDLER: 0
; COMPUTE_PGM_RSRC2:TGID_X_EN: 1
; COMPUTE_PGM_RSRC2:TGID_Y_EN: 0
; COMPUTE_PGM_RSRC2:TGID_Z_EN: 0
; COMPUTE_PGM_RSRC2:TIDIG_COMP_CNT: 0
; COMPUTE_PGM_RSRC3_GFX90A:ACCUM_OFFSET: 0
; COMPUTE_PGM_RSRC3_GFX90A:TG_SPLIT: 0
	.section	.text._ZN7rocprim17ROCPRIM_400000_NS6detail17trampoline_kernelINS0_14default_configENS1_25transform_config_selectorIaLb0EEEZNS1_14transform_implILb0ES3_S5_NS0_18transform_iteratorINS0_17counting_iteratorImlEEZNS1_24adjacent_difference_implIS3_Lb1ELb0EPaSB_N6thrust23THRUST_200600_302600_NS5minusIaEEEE10hipError_tPvRmT2_T3_mT4_P12ihipStream_tbEUlmE_aEESB_NS0_8identityIvEEEESG_SJ_SK_mSL_SN_bEUlT_E_NS1_11comp_targetILNS1_3genE10ELNS1_11target_archE1200ELNS1_3gpuE4ELNS1_3repE0EEENS1_30default_config_static_selectorELNS0_4arch9wavefront6targetE1EEEvT1_,"axG",@progbits,_ZN7rocprim17ROCPRIM_400000_NS6detail17trampoline_kernelINS0_14default_configENS1_25transform_config_selectorIaLb0EEEZNS1_14transform_implILb0ES3_S5_NS0_18transform_iteratorINS0_17counting_iteratorImlEEZNS1_24adjacent_difference_implIS3_Lb1ELb0EPaSB_N6thrust23THRUST_200600_302600_NS5minusIaEEEE10hipError_tPvRmT2_T3_mT4_P12ihipStream_tbEUlmE_aEESB_NS0_8identityIvEEEESG_SJ_SK_mSL_SN_bEUlT_E_NS1_11comp_targetILNS1_3genE10ELNS1_11target_archE1200ELNS1_3gpuE4ELNS1_3repE0EEENS1_30default_config_static_selectorELNS0_4arch9wavefront6targetE1EEEvT1_,comdat
	.protected	_ZN7rocprim17ROCPRIM_400000_NS6detail17trampoline_kernelINS0_14default_configENS1_25transform_config_selectorIaLb0EEEZNS1_14transform_implILb0ES3_S5_NS0_18transform_iteratorINS0_17counting_iteratorImlEEZNS1_24adjacent_difference_implIS3_Lb1ELb0EPaSB_N6thrust23THRUST_200600_302600_NS5minusIaEEEE10hipError_tPvRmT2_T3_mT4_P12ihipStream_tbEUlmE_aEESB_NS0_8identityIvEEEESG_SJ_SK_mSL_SN_bEUlT_E_NS1_11comp_targetILNS1_3genE10ELNS1_11target_archE1200ELNS1_3gpuE4ELNS1_3repE0EEENS1_30default_config_static_selectorELNS0_4arch9wavefront6targetE1EEEvT1_ ; -- Begin function _ZN7rocprim17ROCPRIM_400000_NS6detail17trampoline_kernelINS0_14default_configENS1_25transform_config_selectorIaLb0EEEZNS1_14transform_implILb0ES3_S5_NS0_18transform_iteratorINS0_17counting_iteratorImlEEZNS1_24adjacent_difference_implIS3_Lb1ELb0EPaSB_N6thrust23THRUST_200600_302600_NS5minusIaEEEE10hipError_tPvRmT2_T3_mT4_P12ihipStream_tbEUlmE_aEESB_NS0_8identityIvEEEESG_SJ_SK_mSL_SN_bEUlT_E_NS1_11comp_targetILNS1_3genE10ELNS1_11target_archE1200ELNS1_3gpuE4ELNS1_3repE0EEENS1_30default_config_static_selectorELNS0_4arch9wavefront6targetE1EEEvT1_
	.globl	_ZN7rocprim17ROCPRIM_400000_NS6detail17trampoline_kernelINS0_14default_configENS1_25transform_config_selectorIaLb0EEEZNS1_14transform_implILb0ES3_S5_NS0_18transform_iteratorINS0_17counting_iteratorImlEEZNS1_24adjacent_difference_implIS3_Lb1ELb0EPaSB_N6thrust23THRUST_200600_302600_NS5minusIaEEEE10hipError_tPvRmT2_T3_mT4_P12ihipStream_tbEUlmE_aEESB_NS0_8identityIvEEEESG_SJ_SK_mSL_SN_bEUlT_E_NS1_11comp_targetILNS1_3genE10ELNS1_11target_archE1200ELNS1_3gpuE4ELNS1_3repE0EEENS1_30default_config_static_selectorELNS0_4arch9wavefront6targetE1EEEvT1_
	.p2align	8
	.type	_ZN7rocprim17ROCPRIM_400000_NS6detail17trampoline_kernelINS0_14default_configENS1_25transform_config_selectorIaLb0EEEZNS1_14transform_implILb0ES3_S5_NS0_18transform_iteratorINS0_17counting_iteratorImlEEZNS1_24adjacent_difference_implIS3_Lb1ELb0EPaSB_N6thrust23THRUST_200600_302600_NS5minusIaEEEE10hipError_tPvRmT2_T3_mT4_P12ihipStream_tbEUlmE_aEESB_NS0_8identityIvEEEESG_SJ_SK_mSL_SN_bEUlT_E_NS1_11comp_targetILNS1_3genE10ELNS1_11target_archE1200ELNS1_3gpuE4ELNS1_3repE0EEENS1_30default_config_static_selectorELNS0_4arch9wavefront6targetE1EEEvT1_,@function
_ZN7rocprim17ROCPRIM_400000_NS6detail17trampoline_kernelINS0_14default_configENS1_25transform_config_selectorIaLb0EEEZNS1_14transform_implILb0ES3_S5_NS0_18transform_iteratorINS0_17counting_iteratorImlEEZNS1_24adjacent_difference_implIS3_Lb1ELb0EPaSB_N6thrust23THRUST_200600_302600_NS5minusIaEEEE10hipError_tPvRmT2_T3_mT4_P12ihipStream_tbEUlmE_aEESB_NS0_8identityIvEEEESG_SJ_SK_mSL_SN_bEUlT_E_NS1_11comp_targetILNS1_3genE10ELNS1_11target_archE1200ELNS1_3gpuE4ELNS1_3repE0EEENS1_30default_config_static_selectorELNS0_4arch9wavefront6targetE1EEEvT1_: ; @_ZN7rocprim17ROCPRIM_400000_NS6detail17trampoline_kernelINS0_14default_configENS1_25transform_config_selectorIaLb0EEEZNS1_14transform_implILb0ES3_S5_NS0_18transform_iteratorINS0_17counting_iteratorImlEEZNS1_24adjacent_difference_implIS3_Lb1ELb0EPaSB_N6thrust23THRUST_200600_302600_NS5minusIaEEEE10hipError_tPvRmT2_T3_mT4_P12ihipStream_tbEUlmE_aEESB_NS0_8identityIvEEEESG_SJ_SK_mSL_SN_bEUlT_E_NS1_11comp_targetILNS1_3genE10ELNS1_11target_archE1200ELNS1_3gpuE4ELNS1_3repE0EEENS1_30default_config_static_selectorELNS0_4arch9wavefront6targetE1EEEvT1_
; %bb.0:
	.section	.rodata,"a",@progbits
	.p2align	6, 0x0
	.amdhsa_kernel _ZN7rocprim17ROCPRIM_400000_NS6detail17trampoline_kernelINS0_14default_configENS1_25transform_config_selectorIaLb0EEEZNS1_14transform_implILb0ES3_S5_NS0_18transform_iteratorINS0_17counting_iteratorImlEEZNS1_24adjacent_difference_implIS3_Lb1ELb0EPaSB_N6thrust23THRUST_200600_302600_NS5minusIaEEEE10hipError_tPvRmT2_T3_mT4_P12ihipStream_tbEUlmE_aEESB_NS0_8identityIvEEEESG_SJ_SK_mSL_SN_bEUlT_E_NS1_11comp_targetILNS1_3genE10ELNS1_11target_archE1200ELNS1_3gpuE4ELNS1_3repE0EEENS1_30default_config_static_selectorELNS0_4arch9wavefront6targetE1EEEvT1_
		.amdhsa_group_segment_fixed_size 0
		.amdhsa_private_segment_fixed_size 0
		.amdhsa_kernarg_size 56
		.amdhsa_user_sgpr_count 2
		.amdhsa_user_sgpr_dispatch_ptr 0
		.amdhsa_user_sgpr_queue_ptr 0
		.amdhsa_user_sgpr_kernarg_segment_ptr 1
		.amdhsa_user_sgpr_dispatch_id 0
		.amdhsa_user_sgpr_kernarg_preload_length 0
		.amdhsa_user_sgpr_kernarg_preload_offset 0
		.amdhsa_user_sgpr_private_segment_size 0
		.amdhsa_uses_dynamic_stack 0
		.amdhsa_enable_private_segment 0
		.amdhsa_system_sgpr_workgroup_id_x 1
		.amdhsa_system_sgpr_workgroup_id_y 0
		.amdhsa_system_sgpr_workgroup_id_z 0
		.amdhsa_system_sgpr_workgroup_info 0
		.amdhsa_system_vgpr_workitem_id 0
		.amdhsa_next_free_vgpr 1
		.amdhsa_next_free_sgpr 0
		.amdhsa_accum_offset 4
		.amdhsa_reserve_vcc 0
		.amdhsa_float_round_mode_32 0
		.amdhsa_float_round_mode_16_64 0
		.amdhsa_float_denorm_mode_32 3
		.amdhsa_float_denorm_mode_16_64 3
		.amdhsa_dx10_clamp 1
		.amdhsa_ieee_mode 1
		.amdhsa_fp16_overflow 0
		.amdhsa_tg_split 0
		.amdhsa_exception_fp_ieee_invalid_op 0
		.amdhsa_exception_fp_denorm_src 0
		.amdhsa_exception_fp_ieee_div_zero 0
		.amdhsa_exception_fp_ieee_overflow 0
		.amdhsa_exception_fp_ieee_underflow 0
		.amdhsa_exception_fp_ieee_inexact 0
		.amdhsa_exception_int_div_zero 0
	.end_amdhsa_kernel
	.section	.text._ZN7rocprim17ROCPRIM_400000_NS6detail17trampoline_kernelINS0_14default_configENS1_25transform_config_selectorIaLb0EEEZNS1_14transform_implILb0ES3_S5_NS0_18transform_iteratorINS0_17counting_iteratorImlEEZNS1_24adjacent_difference_implIS3_Lb1ELb0EPaSB_N6thrust23THRUST_200600_302600_NS5minusIaEEEE10hipError_tPvRmT2_T3_mT4_P12ihipStream_tbEUlmE_aEESB_NS0_8identityIvEEEESG_SJ_SK_mSL_SN_bEUlT_E_NS1_11comp_targetILNS1_3genE10ELNS1_11target_archE1200ELNS1_3gpuE4ELNS1_3repE0EEENS1_30default_config_static_selectorELNS0_4arch9wavefront6targetE1EEEvT1_,"axG",@progbits,_ZN7rocprim17ROCPRIM_400000_NS6detail17trampoline_kernelINS0_14default_configENS1_25transform_config_selectorIaLb0EEEZNS1_14transform_implILb0ES3_S5_NS0_18transform_iteratorINS0_17counting_iteratorImlEEZNS1_24adjacent_difference_implIS3_Lb1ELb0EPaSB_N6thrust23THRUST_200600_302600_NS5minusIaEEEE10hipError_tPvRmT2_T3_mT4_P12ihipStream_tbEUlmE_aEESB_NS0_8identityIvEEEESG_SJ_SK_mSL_SN_bEUlT_E_NS1_11comp_targetILNS1_3genE10ELNS1_11target_archE1200ELNS1_3gpuE4ELNS1_3repE0EEENS1_30default_config_static_selectorELNS0_4arch9wavefront6targetE1EEEvT1_,comdat
.Lfunc_end15:
	.size	_ZN7rocprim17ROCPRIM_400000_NS6detail17trampoline_kernelINS0_14default_configENS1_25transform_config_selectorIaLb0EEEZNS1_14transform_implILb0ES3_S5_NS0_18transform_iteratorINS0_17counting_iteratorImlEEZNS1_24adjacent_difference_implIS3_Lb1ELb0EPaSB_N6thrust23THRUST_200600_302600_NS5minusIaEEEE10hipError_tPvRmT2_T3_mT4_P12ihipStream_tbEUlmE_aEESB_NS0_8identityIvEEEESG_SJ_SK_mSL_SN_bEUlT_E_NS1_11comp_targetILNS1_3genE10ELNS1_11target_archE1200ELNS1_3gpuE4ELNS1_3repE0EEENS1_30default_config_static_selectorELNS0_4arch9wavefront6targetE1EEEvT1_, .Lfunc_end15-_ZN7rocprim17ROCPRIM_400000_NS6detail17trampoline_kernelINS0_14default_configENS1_25transform_config_selectorIaLb0EEEZNS1_14transform_implILb0ES3_S5_NS0_18transform_iteratorINS0_17counting_iteratorImlEEZNS1_24adjacent_difference_implIS3_Lb1ELb0EPaSB_N6thrust23THRUST_200600_302600_NS5minusIaEEEE10hipError_tPvRmT2_T3_mT4_P12ihipStream_tbEUlmE_aEESB_NS0_8identityIvEEEESG_SJ_SK_mSL_SN_bEUlT_E_NS1_11comp_targetILNS1_3genE10ELNS1_11target_archE1200ELNS1_3gpuE4ELNS1_3repE0EEENS1_30default_config_static_selectorELNS0_4arch9wavefront6targetE1EEEvT1_
                                        ; -- End function
	.section	.AMDGPU.csdata,"",@progbits
; Kernel info:
; codeLenInByte = 0
; NumSgprs: 6
; NumVgprs: 0
; NumAgprs: 0
; TotalNumVgprs: 0
; ScratchSize: 0
; MemoryBound: 0
; FloatMode: 240
; IeeeMode: 1
; LDSByteSize: 0 bytes/workgroup (compile time only)
; SGPRBlocks: 0
; VGPRBlocks: 0
; NumSGPRsForWavesPerEU: 6
; NumVGPRsForWavesPerEU: 1
; AccumOffset: 4
; Occupancy: 8
; WaveLimiterHint : 0
; COMPUTE_PGM_RSRC2:SCRATCH_EN: 0
; COMPUTE_PGM_RSRC2:USER_SGPR: 2
; COMPUTE_PGM_RSRC2:TRAP_HANDLER: 0
; COMPUTE_PGM_RSRC2:TGID_X_EN: 1
; COMPUTE_PGM_RSRC2:TGID_Y_EN: 0
; COMPUTE_PGM_RSRC2:TGID_Z_EN: 0
; COMPUTE_PGM_RSRC2:TIDIG_COMP_CNT: 0
; COMPUTE_PGM_RSRC3_GFX90A:ACCUM_OFFSET: 0
; COMPUTE_PGM_RSRC3_GFX90A:TG_SPLIT: 0
	.section	.text._ZN7rocprim17ROCPRIM_400000_NS6detail17trampoline_kernelINS0_14default_configENS1_25transform_config_selectorIaLb0EEEZNS1_14transform_implILb0ES3_S5_NS0_18transform_iteratorINS0_17counting_iteratorImlEEZNS1_24adjacent_difference_implIS3_Lb1ELb0EPaSB_N6thrust23THRUST_200600_302600_NS5minusIaEEEE10hipError_tPvRmT2_T3_mT4_P12ihipStream_tbEUlmE_aEESB_NS0_8identityIvEEEESG_SJ_SK_mSL_SN_bEUlT_E_NS1_11comp_targetILNS1_3genE9ELNS1_11target_archE1100ELNS1_3gpuE3ELNS1_3repE0EEENS1_30default_config_static_selectorELNS0_4arch9wavefront6targetE1EEEvT1_,"axG",@progbits,_ZN7rocprim17ROCPRIM_400000_NS6detail17trampoline_kernelINS0_14default_configENS1_25transform_config_selectorIaLb0EEEZNS1_14transform_implILb0ES3_S5_NS0_18transform_iteratorINS0_17counting_iteratorImlEEZNS1_24adjacent_difference_implIS3_Lb1ELb0EPaSB_N6thrust23THRUST_200600_302600_NS5minusIaEEEE10hipError_tPvRmT2_T3_mT4_P12ihipStream_tbEUlmE_aEESB_NS0_8identityIvEEEESG_SJ_SK_mSL_SN_bEUlT_E_NS1_11comp_targetILNS1_3genE9ELNS1_11target_archE1100ELNS1_3gpuE3ELNS1_3repE0EEENS1_30default_config_static_selectorELNS0_4arch9wavefront6targetE1EEEvT1_,comdat
	.protected	_ZN7rocprim17ROCPRIM_400000_NS6detail17trampoline_kernelINS0_14default_configENS1_25transform_config_selectorIaLb0EEEZNS1_14transform_implILb0ES3_S5_NS0_18transform_iteratorINS0_17counting_iteratorImlEEZNS1_24adjacent_difference_implIS3_Lb1ELb0EPaSB_N6thrust23THRUST_200600_302600_NS5minusIaEEEE10hipError_tPvRmT2_T3_mT4_P12ihipStream_tbEUlmE_aEESB_NS0_8identityIvEEEESG_SJ_SK_mSL_SN_bEUlT_E_NS1_11comp_targetILNS1_3genE9ELNS1_11target_archE1100ELNS1_3gpuE3ELNS1_3repE0EEENS1_30default_config_static_selectorELNS0_4arch9wavefront6targetE1EEEvT1_ ; -- Begin function _ZN7rocprim17ROCPRIM_400000_NS6detail17trampoline_kernelINS0_14default_configENS1_25transform_config_selectorIaLb0EEEZNS1_14transform_implILb0ES3_S5_NS0_18transform_iteratorINS0_17counting_iteratorImlEEZNS1_24adjacent_difference_implIS3_Lb1ELb0EPaSB_N6thrust23THRUST_200600_302600_NS5minusIaEEEE10hipError_tPvRmT2_T3_mT4_P12ihipStream_tbEUlmE_aEESB_NS0_8identityIvEEEESG_SJ_SK_mSL_SN_bEUlT_E_NS1_11comp_targetILNS1_3genE9ELNS1_11target_archE1100ELNS1_3gpuE3ELNS1_3repE0EEENS1_30default_config_static_selectorELNS0_4arch9wavefront6targetE1EEEvT1_
	.globl	_ZN7rocprim17ROCPRIM_400000_NS6detail17trampoline_kernelINS0_14default_configENS1_25transform_config_selectorIaLb0EEEZNS1_14transform_implILb0ES3_S5_NS0_18transform_iteratorINS0_17counting_iteratorImlEEZNS1_24adjacent_difference_implIS3_Lb1ELb0EPaSB_N6thrust23THRUST_200600_302600_NS5minusIaEEEE10hipError_tPvRmT2_T3_mT4_P12ihipStream_tbEUlmE_aEESB_NS0_8identityIvEEEESG_SJ_SK_mSL_SN_bEUlT_E_NS1_11comp_targetILNS1_3genE9ELNS1_11target_archE1100ELNS1_3gpuE3ELNS1_3repE0EEENS1_30default_config_static_selectorELNS0_4arch9wavefront6targetE1EEEvT1_
	.p2align	8
	.type	_ZN7rocprim17ROCPRIM_400000_NS6detail17trampoline_kernelINS0_14default_configENS1_25transform_config_selectorIaLb0EEEZNS1_14transform_implILb0ES3_S5_NS0_18transform_iteratorINS0_17counting_iteratorImlEEZNS1_24adjacent_difference_implIS3_Lb1ELb0EPaSB_N6thrust23THRUST_200600_302600_NS5minusIaEEEE10hipError_tPvRmT2_T3_mT4_P12ihipStream_tbEUlmE_aEESB_NS0_8identityIvEEEESG_SJ_SK_mSL_SN_bEUlT_E_NS1_11comp_targetILNS1_3genE9ELNS1_11target_archE1100ELNS1_3gpuE3ELNS1_3repE0EEENS1_30default_config_static_selectorELNS0_4arch9wavefront6targetE1EEEvT1_,@function
_ZN7rocprim17ROCPRIM_400000_NS6detail17trampoline_kernelINS0_14default_configENS1_25transform_config_selectorIaLb0EEEZNS1_14transform_implILb0ES3_S5_NS0_18transform_iteratorINS0_17counting_iteratorImlEEZNS1_24adjacent_difference_implIS3_Lb1ELb0EPaSB_N6thrust23THRUST_200600_302600_NS5minusIaEEEE10hipError_tPvRmT2_T3_mT4_P12ihipStream_tbEUlmE_aEESB_NS0_8identityIvEEEESG_SJ_SK_mSL_SN_bEUlT_E_NS1_11comp_targetILNS1_3genE9ELNS1_11target_archE1100ELNS1_3gpuE3ELNS1_3repE0EEENS1_30default_config_static_selectorELNS0_4arch9wavefront6targetE1EEEvT1_: ; @_ZN7rocprim17ROCPRIM_400000_NS6detail17trampoline_kernelINS0_14default_configENS1_25transform_config_selectorIaLb0EEEZNS1_14transform_implILb0ES3_S5_NS0_18transform_iteratorINS0_17counting_iteratorImlEEZNS1_24adjacent_difference_implIS3_Lb1ELb0EPaSB_N6thrust23THRUST_200600_302600_NS5minusIaEEEE10hipError_tPvRmT2_T3_mT4_P12ihipStream_tbEUlmE_aEESB_NS0_8identityIvEEEESG_SJ_SK_mSL_SN_bEUlT_E_NS1_11comp_targetILNS1_3genE9ELNS1_11target_archE1100ELNS1_3gpuE3ELNS1_3repE0EEENS1_30default_config_static_selectorELNS0_4arch9wavefront6targetE1EEEvT1_
; %bb.0:
	.section	.rodata,"a",@progbits
	.p2align	6, 0x0
	.amdhsa_kernel _ZN7rocprim17ROCPRIM_400000_NS6detail17trampoline_kernelINS0_14default_configENS1_25transform_config_selectorIaLb0EEEZNS1_14transform_implILb0ES3_S5_NS0_18transform_iteratorINS0_17counting_iteratorImlEEZNS1_24adjacent_difference_implIS3_Lb1ELb0EPaSB_N6thrust23THRUST_200600_302600_NS5minusIaEEEE10hipError_tPvRmT2_T3_mT4_P12ihipStream_tbEUlmE_aEESB_NS0_8identityIvEEEESG_SJ_SK_mSL_SN_bEUlT_E_NS1_11comp_targetILNS1_3genE9ELNS1_11target_archE1100ELNS1_3gpuE3ELNS1_3repE0EEENS1_30default_config_static_selectorELNS0_4arch9wavefront6targetE1EEEvT1_
		.amdhsa_group_segment_fixed_size 0
		.amdhsa_private_segment_fixed_size 0
		.amdhsa_kernarg_size 56
		.amdhsa_user_sgpr_count 2
		.amdhsa_user_sgpr_dispatch_ptr 0
		.amdhsa_user_sgpr_queue_ptr 0
		.amdhsa_user_sgpr_kernarg_segment_ptr 1
		.amdhsa_user_sgpr_dispatch_id 0
		.amdhsa_user_sgpr_kernarg_preload_length 0
		.amdhsa_user_sgpr_kernarg_preload_offset 0
		.amdhsa_user_sgpr_private_segment_size 0
		.amdhsa_uses_dynamic_stack 0
		.amdhsa_enable_private_segment 0
		.amdhsa_system_sgpr_workgroup_id_x 1
		.amdhsa_system_sgpr_workgroup_id_y 0
		.amdhsa_system_sgpr_workgroup_id_z 0
		.amdhsa_system_sgpr_workgroup_info 0
		.amdhsa_system_vgpr_workitem_id 0
		.amdhsa_next_free_vgpr 1
		.amdhsa_next_free_sgpr 0
		.amdhsa_accum_offset 4
		.amdhsa_reserve_vcc 0
		.amdhsa_float_round_mode_32 0
		.amdhsa_float_round_mode_16_64 0
		.amdhsa_float_denorm_mode_32 3
		.amdhsa_float_denorm_mode_16_64 3
		.amdhsa_dx10_clamp 1
		.amdhsa_ieee_mode 1
		.amdhsa_fp16_overflow 0
		.amdhsa_tg_split 0
		.amdhsa_exception_fp_ieee_invalid_op 0
		.amdhsa_exception_fp_denorm_src 0
		.amdhsa_exception_fp_ieee_div_zero 0
		.amdhsa_exception_fp_ieee_overflow 0
		.amdhsa_exception_fp_ieee_underflow 0
		.amdhsa_exception_fp_ieee_inexact 0
		.amdhsa_exception_int_div_zero 0
	.end_amdhsa_kernel
	.section	.text._ZN7rocprim17ROCPRIM_400000_NS6detail17trampoline_kernelINS0_14default_configENS1_25transform_config_selectorIaLb0EEEZNS1_14transform_implILb0ES3_S5_NS0_18transform_iteratorINS0_17counting_iteratorImlEEZNS1_24adjacent_difference_implIS3_Lb1ELb0EPaSB_N6thrust23THRUST_200600_302600_NS5minusIaEEEE10hipError_tPvRmT2_T3_mT4_P12ihipStream_tbEUlmE_aEESB_NS0_8identityIvEEEESG_SJ_SK_mSL_SN_bEUlT_E_NS1_11comp_targetILNS1_3genE9ELNS1_11target_archE1100ELNS1_3gpuE3ELNS1_3repE0EEENS1_30default_config_static_selectorELNS0_4arch9wavefront6targetE1EEEvT1_,"axG",@progbits,_ZN7rocprim17ROCPRIM_400000_NS6detail17trampoline_kernelINS0_14default_configENS1_25transform_config_selectorIaLb0EEEZNS1_14transform_implILb0ES3_S5_NS0_18transform_iteratorINS0_17counting_iteratorImlEEZNS1_24adjacent_difference_implIS3_Lb1ELb0EPaSB_N6thrust23THRUST_200600_302600_NS5minusIaEEEE10hipError_tPvRmT2_T3_mT4_P12ihipStream_tbEUlmE_aEESB_NS0_8identityIvEEEESG_SJ_SK_mSL_SN_bEUlT_E_NS1_11comp_targetILNS1_3genE9ELNS1_11target_archE1100ELNS1_3gpuE3ELNS1_3repE0EEENS1_30default_config_static_selectorELNS0_4arch9wavefront6targetE1EEEvT1_,comdat
.Lfunc_end16:
	.size	_ZN7rocprim17ROCPRIM_400000_NS6detail17trampoline_kernelINS0_14default_configENS1_25transform_config_selectorIaLb0EEEZNS1_14transform_implILb0ES3_S5_NS0_18transform_iteratorINS0_17counting_iteratorImlEEZNS1_24adjacent_difference_implIS3_Lb1ELb0EPaSB_N6thrust23THRUST_200600_302600_NS5minusIaEEEE10hipError_tPvRmT2_T3_mT4_P12ihipStream_tbEUlmE_aEESB_NS0_8identityIvEEEESG_SJ_SK_mSL_SN_bEUlT_E_NS1_11comp_targetILNS1_3genE9ELNS1_11target_archE1100ELNS1_3gpuE3ELNS1_3repE0EEENS1_30default_config_static_selectorELNS0_4arch9wavefront6targetE1EEEvT1_, .Lfunc_end16-_ZN7rocprim17ROCPRIM_400000_NS6detail17trampoline_kernelINS0_14default_configENS1_25transform_config_selectorIaLb0EEEZNS1_14transform_implILb0ES3_S5_NS0_18transform_iteratorINS0_17counting_iteratorImlEEZNS1_24adjacent_difference_implIS3_Lb1ELb0EPaSB_N6thrust23THRUST_200600_302600_NS5minusIaEEEE10hipError_tPvRmT2_T3_mT4_P12ihipStream_tbEUlmE_aEESB_NS0_8identityIvEEEESG_SJ_SK_mSL_SN_bEUlT_E_NS1_11comp_targetILNS1_3genE9ELNS1_11target_archE1100ELNS1_3gpuE3ELNS1_3repE0EEENS1_30default_config_static_selectorELNS0_4arch9wavefront6targetE1EEEvT1_
                                        ; -- End function
	.section	.AMDGPU.csdata,"",@progbits
; Kernel info:
; codeLenInByte = 0
; NumSgprs: 6
; NumVgprs: 0
; NumAgprs: 0
; TotalNumVgprs: 0
; ScratchSize: 0
; MemoryBound: 0
; FloatMode: 240
; IeeeMode: 1
; LDSByteSize: 0 bytes/workgroup (compile time only)
; SGPRBlocks: 0
; VGPRBlocks: 0
; NumSGPRsForWavesPerEU: 6
; NumVGPRsForWavesPerEU: 1
; AccumOffset: 4
; Occupancy: 8
; WaveLimiterHint : 0
; COMPUTE_PGM_RSRC2:SCRATCH_EN: 0
; COMPUTE_PGM_RSRC2:USER_SGPR: 2
; COMPUTE_PGM_RSRC2:TRAP_HANDLER: 0
; COMPUTE_PGM_RSRC2:TGID_X_EN: 1
; COMPUTE_PGM_RSRC2:TGID_Y_EN: 0
; COMPUTE_PGM_RSRC2:TGID_Z_EN: 0
; COMPUTE_PGM_RSRC2:TIDIG_COMP_CNT: 0
; COMPUTE_PGM_RSRC3_GFX90A:ACCUM_OFFSET: 0
; COMPUTE_PGM_RSRC3_GFX90A:TG_SPLIT: 0
	.section	.text._ZN7rocprim17ROCPRIM_400000_NS6detail17trampoline_kernelINS0_14default_configENS1_25transform_config_selectorIaLb0EEEZNS1_14transform_implILb0ES3_S5_NS0_18transform_iteratorINS0_17counting_iteratorImlEEZNS1_24adjacent_difference_implIS3_Lb1ELb0EPaSB_N6thrust23THRUST_200600_302600_NS5minusIaEEEE10hipError_tPvRmT2_T3_mT4_P12ihipStream_tbEUlmE_aEESB_NS0_8identityIvEEEESG_SJ_SK_mSL_SN_bEUlT_E_NS1_11comp_targetILNS1_3genE8ELNS1_11target_archE1030ELNS1_3gpuE2ELNS1_3repE0EEENS1_30default_config_static_selectorELNS0_4arch9wavefront6targetE1EEEvT1_,"axG",@progbits,_ZN7rocprim17ROCPRIM_400000_NS6detail17trampoline_kernelINS0_14default_configENS1_25transform_config_selectorIaLb0EEEZNS1_14transform_implILb0ES3_S5_NS0_18transform_iteratorINS0_17counting_iteratorImlEEZNS1_24adjacent_difference_implIS3_Lb1ELb0EPaSB_N6thrust23THRUST_200600_302600_NS5minusIaEEEE10hipError_tPvRmT2_T3_mT4_P12ihipStream_tbEUlmE_aEESB_NS0_8identityIvEEEESG_SJ_SK_mSL_SN_bEUlT_E_NS1_11comp_targetILNS1_3genE8ELNS1_11target_archE1030ELNS1_3gpuE2ELNS1_3repE0EEENS1_30default_config_static_selectorELNS0_4arch9wavefront6targetE1EEEvT1_,comdat
	.protected	_ZN7rocprim17ROCPRIM_400000_NS6detail17trampoline_kernelINS0_14default_configENS1_25transform_config_selectorIaLb0EEEZNS1_14transform_implILb0ES3_S5_NS0_18transform_iteratorINS0_17counting_iteratorImlEEZNS1_24adjacent_difference_implIS3_Lb1ELb0EPaSB_N6thrust23THRUST_200600_302600_NS5minusIaEEEE10hipError_tPvRmT2_T3_mT4_P12ihipStream_tbEUlmE_aEESB_NS0_8identityIvEEEESG_SJ_SK_mSL_SN_bEUlT_E_NS1_11comp_targetILNS1_3genE8ELNS1_11target_archE1030ELNS1_3gpuE2ELNS1_3repE0EEENS1_30default_config_static_selectorELNS0_4arch9wavefront6targetE1EEEvT1_ ; -- Begin function _ZN7rocprim17ROCPRIM_400000_NS6detail17trampoline_kernelINS0_14default_configENS1_25transform_config_selectorIaLb0EEEZNS1_14transform_implILb0ES3_S5_NS0_18transform_iteratorINS0_17counting_iteratorImlEEZNS1_24adjacent_difference_implIS3_Lb1ELb0EPaSB_N6thrust23THRUST_200600_302600_NS5minusIaEEEE10hipError_tPvRmT2_T3_mT4_P12ihipStream_tbEUlmE_aEESB_NS0_8identityIvEEEESG_SJ_SK_mSL_SN_bEUlT_E_NS1_11comp_targetILNS1_3genE8ELNS1_11target_archE1030ELNS1_3gpuE2ELNS1_3repE0EEENS1_30default_config_static_selectorELNS0_4arch9wavefront6targetE1EEEvT1_
	.globl	_ZN7rocprim17ROCPRIM_400000_NS6detail17trampoline_kernelINS0_14default_configENS1_25transform_config_selectorIaLb0EEEZNS1_14transform_implILb0ES3_S5_NS0_18transform_iteratorINS0_17counting_iteratorImlEEZNS1_24adjacent_difference_implIS3_Lb1ELb0EPaSB_N6thrust23THRUST_200600_302600_NS5minusIaEEEE10hipError_tPvRmT2_T3_mT4_P12ihipStream_tbEUlmE_aEESB_NS0_8identityIvEEEESG_SJ_SK_mSL_SN_bEUlT_E_NS1_11comp_targetILNS1_3genE8ELNS1_11target_archE1030ELNS1_3gpuE2ELNS1_3repE0EEENS1_30default_config_static_selectorELNS0_4arch9wavefront6targetE1EEEvT1_
	.p2align	8
	.type	_ZN7rocprim17ROCPRIM_400000_NS6detail17trampoline_kernelINS0_14default_configENS1_25transform_config_selectorIaLb0EEEZNS1_14transform_implILb0ES3_S5_NS0_18transform_iteratorINS0_17counting_iteratorImlEEZNS1_24adjacent_difference_implIS3_Lb1ELb0EPaSB_N6thrust23THRUST_200600_302600_NS5minusIaEEEE10hipError_tPvRmT2_T3_mT4_P12ihipStream_tbEUlmE_aEESB_NS0_8identityIvEEEESG_SJ_SK_mSL_SN_bEUlT_E_NS1_11comp_targetILNS1_3genE8ELNS1_11target_archE1030ELNS1_3gpuE2ELNS1_3repE0EEENS1_30default_config_static_selectorELNS0_4arch9wavefront6targetE1EEEvT1_,@function
_ZN7rocprim17ROCPRIM_400000_NS6detail17trampoline_kernelINS0_14default_configENS1_25transform_config_selectorIaLb0EEEZNS1_14transform_implILb0ES3_S5_NS0_18transform_iteratorINS0_17counting_iteratorImlEEZNS1_24adjacent_difference_implIS3_Lb1ELb0EPaSB_N6thrust23THRUST_200600_302600_NS5minusIaEEEE10hipError_tPvRmT2_T3_mT4_P12ihipStream_tbEUlmE_aEESB_NS0_8identityIvEEEESG_SJ_SK_mSL_SN_bEUlT_E_NS1_11comp_targetILNS1_3genE8ELNS1_11target_archE1030ELNS1_3gpuE2ELNS1_3repE0EEENS1_30default_config_static_selectorELNS0_4arch9wavefront6targetE1EEEvT1_: ; @_ZN7rocprim17ROCPRIM_400000_NS6detail17trampoline_kernelINS0_14default_configENS1_25transform_config_selectorIaLb0EEEZNS1_14transform_implILb0ES3_S5_NS0_18transform_iteratorINS0_17counting_iteratorImlEEZNS1_24adjacent_difference_implIS3_Lb1ELb0EPaSB_N6thrust23THRUST_200600_302600_NS5minusIaEEEE10hipError_tPvRmT2_T3_mT4_P12ihipStream_tbEUlmE_aEESB_NS0_8identityIvEEEESG_SJ_SK_mSL_SN_bEUlT_E_NS1_11comp_targetILNS1_3genE8ELNS1_11target_archE1030ELNS1_3gpuE2ELNS1_3repE0EEENS1_30default_config_static_selectorELNS0_4arch9wavefront6targetE1EEEvT1_
; %bb.0:
	.section	.rodata,"a",@progbits
	.p2align	6, 0x0
	.amdhsa_kernel _ZN7rocprim17ROCPRIM_400000_NS6detail17trampoline_kernelINS0_14default_configENS1_25transform_config_selectorIaLb0EEEZNS1_14transform_implILb0ES3_S5_NS0_18transform_iteratorINS0_17counting_iteratorImlEEZNS1_24adjacent_difference_implIS3_Lb1ELb0EPaSB_N6thrust23THRUST_200600_302600_NS5minusIaEEEE10hipError_tPvRmT2_T3_mT4_P12ihipStream_tbEUlmE_aEESB_NS0_8identityIvEEEESG_SJ_SK_mSL_SN_bEUlT_E_NS1_11comp_targetILNS1_3genE8ELNS1_11target_archE1030ELNS1_3gpuE2ELNS1_3repE0EEENS1_30default_config_static_selectorELNS0_4arch9wavefront6targetE1EEEvT1_
		.amdhsa_group_segment_fixed_size 0
		.amdhsa_private_segment_fixed_size 0
		.amdhsa_kernarg_size 56
		.amdhsa_user_sgpr_count 2
		.amdhsa_user_sgpr_dispatch_ptr 0
		.amdhsa_user_sgpr_queue_ptr 0
		.amdhsa_user_sgpr_kernarg_segment_ptr 1
		.amdhsa_user_sgpr_dispatch_id 0
		.amdhsa_user_sgpr_kernarg_preload_length 0
		.amdhsa_user_sgpr_kernarg_preload_offset 0
		.amdhsa_user_sgpr_private_segment_size 0
		.amdhsa_uses_dynamic_stack 0
		.amdhsa_enable_private_segment 0
		.amdhsa_system_sgpr_workgroup_id_x 1
		.amdhsa_system_sgpr_workgroup_id_y 0
		.amdhsa_system_sgpr_workgroup_id_z 0
		.amdhsa_system_sgpr_workgroup_info 0
		.amdhsa_system_vgpr_workitem_id 0
		.amdhsa_next_free_vgpr 1
		.amdhsa_next_free_sgpr 0
		.amdhsa_accum_offset 4
		.amdhsa_reserve_vcc 0
		.amdhsa_float_round_mode_32 0
		.amdhsa_float_round_mode_16_64 0
		.amdhsa_float_denorm_mode_32 3
		.amdhsa_float_denorm_mode_16_64 3
		.amdhsa_dx10_clamp 1
		.amdhsa_ieee_mode 1
		.amdhsa_fp16_overflow 0
		.amdhsa_tg_split 0
		.amdhsa_exception_fp_ieee_invalid_op 0
		.amdhsa_exception_fp_denorm_src 0
		.amdhsa_exception_fp_ieee_div_zero 0
		.amdhsa_exception_fp_ieee_overflow 0
		.amdhsa_exception_fp_ieee_underflow 0
		.amdhsa_exception_fp_ieee_inexact 0
		.amdhsa_exception_int_div_zero 0
	.end_amdhsa_kernel
	.section	.text._ZN7rocprim17ROCPRIM_400000_NS6detail17trampoline_kernelINS0_14default_configENS1_25transform_config_selectorIaLb0EEEZNS1_14transform_implILb0ES3_S5_NS0_18transform_iteratorINS0_17counting_iteratorImlEEZNS1_24adjacent_difference_implIS3_Lb1ELb0EPaSB_N6thrust23THRUST_200600_302600_NS5minusIaEEEE10hipError_tPvRmT2_T3_mT4_P12ihipStream_tbEUlmE_aEESB_NS0_8identityIvEEEESG_SJ_SK_mSL_SN_bEUlT_E_NS1_11comp_targetILNS1_3genE8ELNS1_11target_archE1030ELNS1_3gpuE2ELNS1_3repE0EEENS1_30default_config_static_selectorELNS0_4arch9wavefront6targetE1EEEvT1_,"axG",@progbits,_ZN7rocprim17ROCPRIM_400000_NS6detail17trampoline_kernelINS0_14default_configENS1_25transform_config_selectorIaLb0EEEZNS1_14transform_implILb0ES3_S5_NS0_18transform_iteratorINS0_17counting_iteratorImlEEZNS1_24adjacent_difference_implIS3_Lb1ELb0EPaSB_N6thrust23THRUST_200600_302600_NS5minusIaEEEE10hipError_tPvRmT2_T3_mT4_P12ihipStream_tbEUlmE_aEESB_NS0_8identityIvEEEESG_SJ_SK_mSL_SN_bEUlT_E_NS1_11comp_targetILNS1_3genE8ELNS1_11target_archE1030ELNS1_3gpuE2ELNS1_3repE0EEENS1_30default_config_static_selectorELNS0_4arch9wavefront6targetE1EEEvT1_,comdat
.Lfunc_end17:
	.size	_ZN7rocprim17ROCPRIM_400000_NS6detail17trampoline_kernelINS0_14default_configENS1_25transform_config_selectorIaLb0EEEZNS1_14transform_implILb0ES3_S5_NS0_18transform_iteratorINS0_17counting_iteratorImlEEZNS1_24adjacent_difference_implIS3_Lb1ELb0EPaSB_N6thrust23THRUST_200600_302600_NS5minusIaEEEE10hipError_tPvRmT2_T3_mT4_P12ihipStream_tbEUlmE_aEESB_NS0_8identityIvEEEESG_SJ_SK_mSL_SN_bEUlT_E_NS1_11comp_targetILNS1_3genE8ELNS1_11target_archE1030ELNS1_3gpuE2ELNS1_3repE0EEENS1_30default_config_static_selectorELNS0_4arch9wavefront6targetE1EEEvT1_, .Lfunc_end17-_ZN7rocprim17ROCPRIM_400000_NS6detail17trampoline_kernelINS0_14default_configENS1_25transform_config_selectorIaLb0EEEZNS1_14transform_implILb0ES3_S5_NS0_18transform_iteratorINS0_17counting_iteratorImlEEZNS1_24adjacent_difference_implIS3_Lb1ELb0EPaSB_N6thrust23THRUST_200600_302600_NS5minusIaEEEE10hipError_tPvRmT2_T3_mT4_P12ihipStream_tbEUlmE_aEESB_NS0_8identityIvEEEESG_SJ_SK_mSL_SN_bEUlT_E_NS1_11comp_targetILNS1_3genE8ELNS1_11target_archE1030ELNS1_3gpuE2ELNS1_3repE0EEENS1_30default_config_static_selectorELNS0_4arch9wavefront6targetE1EEEvT1_
                                        ; -- End function
	.section	.AMDGPU.csdata,"",@progbits
; Kernel info:
; codeLenInByte = 0
; NumSgprs: 6
; NumVgprs: 0
; NumAgprs: 0
; TotalNumVgprs: 0
; ScratchSize: 0
; MemoryBound: 0
; FloatMode: 240
; IeeeMode: 1
; LDSByteSize: 0 bytes/workgroup (compile time only)
; SGPRBlocks: 0
; VGPRBlocks: 0
; NumSGPRsForWavesPerEU: 6
; NumVGPRsForWavesPerEU: 1
; AccumOffset: 4
; Occupancy: 8
; WaveLimiterHint : 0
; COMPUTE_PGM_RSRC2:SCRATCH_EN: 0
; COMPUTE_PGM_RSRC2:USER_SGPR: 2
; COMPUTE_PGM_RSRC2:TRAP_HANDLER: 0
; COMPUTE_PGM_RSRC2:TGID_X_EN: 1
; COMPUTE_PGM_RSRC2:TGID_Y_EN: 0
; COMPUTE_PGM_RSRC2:TGID_Z_EN: 0
; COMPUTE_PGM_RSRC2:TIDIG_COMP_CNT: 0
; COMPUTE_PGM_RSRC3_GFX90A:ACCUM_OFFSET: 0
; COMPUTE_PGM_RSRC3_GFX90A:TG_SPLIT: 0
	.section	.text._ZN7rocprim17ROCPRIM_400000_NS6detail17trampoline_kernelINS0_14default_configENS1_35adjacent_difference_config_selectorILb1EaEEZNS1_24adjacent_difference_implIS3_Lb1ELb0EPaS7_N6thrust23THRUST_200600_302600_NS5minusIaEEEE10hipError_tPvRmT2_T3_mT4_P12ihipStream_tbEUlT_E_NS1_11comp_targetILNS1_3genE0ELNS1_11target_archE4294967295ELNS1_3gpuE0ELNS1_3repE0EEENS1_30default_config_static_selectorELNS0_4arch9wavefront6targetE1EEEvT1_,"axG",@progbits,_ZN7rocprim17ROCPRIM_400000_NS6detail17trampoline_kernelINS0_14default_configENS1_35adjacent_difference_config_selectorILb1EaEEZNS1_24adjacent_difference_implIS3_Lb1ELb0EPaS7_N6thrust23THRUST_200600_302600_NS5minusIaEEEE10hipError_tPvRmT2_T3_mT4_P12ihipStream_tbEUlT_E_NS1_11comp_targetILNS1_3genE0ELNS1_11target_archE4294967295ELNS1_3gpuE0ELNS1_3repE0EEENS1_30default_config_static_selectorELNS0_4arch9wavefront6targetE1EEEvT1_,comdat
	.protected	_ZN7rocprim17ROCPRIM_400000_NS6detail17trampoline_kernelINS0_14default_configENS1_35adjacent_difference_config_selectorILb1EaEEZNS1_24adjacent_difference_implIS3_Lb1ELb0EPaS7_N6thrust23THRUST_200600_302600_NS5minusIaEEEE10hipError_tPvRmT2_T3_mT4_P12ihipStream_tbEUlT_E_NS1_11comp_targetILNS1_3genE0ELNS1_11target_archE4294967295ELNS1_3gpuE0ELNS1_3repE0EEENS1_30default_config_static_selectorELNS0_4arch9wavefront6targetE1EEEvT1_ ; -- Begin function _ZN7rocprim17ROCPRIM_400000_NS6detail17trampoline_kernelINS0_14default_configENS1_35adjacent_difference_config_selectorILb1EaEEZNS1_24adjacent_difference_implIS3_Lb1ELb0EPaS7_N6thrust23THRUST_200600_302600_NS5minusIaEEEE10hipError_tPvRmT2_T3_mT4_P12ihipStream_tbEUlT_E_NS1_11comp_targetILNS1_3genE0ELNS1_11target_archE4294967295ELNS1_3gpuE0ELNS1_3repE0EEENS1_30default_config_static_selectorELNS0_4arch9wavefront6targetE1EEEvT1_
	.globl	_ZN7rocprim17ROCPRIM_400000_NS6detail17trampoline_kernelINS0_14default_configENS1_35adjacent_difference_config_selectorILb1EaEEZNS1_24adjacent_difference_implIS3_Lb1ELb0EPaS7_N6thrust23THRUST_200600_302600_NS5minusIaEEEE10hipError_tPvRmT2_T3_mT4_P12ihipStream_tbEUlT_E_NS1_11comp_targetILNS1_3genE0ELNS1_11target_archE4294967295ELNS1_3gpuE0ELNS1_3repE0EEENS1_30default_config_static_selectorELNS0_4arch9wavefront6targetE1EEEvT1_
	.p2align	8
	.type	_ZN7rocprim17ROCPRIM_400000_NS6detail17trampoline_kernelINS0_14default_configENS1_35adjacent_difference_config_selectorILb1EaEEZNS1_24adjacent_difference_implIS3_Lb1ELb0EPaS7_N6thrust23THRUST_200600_302600_NS5minusIaEEEE10hipError_tPvRmT2_T3_mT4_P12ihipStream_tbEUlT_E_NS1_11comp_targetILNS1_3genE0ELNS1_11target_archE4294967295ELNS1_3gpuE0ELNS1_3repE0EEENS1_30default_config_static_selectorELNS0_4arch9wavefront6targetE1EEEvT1_,@function
_ZN7rocprim17ROCPRIM_400000_NS6detail17trampoline_kernelINS0_14default_configENS1_35adjacent_difference_config_selectorILb1EaEEZNS1_24adjacent_difference_implIS3_Lb1ELb0EPaS7_N6thrust23THRUST_200600_302600_NS5minusIaEEEE10hipError_tPvRmT2_T3_mT4_P12ihipStream_tbEUlT_E_NS1_11comp_targetILNS1_3genE0ELNS1_11target_archE4294967295ELNS1_3gpuE0ELNS1_3repE0EEENS1_30default_config_static_selectorELNS0_4arch9wavefront6targetE1EEEvT1_: ; @_ZN7rocprim17ROCPRIM_400000_NS6detail17trampoline_kernelINS0_14default_configENS1_35adjacent_difference_config_selectorILb1EaEEZNS1_24adjacent_difference_implIS3_Lb1ELb0EPaS7_N6thrust23THRUST_200600_302600_NS5minusIaEEEE10hipError_tPvRmT2_T3_mT4_P12ihipStream_tbEUlT_E_NS1_11comp_targetILNS1_3genE0ELNS1_11target_archE4294967295ELNS1_3gpuE0ELNS1_3repE0EEENS1_30default_config_static_selectorELNS0_4arch9wavefront6targetE1EEEvT1_
; %bb.0:
	.section	.rodata,"a",@progbits
	.p2align	6, 0x0
	.amdhsa_kernel _ZN7rocprim17ROCPRIM_400000_NS6detail17trampoline_kernelINS0_14default_configENS1_35adjacent_difference_config_selectorILb1EaEEZNS1_24adjacent_difference_implIS3_Lb1ELb0EPaS7_N6thrust23THRUST_200600_302600_NS5minusIaEEEE10hipError_tPvRmT2_T3_mT4_P12ihipStream_tbEUlT_E_NS1_11comp_targetILNS1_3genE0ELNS1_11target_archE4294967295ELNS1_3gpuE0ELNS1_3repE0EEENS1_30default_config_static_selectorELNS0_4arch9wavefront6targetE1EEEvT1_
		.amdhsa_group_segment_fixed_size 0
		.amdhsa_private_segment_fixed_size 0
		.amdhsa_kernarg_size 56
		.amdhsa_user_sgpr_count 2
		.amdhsa_user_sgpr_dispatch_ptr 0
		.amdhsa_user_sgpr_queue_ptr 0
		.amdhsa_user_sgpr_kernarg_segment_ptr 1
		.amdhsa_user_sgpr_dispatch_id 0
		.amdhsa_user_sgpr_kernarg_preload_length 0
		.amdhsa_user_sgpr_kernarg_preload_offset 0
		.amdhsa_user_sgpr_private_segment_size 0
		.amdhsa_uses_dynamic_stack 0
		.amdhsa_enable_private_segment 0
		.amdhsa_system_sgpr_workgroup_id_x 1
		.amdhsa_system_sgpr_workgroup_id_y 0
		.amdhsa_system_sgpr_workgroup_id_z 0
		.amdhsa_system_sgpr_workgroup_info 0
		.amdhsa_system_vgpr_workitem_id 0
		.amdhsa_next_free_vgpr 1
		.amdhsa_next_free_sgpr 0
		.amdhsa_accum_offset 4
		.amdhsa_reserve_vcc 0
		.amdhsa_float_round_mode_32 0
		.amdhsa_float_round_mode_16_64 0
		.amdhsa_float_denorm_mode_32 3
		.amdhsa_float_denorm_mode_16_64 3
		.amdhsa_dx10_clamp 1
		.amdhsa_ieee_mode 1
		.amdhsa_fp16_overflow 0
		.amdhsa_tg_split 0
		.amdhsa_exception_fp_ieee_invalid_op 0
		.amdhsa_exception_fp_denorm_src 0
		.amdhsa_exception_fp_ieee_div_zero 0
		.amdhsa_exception_fp_ieee_overflow 0
		.amdhsa_exception_fp_ieee_underflow 0
		.amdhsa_exception_fp_ieee_inexact 0
		.amdhsa_exception_int_div_zero 0
	.end_amdhsa_kernel
	.section	.text._ZN7rocprim17ROCPRIM_400000_NS6detail17trampoline_kernelINS0_14default_configENS1_35adjacent_difference_config_selectorILb1EaEEZNS1_24adjacent_difference_implIS3_Lb1ELb0EPaS7_N6thrust23THRUST_200600_302600_NS5minusIaEEEE10hipError_tPvRmT2_T3_mT4_P12ihipStream_tbEUlT_E_NS1_11comp_targetILNS1_3genE0ELNS1_11target_archE4294967295ELNS1_3gpuE0ELNS1_3repE0EEENS1_30default_config_static_selectorELNS0_4arch9wavefront6targetE1EEEvT1_,"axG",@progbits,_ZN7rocprim17ROCPRIM_400000_NS6detail17trampoline_kernelINS0_14default_configENS1_35adjacent_difference_config_selectorILb1EaEEZNS1_24adjacent_difference_implIS3_Lb1ELb0EPaS7_N6thrust23THRUST_200600_302600_NS5minusIaEEEE10hipError_tPvRmT2_T3_mT4_P12ihipStream_tbEUlT_E_NS1_11comp_targetILNS1_3genE0ELNS1_11target_archE4294967295ELNS1_3gpuE0ELNS1_3repE0EEENS1_30default_config_static_selectorELNS0_4arch9wavefront6targetE1EEEvT1_,comdat
.Lfunc_end18:
	.size	_ZN7rocprim17ROCPRIM_400000_NS6detail17trampoline_kernelINS0_14default_configENS1_35adjacent_difference_config_selectorILb1EaEEZNS1_24adjacent_difference_implIS3_Lb1ELb0EPaS7_N6thrust23THRUST_200600_302600_NS5minusIaEEEE10hipError_tPvRmT2_T3_mT4_P12ihipStream_tbEUlT_E_NS1_11comp_targetILNS1_3genE0ELNS1_11target_archE4294967295ELNS1_3gpuE0ELNS1_3repE0EEENS1_30default_config_static_selectorELNS0_4arch9wavefront6targetE1EEEvT1_, .Lfunc_end18-_ZN7rocprim17ROCPRIM_400000_NS6detail17trampoline_kernelINS0_14default_configENS1_35adjacent_difference_config_selectorILb1EaEEZNS1_24adjacent_difference_implIS3_Lb1ELb0EPaS7_N6thrust23THRUST_200600_302600_NS5minusIaEEEE10hipError_tPvRmT2_T3_mT4_P12ihipStream_tbEUlT_E_NS1_11comp_targetILNS1_3genE0ELNS1_11target_archE4294967295ELNS1_3gpuE0ELNS1_3repE0EEENS1_30default_config_static_selectorELNS0_4arch9wavefront6targetE1EEEvT1_
                                        ; -- End function
	.section	.AMDGPU.csdata,"",@progbits
; Kernel info:
; codeLenInByte = 0
; NumSgprs: 6
; NumVgprs: 0
; NumAgprs: 0
; TotalNumVgprs: 0
; ScratchSize: 0
; MemoryBound: 0
; FloatMode: 240
; IeeeMode: 1
; LDSByteSize: 0 bytes/workgroup (compile time only)
; SGPRBlocks: 0
; VGPRBlocks: 0
; NumSGPRsForWavesPerEU: 6
; NumVGPRsForWavesPerEU: 1
; AccumOffset: 4
; Occupancy: 8
; WaveLimiterHint : 0
; COMPUTE_PGM_RSRC2:SCRATCH_EN: 0
; COMPUTE_PGM_RSRC2:USER_SGPR: 2
; COMPUTE_PGM_RSRC2:TRAP_HANDLER: 0
; COMPUTE_PGM_RSRC2:TGID_X_EN: 1
; COMPUTE_PGM_RSRC2:TGID_Y_EN: 0
; COMPUTE_PGM_RSRC2:TGID_Z_EN: 0
; COMPUTE_PGM_RSRC2:TIDIG_COMP_CNT: 0
; COMPUTE_PGM_RSRC3_GFX90A:ACCUM_OFFSET: 0
; COMPUTE_PGM_RSRC3_GFX90A:TG_SPLIT: 0
	.section	.text._ZN7rocprim17ROCPRIM_400000_NS6detail17trampoline_kernelINS0_14default_configENS1_35adjacent_difference_config_selectorILb1EaEEZNS1_24adjacent_difference_implIS3_Lb1ELb0EPaS7_N6thrust23THRUST_200600_302600_NS5minusIaEEEE10hipError_tPvRmT2_T3_mT4_P12ihipStream_tbEUlT_E_NS1_11comp_targetILNS1_3genE10ELNS1_11target_archE1201ELNS1_3gpuE5ELNS1_3repE0EEENS1_30default_config_static_selectorELNS0_4arch9wavefront6targetE1EEEvT1_,"axG",@progbits,_ZN7rocprim17ROCPRIM_400000_NS6detail17trampoline_kernelINS0_14default_configENS1_35adjacent_difference_config_selectorILb1EaEEZNS1_24adjacent_difference_implIS3_Lb1ELb0EPaS7_N6thrust23THRUST_200600_302600_NS5minusIaEEEE10hipError_tPvRmT2_T3_mT4_P12ihipStream_tbEUlT_E_NS1_11comp_targetILNS1_3genE10ELNS1_11target_archE1201ELNS1_3gpuE5ELNS1_3repE0EEENS1_30default_config_static_selectorELNS0_4arch9wavefront6targetE1EEEvT1_,comdat
	.protected	_ZN7rocprim17ROCPRIM_400000_NS6detail17trampoline_kernelINS0_14default_configENS1_35adjacent_difference_config_selectorILb1EaEEZNS1_24adjacent_difference_implIS3_Lb1ELb0EPaS7_N6thrust23THRUST_200600_302600_NS5minusIaEEEE10hipError_tPvRmT2_T3_mT4_P12ihipStream_tbEUlT_E_NS1_11comp_targetILNS1_3genE10ELNS1_11target_archE1201ELNS1_3gpuE5ELNS1_3repE0EEENS1_30default_config_static_selectorELNS0_4arch9wavefront6targetE1EEEvT1_ ; -- Begin function _ZN7rocprim17ROCPRIM_400000_NS6detail17trampoline_kernelINS0_14default_configENS1_35adjacent_difference_config_selectorILb1EaEEZNS1_24adjacent_difference_implIS3_Lb1ELb0EPaS7_N6thrust23THRUST_200600_302600_NS5minusIaEEEE10hipError_tPvRmT2_T3_mT4_P12ihipStream_tbEUlT_E_NS1_11comp_targetILNS1_3genE10ELNS1_11target_archE1201ELNS1_3gpuE5ELNS1_3repE0EEENS1_30default_config_static_selectorELNS0_4arch9wavefront6targetE1EEEvT1_
	.globl	_ZN7rocprim17ROCPRIM_400000_NS6detail17trampoline_kernelINS0_14default_configENS1_35adjacent_difference_config_selectorILb1EaEEZNS1_24adjacent_difference_implIS3_Lb1ELb0EPaS7_N6thrust23THRUST_200600_302600_NS5minusIaEEEE10hipError_tPvRmT2_T3_mT4_P12ihipStream_tbEUlT_E_NS1_11comp_targetILNS1_3genE10ELNS1_11target_archE1201ELNS1_3gpuE5ELNS1_3repE0EEENS1_30default_config_static_selectorELNS0_4arch9wavefront6targetE1EEEvT1_
	.p2align	8
	.type	_ZN7rocprim17ROCPRIM_400000_NS6detail17trampoline_kernelINS0_14default_configENS1_35adjacent_difference_config_selectorILb1EaEEZNS1_24adjacent_difference_implIS3_Lb1ELb0EPaS7_N6thrust23THRUST_200600_302600_NS5minusIaEEEE10hipError_tPvRmT2_T3_mT4_P12ihipStream_tbEUlT_E_NS1_11comp_targetILNS1_3genE10ELNS1_11target_archE1201ELNS1_3gpuE5ELNS1_3repE0EEENS1_30default_config_static_selectorELNS0_4arch9wavefront6targetE1EEEvT1_,@function
_ZN7rocprim17ROCPRIM_400000_NS6detail17trampoline_kernelINS0_14default_configENS1_35adjacent_difference_config_selectorILb1EaEEZNS1_24adjacent_difference_implIS3_Lb1ELb0EPaS7_N6thrust23THRUST_200600_302600_NS5minusIaEEEE10hipError_tPvRmT2_T3_mT4_P12ihipStream_tbEUlT_E_NS1_11comp_targetILNS1_3genE10ELNS1_11target_archE1201ELNS1_3gpuE5ELNS1_3repE0EEENS1_30default_config_static_selectorELNS0_4arch9wavefront6targetE1EEEvT1_: ; @_ZN7rocprim17ROCPRIM_400000_NS6detail17trampoline_kernelINS0_14default_configENS1_35adjacent_difference_config_selectorILb1EaEEZNS1_24adjacent_difference_implIS3_Lb1ELb0EPaS7_N6thrust23THRUST_200600_302600_NS5minusIaEEEE10hipError_tPvRmT2_T3_mT4_P12ihipStream_tbEUlT_E_NS1_11comp_targetILNS1_3genE10ELNS1_11target_archE1201ELNS1_3gpuE5ELNS1_3repE0EEENS1_30default_config_static_selectorELNS0_4arch9wavefront6targetE1EEEvT1_
; %bb.0:
	.section	.rodata,"a",@progbits
	.p2align	6, 0x0
	.amdhsa_kernel _ZN7rocprim17ROCPRIM_400000_NS6detail17trampoline_kernelINS0_14default_configENS1_35adjacent_difference_config_selectorILb1EaEEZNS1_24adjacent_difference_implIS3_Lb1ELb0EPaS7_N6thrust23THRUST_200600_302600_NS5minusIaEEEE10hipError_tPvRmT2_T3_mT4_P12ihipStream_tbEUlT_E_NS1_11comp_targetILNS1_3genE10ELNS1_11target_archE1201ELNS1_3gpuE5ELNS1_3repE0EEENS1_30default_config_static_selectorELNS0_4arch9wavefront6targetE1EEEvT1_
		.amdhsa_group_segment_fixed_size 0
		.amdhsa_private_segment_fixed_size 0
		.amdhsa_kernarg_size 56
		.amdhsa_user_sgpr_count 2
		.amdhsa_user_sgpr_dispatch_ptr 0
		.amdhsa_user_sgpr_queue_ptr 0
		.amdhsa_user_sgpr_kernarg_segment_ptr 1
		.amdhsa_user_sgpr_dispatch_id 0
		.amdhsa_user_sgpr_kernarg_preload_length 0
		.amdhsa_user_sgpr_kernarg_preload_offset 0
		.amdhsa_user_sgpr_private_segment_size 0
		.amdhsa_uses_dynamic_stack 0
		.amdhsa_enable_private_segment 0
		.amdhsa_system_sgpr_workgroup_id_x 1
		.amdhsa_system_sgpr_workgroup_id_y 0
		.amdhsa_system_sgpr_workgroup_id_z 0
		.amdhsa_system_sgpr_workgroup_info 0
		.amdhsa_system_vgpr_workitem_id 0
		.amdhsa_next_free_vgpr 1
		.amdhsa_next_free_sgpr 0
		.amdhsa_accum_offset 4
		.amdhsa_reserve_vcc 0
		.amdhsa_float_round_mode_32 0
		.amdhsa_float_round_mode_16_64 0
		.amdhsa_float_denorm_mode_32 3
		.amdhsa_float_denorm_mode_16_64 3
		.amdhsa_dx10_clamp 1
		.amdhsa_ieee_mode 1
		.amdhsa_fp16_overflow 0
		.amdhsa_tg_split 0
		.amdhsa_exception_fp_ieee_invalid_op 0
		.amdhsa_exception_fp_denorm_src 0
		.amdhsa_exception_fp_ieee_div_zero 0
		.amdhsa_exception_fp_ieee_overflow 0
		.amdhsa_exception_fp_ieee_underflow 0
		.amdhsa_exception_fp_ieee_inexact 0
		.amdhsa_exception_int_div_zero 0
	.end_amdhsa_kernel
	.section	.text._ZN7rocprim17ROCPRIM_400000_NS6detail17trampoline_kernelINS0_14default_configENS1_35adjacent_difference_config_selectorILb1EaEEZNS1_24adjacent_difference_implIS3_Lb1ELb0EPaS7_N6thrust23THRUST_200600_302600_NS5minusIaEEEE10hipError_tPvRmT2_T3_mT4_P12ihipStream_tbEUlT_E_NS1_11comp_targetILNS1_3genE10ELNS1_11target_archE1201ELNS1_3gpuE5ELNS1_3repE0EEENS1_30default_config_static_selectorELNS0_4arch9wavefront6targetE1EEEvT1_,"axG",@progbits,_ZN7rocprim17ROCPRIM_400000_NS6detail17trampoline_kernelINS0_14default_configENS1_35adjacent_difference_config_selectorILb1EaEEZNS1_24adjacent_difference_implIS3_Lb1ELb0EPaS7_N6thrust23THRUST_200600_302600_NS5minusIaEEEE10hipError_tPvRmT2_T3_mT4_P12ihipStream_tbEUlT_E_NS1_11comp_targetILNS1_3genE10ELNS1_11target_archE1201ELNS1_3gpuE5ELNS1_3repE0EEENS1_30default_config_static_selectorELNS0_4arch9wavefront6targetE1EEEvT1_,comdat
.Lfunc_end19:
	.size	_ZN7rocprim17ROCPRIM_400000_NS6detail17trampoline_kernelINS0_14default_configENS1_35adjacent_difference_config_selectorILb1EaEEZNS1_24adjacent_difference_implIS3_Lb1ELb0EPaS7_N6thrust23THRUST_200600_302600_NS5minusIaEEEE10hipError_tPvRmT2_T3_mT4_P12ihipStream_tbEUlT_E_NS1_11comp_targetILNS1_3genE10ELNS1_11target_archE1201ELNS1_3gpuE5ELNS1_3repE0EEENS1_30default_config_static_selectorELNS0_4arch9wavefront6targetE1EEEvT1_, .Lfunc_end19-_ZN7rocprim17ROCPRIM_400000_NS6detail17trampoline_kernelINS0_14default_configENS1_35adjacent_difference_config_selectorILb1EaEEZNS1_24adjacent_difference_implIS3_Lb1ELb0EPaS7_N6thrust23THRUST_200600_302600_NS5minusIaEEEE10hipError_tPvRmT2_T3_mT4_P12ihipStream_tbEUlT_E_NS1_11comp_targetILNS1_3genE10ELNS1_11target_archE1201ELNS1_3gpuE5ELNS1_3repE0EEENS1_30default_config_static_selectorELNS0_4arch9wavefront6targetE1EEEvT1_
                                        ; -- End function
	.section	.AMDGPU.csdata,"",@progbits
; Kernel info:
; codeLenInByte = 0
; NumSgprs: 6
; NumVgprs: 0
; NumAgprs: 0
; TotalNumVgprs: 0
; ScratchSize: 0
; MemoryBound: 0
; FloatMode: 240
; IeeeMode: 1
; LDSByteSize: 0 bytes/workgroup (compile time only)
; SGPRBlocks: 0
; VGPRBlocks: 0
; NumSGPRsForWavesPerEU: 6
; NumVGPRsForWavesPerEU: 1
; AccumOffset: 4
; Occupancy: 8
; WaveLimiterHint : 0
; COMPUTE_PGM_RSRC2:SCRATCH_EN: 0
; COMPUTE_PGM_RSRC2:USER_SGPR: 2
; COMPUTE_PGM_RSRC2:TRAP_HANDLER: 0
; COMPUTE_PGM_RSRC2:TGID_X_EN: 1
; COMPUTE_PGM_RSRC2:TGID_Y_EN: 0
; COMPUTE_PGM_RSRC2:TGID_Z_EN: 0
; COMPUTE_PGM_RSRC2:TIDIG_COMP_CNT: 0
; COMPUTE_PGM_RSRC3_GFX90A:ACCUM_OFFSET: 0
; COMPUTE_PGM_RSRC3_GFX90A:TG_SPLIT: 0
	.section	.text._ZN7rocprim17ROCPRIM_400000_NS6detail17trampoline_kernelINS0_14default_configENS1_35adjacent_difference_config_selectorILb1EaEEZNS1_24adjacent_difference_implIS3_Lb1ELb0EPaS7_N6thrust23THRUST_200600_302600_NS5minusIaEEEE10hipError_tPvRmT2_T3_mT4_P12ihipStream_tbEUlT_E_NS1_11comp_targetILNS1_3genE5ELNS1_11target_archE942ELNS1_3gpuE9ELNS1_3repE0EEENS1_30default_config_static_selectorELNS0_4arch9wavefront6targetE1EEEvT1_,"axG",@progbits,_ZN7rocprim17ROCPRIM_400000_NS6detail17trampoline_kernelINS0_14default_configENS1_35adjacent_difference_config_selectorILb1EaEEZNS1_24adjacent_difference_implIS3_Lb1ELb0EPaS7_N6thrust23THRUST_200600_302600_NS5minusIaEEEE10hipError_tPvRmT2_T3_mT4_P12ihipStream_tbEUlT_E_NS1_11comp_targetILNS1_3genE5ELNS1_11target_archE942ELNS1_3gpuE9ELNS1_3repE0EEENS1_30default_config_static_selectorELNS0_4arch9wavefront6targetE1EEEvT1_,comdat
	.protected	_ZN7rocprim17ROCPRIM_400000_NS6detail17trampoline_kernelINS0_14default_configENS1_35adjacent_difference_config_selectorILb1EaEEZNS1_24adjacent_difference_implIS3_Lb1ELb0EPaS7_N6thrust23THRUST_200600_302600_NS5minusIaEEEE10hipError_tPvRmT2_T3_mT4_P12ihipStream_tbEUlT_E_NS1_11comp_targetILNS1_3genE5ELNS1_11target_archE942ELNS1_3gpuE9ELNS1_3repE0EEENS1_30default_config_static_selectorELNS0_4arch9wavefront6targetE1EEEvT1_ ; -- Begin function _ZN7rocprim17ROCPRIM_400000_NS6detail17trampoline_kernelINS0_14default_configENS1_35adjacent_difference_config_selectorILb1EaEEZNS1_24adjacent_difference_implIS3_Lb1ELb0EPaS7_N6thrust23THRUST_200600_302600_NS5minusIaEEEE10hipError_tPvRmT2_T3_mT4_P12ihipStream_tbEUlT_E_NS1_11comp_targetILNS1_3genE5ELNS1_11target_archE942ELNS1_3gpuE9ELNS1_3repE0EEENS1_30default_config_static_selectorELNS0_4arch9wavefront6targetE1EEEvT1_
	.globl	_ZN7rocprim17ROCPRIM_400000_NS6detail17trampoline_kernelINS0_14default_configENS1_35adjacent_difference_config_selectorILb1EaEEZNS1_24adjacent_difference_implIS3_Lb1ELb0EPaS7_N6thrust23THRUST_200600_302600_NS5minusIaEEEE10hipError_tPvRmT2_T3_mT4_P12ihipStream_tbEUlT_E_NS1_11comp_targetILNS1_3genE5ELNS1_11target_archE942ELNS1_3gpuE9ELNS1_3repE0EEENS1_30default_config_static_selectorELNS0_4arch9wavefront6targetE1EEEvT1_
	.p2align	8
	.type	_ZN7rocprim17ROCPRIM_400000_NS6detail17trampoline_kernelINS0_14default_configENS1_35adjacent_difference_config_selectorILb1EaEEZNS1_24adjacent_difference_implIS3_Lb1ELb0EPaS7_N6thrust23THRUST_200600_302600_NS5minusIaEEEE10hipError_tPvRmT2_T3_mT4_P12ihipStream_tbEUlT_E_NS1_11comp_targetILNS1_3genE5ELNS1_11target_archE942ELNS1_3gpuE9ELNS1_3repE0EEENS1_30default_config_static_selectorELNS0_4arch9wavefront6targetE1EEEvT1_,@function
_ZN7rocprim17ROCPRIM_400000_NS6detail17trampoline_kernelINS0_14default_configENS1_35adjacent_difference_config_selectorILb1EaEEZNS1_24adjacent_difference_implIS3_Lb1ELb0EPaS7_N6thrust23THRUST_200600_302600_NS5minusIaEEEE10hipError_tPvRmT2_T3_mT4_P12ihipStream_tbEUlT_E_NS1_11comp_targetILNS1_3genE5ELNS1_11target_archE942ELNS1_3gpuE9ELNS1_3repE0EEENS1_30default_config_static_selectorELNS0_4arch9wavefront6targetE1EEEvT1_: ; @_ZN7rocprim17ROCPRIM_400000_NS6detail17trampoline_kernelINS0_14default_configENS1_35adjacent_difference_config_selectorILb1EaEEZNS1_24adjacent_difference_implIS3_Lb1ELb0EPaS7_N6thrust23THRUST_200600_302600_NS5minusIaEEEE10hipError_tPvRmT2_T3_mT4_P12ihipStream_tbEUlT_E_NS1_11comp_targetILNS1_3genE5ELNS1_11target_archE942ELNS1_3gpuE9ELNS1_3repE0EEENS1_30default_config_static_selectorELNS0_4arch9wavefront6targetE1EEEvT1_
; %bb.0:
	s_load_dwordx8 s[16:23], s[0:1], 0x0
	s_load_dwordx4 s[4:7], s[0:1], 0x28
	s_movk_i32 s8, 0xb80
	s_mul_i32 s24, s2, 0xb80
	s_waitcnt lgkmcnt(0)
	s_add_u32 s3, s16, s18
	s_addc_u32 s25, s17, s19
	s_add_u32 s0, 0, 0x590b2000
	s_addc_u32 s1, 0, 0
	s_add_i32 s1, s1, 0x1642c8
	s_mul_hi_u32 s12, s0, 0xfffff480
	s_sub_i32 s12, s12, s0
	s_mul_i32 s13, s1, 0xfffff480
	s_mul_i32 s9, s0, 0xfffff480
	s_add_i32 s12, s12, s13
	s_mul_hi_u32 s10, s1, s9
	s_mul_i32 s11, s1, s9
	s_mul_i32 s14, s0, s12
	s_mul_hi_u32 s9, s0, s9
	s_mul_hi_u32 s13, s0, s12
	s_add_u32 s9, s9, s14
	s_addc_u32 s13, 0, s13
	s_add_u32 s9, s9, s11
	s_mul_hi_u32 s14, s1, s12
	s_addc_u32 s9, s13, s10
	s_addc_u32 s10, s14, 0
	s_mul_i32 s11, s1, s12
	s_add_u32 s9, s9, s11
	v_mov_b32_e32 v1, s9
	s_addc_u32 s10, 0, s10
	v_add_co_u32_e32 v1, vcc, s0, v1
	s_cmp_lg_u64 vcc, 0
	s_addc_u32 s0, s1, s10
	v_readfirstlane_b32 s10, v1
	s_mul_i32 s9, s22, s0
	s_mul_hi_u32 s11, s22, s10
	s_mul_hi_u32 s1, s22, s0
	s_add_u32 s9, s11, s9
	s_addc_u32 s1, 0, s1
	s_mul_hi_u32 s12, s23, s10
	s_mul_i32 s10, s23, s10
	s_add_u32 s9, s9, s10
	s_mul_hi_u32 s11, s23, s0
	s_addc_u32 s1, s1, s12
	s_addc_u32 s9, s11, 0
	s_mul_i32 s0, s23, s0
	s_add_u32 s0, s1, s0
	s_addc_u32 s1, 0, s9
	s_add_u32 s9, s0, 1
	s_addc_u32 s10, s1, 0
	s_add_u32 s11, s0, 2
	s_mul_i32 s13, s1, 0xb80
	s_mul_hi_u32 s14, s0, 0xb80
	s_addc_u32 s12, s1, 0
	s_add_i32 s14, s14, s13
	s_mul_i32 s13, s0, 0xb80
	v_mov_b32_e32 v1, s13
	v_sub_co_u32_e32 v1, vcc, s22, v1
	s_cmp_lg_u64 vcc, 0
	s_subb_u32 s13, s23, s14
	v_subrev_co_u32_e32 v2, vcc, s8, v1
	s_cmp_lg_u64 vcc, 0
	s_subb_u32 s8, s13, 0
	v_readfirstlane_b32 s14, v2
	s_cmpk_gt_u32 s14, 0xb7f
	s_cselect_b32 s14, -1, 0
	s_cmp_eq_u32 s8, 0
	s_cselect_b32 s8, s14, -1
	s_cmp_lg_u32 s8, 0
	s_cselect_b32 s8, s11, s9
	s_cselect_b32 s9, s12, s10
	v_readfirstlane_b32 s10, v1
	s_cmpk_gt_u32 s10, 0xb7f
	s_cselect_b32 s10, -1, 0
	s_cmp_eq_u32 s13, 0
	s_cselect_b32 s10, s10, -1
	s_cmp_lg_u32 s10, 0
	s_cselect_b32 s9, s9, s1
	s_cselect_b32 s8, s8, s0
	s_mul_i32 s0, s9, 0xb80
	s_mul_hi_u32 s1, s8, 0xb80
	s_add_i32 s1, s1, s0
	s_mul_i32 s0, s8, 0xb80
	s_sub_u32 s0, s22, s0
	s_subb_u32 s1, s23, s1
	s_cmp_lg_u64 s[0:1], 0
	s_cselect_b64 s[0:1], -1, 0
	v_cndmask_b32_e64 v1, 0, 1, s[0:1]
	s_mov_b64 s[14:15], -1
	v_readfirstlane_b32 s0, v1
	s_add_u32 s8, s8, s0
	s_addc_u32 s9, s9, 0
	s_add_u32 s10, s6, s2
	s_addc_u32 s11, s7, 0
	s_add_u32 s12, s8, -1
	s_addc_u32 s13, s9, -1
	v_mov_b64_e32 v[2:3], s[12:13]
	v_cmp_ge_u64_e64 s[0:1], s[10:11], v[2:3]
	s_and_b64 vcc, exec, s[0:1]
	s_mul_i32 s23, s12, 0xfffff480
	s_cbranch_vccz .LBB20_48
; %bb.1:
	s_add_i32 s26, s23, s22
	s_add_u32 s14, s3, s24
	s_addc_u32 s15, s25, 0
	v_cmp_gt_u32_e32 vcc, s26, v0
                                        ; implicit-def: $vgpr1
	s_and_saveexec_b64 s[16:17], vcc
	s_cbranch_execz .LBB20_3
; %bb.2:
	global_load_ubyte v1, v0, s[14:15]
.LBB20_3:
	s_or_b64 exec, exec, s[16:17]
	v_or_b32_e32 v2, 0x80, v0
	v_cmp_gt_u32_e32 vcc, s26, v2
                                        ; implicit-def: $vgpr2
	s_and_saveexec_b64 s[16:17], vcc
	s_cbranch_execz .LBB20_5
; %bb.4:
	global_load_ubyte v2, v0, s[14:15] offset:128
.LBB20_5:
	s_or_b64 exec, exec, s[16:17]
	v_or_b32_e32 v3, 0x100, v0
	v_cmp_gt_u32_e32 vcc, s26, v3
                                        ; implicit-def: $vgpr3
	s_and_saveexec_b64 s[16:17], vcc
	s_cbranch_execz .LBB20_7
; %bb.6:
	global_load_ubyte v3, v0, s[14:15] offset:256
.LBB20_7:
	s_or_b64 exec, exec, s[16:17]
	v_or_b32_e32 v4, 0x180, v0
	v_cmp_gt_u32_e32 vcc, s26, v4
                                        ; implicit-def: $vgpr4
	s_and_saveexec_b64 s[16:17], vcc
	s_cbranch_execz .LBB20_9
; %bb.8:
	global_load_ubyte v4, v0, s[14:15] offset:384
.LBB20_9:
	s_or_b64 exec, exec, s[16:17]
	v_or_b32_e32 v5, 0x200, v0
	v_cmp_gt_u32_e32 vcc, s26, v5
                                        ; implicit-def: $vgpr5
	s_and_saveexec_b64 s[16:17], vcc
	s_cbranch_execz .LBB20_11
; %bb.10:
	global_load_ubyte v5, v0, s[14:15] offset:512
.LBB20_11:
	s_or_b64 exec, exec, s[16:17]
	v_or_b32_e32 v6, 0x280, v0
	v_cmp_gt_u32_e32 vcc, s26, v6
                                        ; implicit-def: $vgpr6
	s_and_saveexec_b64 s[16:17], vcc
	s_cbranch_execz .LBB20_13
; %bb.12:
	global_load_ubyte v6, v0, s[14:15] offset:640
.LBB20_13:
	s_or_b64 exec, exec, s[16:17]
	v_or_b32_e32 v7, 0x300, v0
	v_cmp_gt_u32_e32 vcc, s26, v7
                                        ; implicit-def: $vgpr7
	s_and_saveexec_b64 s[16:17], vcc
	s_cbranch_execz .LBB20_15
; %bb.14:
	global_load_ubyte v7, v0, s[14:15] offset:768
.LBB20_15:
	s_or_b64 exec, exec, s[16:17]
	v_or_b32_e32 v8, 0x380, v0
	v_cmp_gt_u32_e32 vcc, s26, v8
                                        ; implicit-def: $vgpr8
	s_and_saveexec_b64 s[16:17], vcc
	s_cbranch_execz .LBB20_17
; %bb.16:
	global_load_ubyte v8, v0, s[14:15] offset:896
.LBB20_17:
	s_or_b64 exec, exec, s[16:17]
	v_or_b32_e32 v9, 0x400, v0
	v_cmp_gt_u32_e32 vcc, s26, v9
                                        ; implicit-def: $vgpr9
	s_and_saveexec_b64 s[16:17], vcc
	s_cbranch_execz .LBB20_19
; %bb.18:
	global_load_ubyte v9, v0, s[14:15] offset:1024
.LBB20_19:
	s_or_b64 exec, exec, s[16:17]
	v_or_b32_e32 v10, 0x480, v0
	v_cmp_gt_u32_e32 vcc, s26, v10
                                        ; implicit-def: $vgpr10
	s_and_saveexec_b64 s[16:17], vcc
	s_cbranch_execz .LBB20_21
; %bb.20:
	global_load_ubyte v10, v0, s[14:15] offset:1152
.LBB20_21:
	s_or_b64 exec, exec, s[16:17]
	v_or_b32_e32 v11, 0x500, v0
	v_cmp_gt_u32_e32 vcc, s26, v11
                                        ; implicit-def: $vgpr11
	s_and_saveexec_b64 s[16:17], vcc
	s_cbranch_execz .LBB20_23
; %bb.22:
	global_load_ubyte v11, v0, s[14:15] offset:1280
.LBB20_23:
	s_or_b64 exec, exec, s[16:17]
	v_or_b32_e32 v12, 0x580, v0
	v_cmp_gt_u32_e32 vcc, s26, v12
                                        ; implicit-def: $vgpr12
	s_and_saveexec_b64 s[16:17], vcc
	s_cbranch_execz .LBB20_25
; %bb.24:
	global_load_ubyte v12, v0, s[14:15] offset:1408
.LBB20_25:
	s_or_b64 exec, exec, s[16:17]
	v_or_b32_e32 v13, 0x600, v0
	v_cmp_gt_u32_e32 vcc, s26, v13
                                        ; implicit-def: $vgpr13
	s_and_saveexec_b64 s[16:17], vcc
	s_cbranch_execz .LBB20_27
; %bb.26:
	global_load_ubyte v13, v0, s[14:15] offset:1536
.LBB20_27:
	s_or_b64 exec, exec, s[16:17]
	v_or_b32_e32 v14, 0x680, v0
	v_cmp_gt_u32_e32 vcc, s26, v14
                                        ; implicit-def: $vgpr14
	s_and_saveexec_b64 s[16:17], vcc
	s_cbranch_execz .LBB20_29
; %bb.28:
	global_load_ubyte v14, v0, s[14:15] offset:1664
.LBB20_29:
	s_or_b64 exec, exec, s[16:17]
	v_or_b32_e32 v15, 0x700, v0
	v_cmp_gt_u32_e32 vcc, s26, v15
                                        ; implicit-def: $vgpr15
	s_and_saveexec_b64 s[16:17], vcc
	s_cbranch_execz .LBB20_31
; %bb.30:
	global_load_ubyte v15, v0, s[14:15] offset:1792
.LBB20_31:
	s_or_b64 exec, exec, s[16:17]
	v_or_b32_e32 v16, 0x780, v0
	v_cmp_gt_u32_e32 vcc, s26, v16
                                        ; implicit-def: $vgpr16
	s_and_saveexec_b64 s[16:17], vcc
	s_cbranch_execz .LBB20_33
; %bb.32:
	global_load_ubyte v16, v0, s[14:15] offset:1920
.LBB20_33:
	s_or_b64 exec, exec, s[16:17]
	v_or_b32_e32 v17, 0x800, v0
	v_cmp_gt_u32_e32 vcc, s26, v17
                                        ; implicit-def: $vgpr17
	s_and_saveexec_b64 s[16:17], vcc
	s_cbranch_execz .LBB20_35
; %bb.34:
	global_load_ubyte v17, v0, s[14:15] offset:2048
.LBB20_35:
	s_or_b64 exec, exec, s[16:17]
	v_or_b32_e32 v18, 0x880, v0
	v_cmp_gt_u32_e32 vcc, s26, v18
                                        ; implicit-def: $vgpr18
	s_and_saveexec_b64 s[16:17], vcc
	s_cbranch_execz .LBB20_37
; %bb.36:
	global_load_ubyte v18, v0, s[14:15] offset:2176
.LBB20_37:
	s_or_b64 exec, exec, s[16:17]
	v_or_b32_e32 v19, 0x900, v0
	v_cmp_gt_u32_e32 vcc, s26, v19
                                        ; implicit-def: $vgpr19
	s_and_saveexec_b64 s[16:17], vcc
	s_cbranch_execz .LBB20_39
; %bb.38:
	global_load_ubyte v19, v0, s[14:15] offset:2304
.LBB20_39:
	s_or_b64 exec, exec, s[16:17]
	v_or_b32_e32 v20, 0x980, v0
	v_cmp_gt_u32_e32 vcc, s26, v20
                                        ; implicit-def: $vgpr20
	s_and_saveexec_b64 s[16:17], vcc
	s_cbranch_execz .LBB20_41
; %bb.40:
	global_load_ubyte v20, v0, s[14:15] offset:2432
.LBB20_41:
	s_or_b64 exec, exec, s[16:17]
	v_or_b32_e32 v21, 0xa00, v0
	v_cmp_gt_u32_e32 vcc, s26, v21
                                        ; implicit-def: $vgpr21
	s_and_saveexec_b64 s[16:17], vcc
	s_cbranch_execz .LBB20_43
; %bb.42:
	global_load_ubyte v21, v0, s[14:15] offset:2560
.LBB20_43:
	s_or_b64 exec, exec, s[16:17]
	v_or_b32_e32 v22, 0xa80, v0
	v_cmp_gt_u32_e32 vcc, s26, v22
                                        ; implicit-def: $vgpr22
	s_and_saveexec_b64 s[16:17], vcc
	s_cbranch_execz .LBB20_45
; %bb.44:
	global_load_ubyte v22, v0, s[14:15] offset:2688
.LBB20_45:
	s_or_b64 exec, exec, s[16:17]
	v_or_b32_e32 v23, 0xb00, v0
	v_cmp_gt_u32_e32 vcc, s26, v23
                                        ; implicit-def: $vgpr23
	s_and_saveexec_b64 s[16:17], vcc
	s_cbranch_execz .LBB20_47
; %bb.46:
	global_load_ubyte v23, v0, s[14:15] offset:2816
.LBB20_47:
	s_or_b64 exec, exec, s[16:17]
	s_mov_b64 s[14:15], 0
	s_waitcnt vmcnt(0)
	ds_write_b8 v0, v1
	ds_write_b8 v0, v2 offset:128
	ds_write_b8 v0, v3 offset:256
	;; [unrolled: 1-line block ×22, first 2 shown]
	s_waitcnt lgkmcnt(0)
	s_barrier
.LBB20_48:
	s_and_b64 vcc, exec, s[14:15]
	s_cbranch_vccz .LBB20_50
; %bb.49:
	s_add_u32 s14, s3, s24
	s_addc_u32 s15, s25, 0
	global_load_ubyte v1, v0, s[14:15]
	global_load_ubyte v2, v0, s[14:15] offset:128
	global_load_ubyte v3, v0, s[14:15] offset:256
	;; [unrolled: 1-line block ×22, first 2 shown]
	s_waitcnt vmcnt(22)
	ds_write_b8 v0, v1
	s_waitcnt vmcnt(21)
	ds_write_b8 v0, v2 offset:128
	s_waitcnt vmcnt(20)
	ds_write_b8 v0, v3 offset:256
	;; [unrolled: 2-line block ×22, first 2 shown]
	s_waitcnt lgkmcnt(0)
	s_barrier
.LBB20_50:
	v_mul_u32_u24_e32 v1, 23, v0
	ds_read_b96 v[2:4], v1 offset:9
	ds_read_u8 v5, v1
	ds_read_b64 v[6:7], v1 offset:1
	ds_read_u8 v8, v1 offset:21
	ds_read_u8 v1, v1 offset:22
	s_mov_b32 s3, 0x70605
	s_waitcnt lgkmcnt(4)
	v_perm_b32 v12, v3, v4, s3
	v_perm_b32 v10, v2, v3, s3
	v_lshrrev_b32_e32 v3, 8, v4
	v_lshrrev_b32_e32 v9, 16, v4
	;; [unrolled: 1-line block ×3, first 2 shown]
	s_cmp_eq_u64 s[10:11], 0
	s_waitcnt lgkmcnt(0)
	s_barrier
	s_cbranch_scc1 .LBB20_55
; %bb.51:
	s_add_u32 s3, s4, s6
	s_addc_u32 s4, s5, s7
	s_add_u32 s2, s3, s2
	s_addc_u32 s3, s4, 0
	v_mov_b32_e32 v4, 0
	global_load_ubyte v23, v4, s[2:3] offset:-1
	s_cmp_eq_u64 s[10:11], s[12:13]
	s_cbranch_scc1 .LBB20_56
; %bb.52:
	v_cmp_ne_u32_e32 vcc, 0, v0
	s_waitcnt vmcnt(0)
	v_mov_b32_e32 v4, v23
	ds_write_b8 v0, v1
	s_waitcnt lgkmcnt(0)
	s_barrier
	s_and_saveexec_b64 s[2:3], vcc
	s_cbranch_execz .LBB20_54
; %bb.53:
	v_add_u32_e32 v4, -1, v0
	ds_read_u8 v4, v4
.LBB20_54:
	s_or_b64 exec, exec, s[2:3]
	v_lshrrev_b32_e32 v13, 16, v10
	v_lshlrev_b16_e32 v17, 8, v13
	v_lshrrev_b32_e32 v13, 16, v6
	v_lshlrev_b16_e32 v16, 8, v10
	v_lshlrev_b16_e32 v19, 8, v6
	;; [unrolled: 1-line block ×3, first 2 shown]
	v_mov_b32_e32 v21, 8
	v_lshrrev_b32_sdwa v19, v21, v19 dst_sel:BYTE_1 dst_unused:UNUSED_PAD src0_sel:DWORD src1_sel:DWORD
	v_lshrrev_b32_sdwa v20, v21, v20 dst_sel:BYTE_1 dst_unused:UNUSED_PAD src0_sel:DWORD src1_sel:DWORD
	;; [unrolled: 1-line block ×4, first 2 shown]
	s_mov_b32 s2, 0x2010007
	v_or_b32_sdwa v19, v5, v19 dst_sel:DWORD dst_unused:UNUSED_PAD src0_sel:BYTE_0 src1_sel:DWORD
	v_or_b32_sdwa v20, v6, v20 dst_sel:WORD_1 dst_unused:UNUSED_PAD src0_sel:BYTE_1 src1_sel:DWORD
	v_or_b32_sdwa v16, v2, v16 dst_sel:DWORD dst_unused:UNUSED_PAD src0_sel:BYTE_0 src1_sel:DWORD
	v_or_b32_sdwa v17, v10, v17 dst_sel:WORD_1 dst_unused:UNUSED_PAD src0_sel:BYTE_1 src1_sel:DWORD
	s_waitcnt lgkmcnt(0)
	v_sub_u16_e32 v13, v5, v4
	v_perm_b32 v4, v6, v7, s2
	v_lshrrev_b32_e32 v15, 24, v7
	v_perm_b32 v18, v10, v12, s2
	v_lshrrev_b32_e32 v14, 24, v12
	v_or_b32_sdwa v22, v19, v20 dst_sel:DWORD dst_unused:UNUSED_PAD src0_sel:WORD_0 src1_sel:DWORD
	v_or_b32_sdwa v21, v16, v17 dst_sel:DWORD dst_unused:UNUSED_PAD src0_sel:WORD_0 src1_sel:DWORD
	s_mov_b64 s[2:3], 0
	s_branch .LBB20_57
.LBB20_55:
                                        ; implicit-def: $vgpr18
                                        ; implicit-def: $vgpr21
                                        ; implicit-def: $vgpr4
                                        ; implicit-def: $vgpr22
                                        ; implicit-def: $vgpr13
                                        ; implicit-def: $vgpr15
                                        ; implicit-def: $vgpr14
                                        ; implicit-def: $vgpr20
                                        ; implicit-def: $vgpr19
                                        ; implicit-def: $vgpr17
                                        ; implicit-def: $vgpr16
	s_branch .LBB20_62
.LBB20_56:
	s_mov_b64 s[2:3], -1
                                        ; implicit-def: $vgpr18
                                        ; implicit-def: $vgpr21
                                        ; implicit-def: $vgpr4
                                        ; implicit-def: $vgpr22
                                        ; implicit-def: $vgpr13
                                        ; implicit-def: $vgpr15
                                        ; implicit-def: $vgpr14
.LBB20_57:
	s_and_b64 vcc, exec, s[2:3]
	v_mov_b32_e32 v20, v3
	v_mov_b32_e32 v19, v9
	;; [unrolled: 1-line block ×4, first 2 shown]
	s_cbranch_vccz .LBB20_61
; %bb.58:
	v_mul_u32_u24_e32 v4, 23, v0
	v_cmp_ne_u32_e32 vcc, 0, v0
	ds_write_b8 v0, v1
	s_waitcnt lgkmcnt(0)
	s_barrier
	s_and_saveexec_b64 s[2:3], vcc
	s_cbranch_execz .LBB20_60
; %bb.59:
	v_add_u32_e32 v13, -1, v0
	s_waitcnt vmcnt(0)
	ds_read_u8 v23, v13
.LBB20_60:
	s_or_b64 exec, exec, s[2:3]
	s_mul_i32 s2, s10, 0xfffff480
	s_add_i32 s2, s2, s22
	v_add_u32_e32 v14, 22, v4
	v_cmp_gt_u32_e32 vcc, s2, v14
	v_add_u32_e32 v14, 21, v4
	v_lshrrev_b32_e32 v29, 24, v12
	v_cndmask_b32_e32 v16, 0, v8, vcc
	v_cmp_gt_u32_e32 vcc, s2, v14
	v_add_u32_e32 v14, 20, v4
	v_lshrrev_b16_e32 v22, 8, v12
	v_cndmask_b32_e32 v17, 0, v11, vcc
	v_cmp_gt_u32_e32 vcc, s2, v14
	v_add_u32_e32 v14, 19, v4
	v_add_u32_e32 v30, 17, v4
	v_cndmask_b32_e32 v19, 0, v9, vcc
	v_cmp_gt_u32_e32 vcc, s2, v14
	v_add_u32_e32 v14, 18, v4
	v_lshrrev_b32_e32 v21, 16, v12
	v_cndmask_b32_e32 v20, 0, v3, vcc
	v_cmp_gt_u32_e32 vcc, s2, v14
	v_add_u32_e32 v31, 14, v4
	v_lshrrev_b32_e32 v18, 24, v10
	v_cndmask_b32_e32 v14, 0, v29, vcc
	v_add_u32_e32 v29, 16, v4
	v_cmp_gt_u32_e32 vcc, s2, v29
	v_add_u32_e32 v32, 15, v4
	v_add_u32_e32 v33, 12, v4
	v_cndmask_b32_e32 v29, 0, v22, vcc
	v_cmp_gt_u32_e32 vcc, s2, v30
	v_mov_b32_e32 v30, 8
	v_lshrrev_b16_e32 v15, 8, v10
	v_cndmask_b32_e32 v21, 0, v21, vcc
	v_cmp_gt_u32_e32 vcc, s2, v31
	v_lshlrev_b16_e32 v21, 8, v21
	v_lshrrev_b32_sdwa v37, v30, v21 dst_sel:BYTE_1 dst_unused:UNUSED_PAD src0_sel:DWORD src1_sel:DWORD
	v_cndmask_b32_e32 v18, 0, v18, vcc
	v_cmp_gt_u32_e32 vcc, s2, v32
	v_add_u32_e32 v34, 13, v4
	v_lshrrev_b32_e32 v13, 16, v10
	v_cndmask_b32_e32 v21, 0, v12, vcc
	v_lshlrev_b16_e32 v21, 8, v21
	v_cmp_gt_u32_e32 vcc, s2, v33
	v_add_u32_e32 v35, 11, v4
	v_lshrrev_b32_sdwa v31, v30, v21 dst_sel:BYTE_1 dst_unused:UNUSED_PAD src0_sel:DWORD src1_sel:DWORD
	v_cndmask_b32_e32 v21, 0, v15, vcc
	v_cmp_gt_u32_e32 vcc, s2, v34
	v_add_u32_e32 v36, 10, v4
	v_lshrrev_b32_e32 v15, 24, v7
	v_cndmask_b32_e32 v13, 0, v13, vcc
	v_cmp_gt_u32_e32 vcc, s2, v35
	v_lshlrev_b16_e32 v32, 8, v13
	v_lshrrev_b16_e32 v28, 8, v7
	v_cndmask_b32_e32 v13, 0, v10, vcc
	v_lshlrev_b16_e32 v33, 8, v13
	v_cmp_gt_u32_e32 vcc, s2, v36
	v_add_u32_e32 v13, 9, v4
	v_add_u32_e32 v22, 8, v4
	v_cndmask_b32_e32 v34, 0, v2, vcc
	v_cmp_gt_u32_e32 vcc, s2, v13
	v_add_u32_e32 v13, 7, v4
	v_lshrrev_b32_e32 v27, 16, v7
	v_cndmask_b32_e32 v15, 0, v15, vcc
	v_cmp_gt_u32_e32 vcc, s2, v13
	v_add_u32_e32 v35, 5, v4
	v_lshrrev_b32_e32 v26, 24, v6
	v_cndmask_b32_e32 v28, 0, v28, vcc
	v_cmp_gt_u32_e32 vcc, s2, v22
	v_add_u32_e32 v36, 6, v4
	v_add_u32_e32 v38, 3, v4
	v_cndmask_b32_e32 v13, 0, v27, vcc
	v_cmp_gt_u32_e32 vcc, s2, v35
	v_lshlrev_b16_e32 v13, 8, v13
	v_lshrrev_b16_e32 v25, 8, v6
	v_cndmask_b32_e32 v26, 0, v26, vcc
	v_cmp_gt_u32_e32 vcc, s2, v36
	v_add_u32_e32 v39, 4, v4
	v_lshrrev_b32_sdwa v27, v30, v13 dst_sel:BYTE_1 dst_unused:UNUSED_PAD src0_sel:DWORD src1_sel:DWORD
	v_cndmask_b32_e32 v13, 0, v7, vcc
	v_cmp_gt_u32_e32 vcc, s2, v38
	v_lshrrev_b32_e32 v24, 16, v6
	v_add_u32_e32 v40, 2, v4
	v_lshlrev_b16_e32 v13, 8, v13
	v_cndmask_b32_e32 v22, 0, v25, vcc
	v_cmp_gt_u32_e32 vcc, s2, v39
	v_add_u32_e32 v41, 1, v4
	v_lshrrev_b32_sdwa v35, v30, v13 dst_sel:BYTE_1 dst_unused:UNUSED_PAD src0_sel:DWORD src1_sel:DWORD
	v_cndmask_b32_e32 v13, 0, v24, vcc
	v_cmp_gt_u32_e32 vcc, s2, v40
	v_lshlrev_b16_e32 v24, 8, v13
	v_or_b32_e32 v18, v18, v31
	v_cndmask_b32_e32 v13, 0, v6, vcc
	v_cmp_gt_u32_e32 vcc, s2, v41
	v_lshlrev_b16_e32 v25, 8, v13
	s_nop 0
	v_cndmask_b32_e32 v36, 0, v5, vcc
	v_cmp_gt_u32_e32 vcc, s2, v4
	s_waitcnt vmcnt(0) lgkmcnt(0)
	s_nop 0
	v_cndmask_b32_e32 v4, 0, v23, vcc
	v_sub_u16_e32 v13, v5, v4
	v_lshrrev_b32_sdwa v4, v30, v25 dst_sel:BYTE_1 dst_unused:UNUSED_PAD src0_sel:DWORD src1_sel:DWORD
	v_lshrrev_b32_sdwa v23, v30, v24 dst_sel:BYTE_1 dst_unused:UNUSED_PAD src0_sel:DWORD src1_sel:DWORD
	v_or_b32_sdwa v4, v36, v4 dst_sel:DWORD dst_unused:UNUSED_PAD src0_sel:BYTE_0 src1_sel:DWORD
	v_or_b32_sdwa v22, v22, v23 dst_sel:WORD_1 dst_unused:UNUSED_PAD src0_sel:DWORD src1_sel:DWORD
	v_or_b32_sdwa v23, v28, v27 dst_sel:WORD_1 dst_unused:UNUSED_PAD src0_sel:DWORD src1_sel:DWORD
	v_or_b32_sdwa v22, v4, v22 dst_sel:DWORD dst_unused:UNUSED_PAD src0_sel:WORD_0 src1_sel:DWORD
	v_or_b32_e32 v4, v26, v35
	v_or_b32_sdwa v4, v4, v23 dst_sel:DWORD dst_unused:UNUSED_PAD src0_sel:WORD_0 src1_sel:DWORD
	v_lshrrev_b32_sdwa v23, v30, v33 dst_sel:BYTE_1 dst_unused:UNUSED_PAD src0_sel:DWORD src1_sel:DWORD
	v_lshrrev_b32_sdwa v24, v30, v32 dst_sel:BYTE_1 dst_unused:UNUSED_PAD src0_sel:DWORD src1_sel:DWORD
	v_or_b32_sdwa v23, v34, v23 dst_sel:DWORD dst_unused:UNUSED_PAD src0_sel:BYTE_0 src1_sel:DWORD
	v_or_b32_sdwa v21, v21, v24 dst_sel:WORD_1 dst_unused:UNUSED_PAD src0_sel:DWORD src1_sel:DWORD
	s_nop 0
	v_or_b32_sdwa v21, v23, v21 dst_sel:DWORD dst_unused:UNUSED_PAD src0_sel:WORD_0 src1_sel:DWORD
	v_or_b32_sdwa v23, v29, v37 dst_sel:WORD_1 dst_unused:UNUSED_PAD src0_sel:DWORD src1_sel:DWORD
	s_nop 0
	v_or_b32_sdwa v18, v18, v23 dst_sel:DWORD dst_unused:UNUSED_PAD src0_sel:WORD_0 src1_sel:DWORD
.LBB20_61:
	s_cbranch_execnz .LBB20_71
.LBB20_62:
	s_cmp_eq_u64 s[8:9], 1
	v_cmp_ne_u32_e32 vcc, 0, v0
	s_cbranch_scc1 .LBB20_66
; %bb.63:
	v_lshlrev_b16_e32 v4, 8, v10
	v_lshrrev_b32_e32 v13, 16, v10
	v_lshlrev_b16_e32 v14, 8, v6
	v_lshrrev_b32_e32 v15, 16, v6
	v_mov_b32_e32 v18, 8
	v_lshlrev_b16_e32 v13, 8, v13
	v_lshlrev_b16_e32 v15, 8, v15
	v_lshrrev_b32_sdwa v14, v18, v14 dst_sel:BYTE_1 dst_unused:UNUSED_PAD src0_sel:DWORD src1_sel:DWORD
	v_lshrrev_b32_sdwa v4, v18, v4 dst_sel:BYTE_1 dst_unused:UNUSED_PAD src0_sel:DWORD src1_sel:DWORD
	v_or_b32_sdwa v16, v5, v14 dst_sel:DWORD dst_unused:UNUSED_PAD src0_sel:BYTE_0 src1_sel:DWORD
	v_lshrrev_b32_sdwa v14, v18, v15 dst_sel:BYTE_1 dst_unused:UNUSED_PAD src0_sel:DWORD src1_sel:DWORD
	v_or_b32_sdwa v19, v2, v4 dst_sel:DWORD dst_unused:UNUSED_PAD src0_sel:BYTE_0 src1_sel:DWORD
	v_lshrrev_b32_sdwa v4, v18, v13 dst_sel:BYTE_1 dst_unused:UNUSED_PAD src0_sel:DWORD src1_sel:DWORD
	s_mov_b32 s4, 0x2010007
	v_or_b32_sdwa v17, v6, v14 dst_sel:WORD_1 dst_unused:UNUSED_PAD src0_sel:BYTE_1 src1_sel:DWORD
	v_or_b32_sdwa v20, v10, v4 dst_sel:WORD_1 dst_unused:UNUSED_PAD src0_sel:BYTE_1 src1_sel:DWORD
	v_mov_b32_e32 v13, v5
	ds_write_b8 v0, v1
	s_waitcnt lgkmcnt(0)
	s_barrier
	s_and_saveexec_b64 s[2:3], vcc
	s_cbranch_execz .LBB20_65
; %bb.64:
	v_add_u32_e32 v4, -1, v0
	ds_read_u8 v4, v4
	s_waitcnt lgkmcnt(0)
	v_sub_u16_e32 v13, v5, v4
.LBB20_65:
	s_or_b64 exec, exec, s[2:3]
	v_perm_b32 v4, v6, v7, s4
	v_lshrrev_b32_e32 v15, 24, v7
	v_perm_b32 v18, v10, v12, s4
	v_lshrrev_b32_e32 v14, 24, v12
	v_or_b32_sdwa v22, v16, v17 dst_sel:DWORD dst_unused:UNUSED_PAD src0_sel:WORD_0 src1_sel:DWORD
	v_or_b32_sdwa v21, v19, v20 dst_sel:DWORD dst_unused:UNUSED_PAD src0_sel:WORD_0 src1_sel:DWORD
	s_mov_b64 s[2:3], 0
	s_branch .LBB20_67
.LBB20_66:
	s_mov_b64 s[2:3], -1
                                        ; implicit-def: $vgpr18
                                        ; implicit-def: $vgpr21
                                        ; implicit-def: $vgpr4
                                        ; implicit-def: $vgpr22
                                        ; implicit-def: $vgpr13
                                        ; implicit-def: $vgpr15
                                        ; implicit-def: $vgpr14
.LBB20_67:
	s_andn2_b64 vcc, exec, s[2:3]
	v_mov_b32_e32 v20, v3
	v_mov_b32_e32 v19, v9
	;; [unrolled: 1-line block ×4, first 2 shown]
	s_cbranch_vccnz .LBB20_71
; %bb.68:
	v_mad_u32_u24 v24, v0, 23, 16
	v_lshrrev_b16_e32 v17, 8, v12
	v_mad_u32_u24 v25, v0, 23, 17
	v_cmp_gt_u32_e64 s[10:11], s22, v24
	v_lshrrev_b32_e32 v16, 16, v12
	v_mad_u32_u24 v26, v0, 23, 14
	v_cndmask_b32_e64 v17, 0, v17, s[10:11]
	v_cmp_gt_u32_e64 s[10:11], s22, v25
	v_lshrrev_b32_e32 v15, 24, v10
	v_mad_u32_u24 v27, v0, 23, 15
	v_cndmask_b32_e64 v16, 0, v16, s[10:11]
	v_cmp_gt_u32_e64 s[10:11], s22, v26
	v_mad_u32_u24 v28, v0, 23, 12
	v_mov_b32_e32 v32, 8
	v_cndmask_b32_e64 v15, 0, v15, s[10:11]
	v_cmp_gt_u32_e64 s[10:11], s22, v27
	v_lshrrev_b16_e32 v14, 8, v10
	v_mad_u32_u24 v29, v0, 23, 13
	v_cndmask_b32_e64 v24, 0, v12, s[10:11]
	v_lshlrev_b16_e32 v24, 8, v24
	v_lshrrev_b32_sdwa v27, v32, v24 dst_sel:BYTE_1 dst_unused:UNUSED_PAD src0_sel:DWORD src1_sel:DWORD
	v_cmp_gt_u32_e64 s[10:11], s22, v28
	v_mad_u32_u24 v24, v0, 23, 7
	v_lshrrev_b32_e32 v13, 16, v10
	v_lshrrev_b16_e32 v22, 8, v7
	v_mad_u32_u24 v30, v0, 23, 11
	v_cndmask_b32_e64 v14, 0, v14, s[10:11]
	v_cmp_gt_u32_e64 s[10:11], s22, v29
	v_mad_u32_u24 v29, v0, 23, 8
	v_cmp_gt_u32_e64 s[12:13], s22, v24
	v_lshrrev_b32_e32 v21, 16, v7
	v_mad_u32_u24 v31, v0, 23, 10
	v_cndmask_b32_e64 v13, 0, v13, s[10:11]
	v_cmp_gt_u32_e64 s[10:11], s22, v30
	v_mad_u32_u24 v30, v0, 23, 5
	v_cndmask_b32_e64 v22, 0, v22, s[12:13]
	v_cmp_gt_u32_e64 s[12:13], s22, v29
	v_lshrrev_b32_e32 v20, 24, v6
	v_lshlrev_b16_e32 v26, 8, v13
	v_cndmask_b32_e64 v13, 0, v10, s[10:11]
	v_cmp_gt_u32_e64 s[10:11], s22, v31
	v_mad_u32_u24 v31, v0, 23, 6
	v_cndmask_b32_e64 v21, 0, v21, s[12:13]
	v_cmp_gt_u32_e64 s[12:13], s22, v30
	v_mad_u32_u24 v33, v0, 23, 3
	v_lshlrev_b16_e32 v21, 8, v21
	v_cndmask_b32_e64 v20, 0, v20, s[12:13]
	v_cmp_gt_u32_e64 s[12:13], s22, v31
	v_lshrrev_b16_e32 v19, 8, v6
	v_mad_u32_u24 v34, v0, 23, 4
	v_lshrrev_b32_sdwa v24, v32, v21 dst_sel:BYTE_1 dst_unused:UNUSED_PAD src0_sel:DWORD src1_sel:DWORD
	v_cndmask_b32_e64 v21, 0, v7, s[12:13]
	v_cmp_gt_u32_e64 s[12:13], s22, v33
	v_lshrrev_b32_e32 v18, 16, v6
	v_mad_u32_u24 v4, v0, 23, 22
	v_cndmask_b32_e64 v19, 0, v19, s[12:13]
	v_cmp_gt_u32_e64 s[12:13], s22, v34
	v_mad_u32_u24 v35, v0, 23, 2
	v_lshlrev_b16_e32 v21, 8, v21
	v_cndmask_b32_e64 v18, 0, v18, s[12:13]
	v_cmp_gt_u32_e32 vcc, s22, v4
	v_mad_u32_u24 v4, v0, 23, 21
	v_lshrrev_b32_sdwa v29, v32, v21 dst_sel:BYTE_1 dst_unused:UNUSED_PAD src0_sel:DWORD src1_sel:DWORD
	v_lshlrev_b16_e32 v21, 8, v18
	v_cmp_gt_u32_e64 s[12:13], s22, v35
	v_cmp_gt_u32_e64 s[2:3], s22, v4
	v_mad_u32_u24 v4, v0, 23, 20
	v_lshlrev_b16_e32 v25, 8, v13
	v_mad_u32_u24 v36, v0, 23, 1
	v_cndmask_b32_e64 v18, 0, v6, s[12:13]
	v_lshrrev_b32_sdwa v21, v32, v21 dst_sel:BYTE_1 dst_unused:UNUSED_PAD src0_sel:DWORD src1_sel:DWORD
	s_waitcnt vmcnt(0)
	v_mul_u32_u24_e32 v23, 23, v0
	v_cmp_gt_u32_e64 s[4:5], s22, v4
	v_mad_u32_u24 v4, v0, 23, 19
	v_lshlrev_b16_e32 v16, 8, v16
	v_cndmask_b32_e64 v28, 0, v2, s[10:11]
	v_lshlrev_b16_e32 v18, 8, v18
	v_cmp_gt_u32_e64 s[12:13], s22, v36
	v_or_b32_sdwa v21, v19, v21 dst_sel:WORD_1 dst_unused:UNUSED_PAD src0_sel:DWORD src1_sel:DWORD
	v_lshrrev_b32_sdwa v19, v32, v25 dst_sel:BYTE_1 dst_unused:UNUSED_PAD src0_sel:DWORD src1_sel:DWORD
	v_cmp_gt_u32_e64 s[6:7], s22, v4
	v_mad_u32_u24 v4, v0, 23, 18
	v_lshrrev_b32_sdwa v16, v32, v16 dst_sel:BYTE_1 dst_unused:UNUSED_PAD src0_sel:DWORD src1_sel:DWORD
	v_mad_u32_u24 v13, v0, 23, 9
	v_cndmask_b32_e64 v30, 0, v5, s[12:13]
	v_cmp_ne_u32_e64 s[12:13], 0, v0
	v_cmp_gt_u32_e64 s[14:15], s22, v23
	v_lshrrev_b32_sdwa v18, v32, v18 dst_sel:BYTE_1 dst_unused:UNUSED_PAD src0_sel:DWORD src1_sel:DWORD
	v_or_b32_sdwa v25, v28, v19 dst_sel:DWORD dst_unused:UNUSED_PAD src0_sel:BYTE_0 src1_sel:DWORD
	v_lshrrev_b32_sdwa v19, v32, v26 dst_sel:BYTE_1 dst_unused:UNUSED_PAD src0_sel:DWORD src1_sel:DWORD
	v_cmp_gt_u32_e64 s[8:9], s22, v4
	v_lshrrev_b32_e32 v4, 24, v12
	v_cmp_gt_u32_e64 s[10:11], s22, v13
	v_lshrrev_b32_e32 v13, 24, v7
	s_and_b64 s[14:15], s[12:13], s[14:15]
	v_or_b32_sdwa v18, v30, v18 dst_sel:DWORD dst_unused:UNUSED_PAD src0_sel:BYTE_0 src1_sel:DWORD
	v_or_b32_e32 v23, v20, v29
	v_or_b32_sdwa v24, v22, v24 dst_sel:WORD_1 dst_unused:UNUSED_PAD src0_sel:DWORD src1_sel:DWORD
	v_or_b32_sdwa v26, v14, v19 dst_sel:WORD_1 dst_unused:UNUSED_PAD src0_sel:DWORD src1_sel:DWORD
	v_or_b32_e32 v27, v15, v27
	v_or_b32_sdwa v28, v17, v16 dst_sel:WORD_1 dst_unused:UNUSED_PAD src0_sel:DWORD src1_sel:DWORD
	ds_write_b8 v0, v1
	s_waitcnt lgkmcnt(0)
	s_barrier
	s_and_saveexec_b64 s[12:13], s[14:15]
	s_cbranch_execz .LBB20_70
; %bb.69:
	v_add_u32_e32 v14, -1, v0
	ds_read_u8 v14, v14
	s_waitcnt lgkmcnt(0)
	v_sub_u16_e32 v5, v5, v14
.LBB20_70:
	s_or_b64 exec, exec, s[12:13]
	v_cndmask_b32_e32 v16, 0, v8, vcc
	v_cndmask_b32_e64 v17, 0, v11, s[2:3]
	v_cndmask_b32_e64 v19, 0, v9, s[4:5]
	;; [unrolled: 1-line block ×5, first 2 shown]
	v_or_b32_sdwa v22, v18, v21 dst_sel:DWORD dst_unused:UNUSED_PAD src0_sel:WORD_0 src1_sel:DWORD
	v_or_b32_sdwa v4, v23, v24 dst_sel:DWORD dst_unused:UNUSED_PAD src0_sel:WORD_0 src1_sel:DWORD
	;; [unrolled: 1-line block ×4, first 2 shown]
	v_mov_b32_e32 v13, v5
.LBB20_71:
	v_sub_u16_sdwa v5, v7, v4 dst_sel:BYTE_1 dst_unused:UNUSED_PAD src0_sel:BYTE_3 src1_sel:BYTE_3
	s_waitcnt vmcnt(0)
	v_sub_u16_sdwa v23, v7, v4 dst_sel:DWORD dst_unused:UNUSED_PAD src0_sel:WORD_1 src1_sel:WORD_1
	v_or_b32_sdwa v5, v23, v5 dst_sel:WORD_1 dst_unused:UNUSED_PAD src0_sel:BYTE_0 src1_sel:DWORD
	v_sub_u16_sdwa v23, v7, v4 dst_sel:BYTE_1 dst_unused:UNUSED_PAD src0_sel:BYTE_1 src1_sel:BYTE_1
	v_sub_u16_e32 v4, v7, v4
	v_or_b32_sdwa v4, v4, v23 dst_sel:DWORD dst_unused:UNUSED_PAD src0_sel:BYTE_0 src1_sel:DWORD
	v_or_b32_sdwa v5, v4, v5 dst_sel:DWORD dst_unused:UNUSED_PAD src0_sel:WORD_0 src1_sel:DWORD
	v_sub_u16_sdwa v4, v6, v22 dst_sel:BYTE_1 dst_unused:UNUSED_PAD src0_sel:BYTE_3 src1_sel:BYTE_3
	v_sub_u16_sdwa v7, v6, v22 dst_sel:DWORD dst_unused:UNUSED_PAD src0_sel:WORD_1 src1_sel:WORD_1
	v_or_b32_sdwa v4, v7, v4 dst_sel:WORD_1 dst_unused:UNUSED_PAD src0_sel:BYTE_0 src1_sel:DWORD
	v_sub_u16_sdwa v7, v6, v22 dst_sel:BYTE_1 dst_unused:UNUSED_PAD src0_sel:BYTE_1 src1_sel:BYTE_1
	v_sub_u16_e32 v6, v6, v22
	v_or_b32_sdwa v6, v6, v7 dst_sel:DWORD dst_unused:UNUSED_PAD src0_sel:BYTE_0 src1_sel:DWORD
	v_or_b32_sdwa v4, v6, v4 dst_sel:DWORD dst_unused:UNUSED_PAD src0_sel:WORD_0 src1_sel:DWORD
	v_sub_u16_e32 v6, v2, v15
	v_sub_u16_sdwa v2, v12, v18 dst_sel:BYTE_1 dst_unused:UNUSED_PAD src0_sel:BYTE_3 src1_sel:BYTE_3
	v_sub_u16_sdwa v7, v12, v18 dst_sel:DWORD dst_unused:UNUSED_PAD src0_sel:WORD_1 src1_sel:WORD_1
	v_or_b32_sdwa v2, v7, v2 dst_sel:WORD_1 dst_unused:UNUSED_PAD src0_sel:BYTE_0 src1_sel:DWORD
	v_sub_u16_sdwa v7, v12, v18 dst_sel:BYTE_1 dst_unused:UNUSED_PAD src0_sel:BYTE_1 src1_sel:BYTE_1
	v_sub_u16_e32 v12, v12, v18
	v_or_b32_sdwa v7, v12, v7 dst_sel:DWORD dst_unused:UNUSED_PAD src0_sel:BYTE_0 src1_sel:DWORD
	v_or_b32_sdwa v7, v7, v2 dst_sel:DWORD dst_unused:UNUSED_PAD src0_sel:WORD_0 src1_sel:DWORD
	v_sub_u16_sdwa v2, v10, v21 dst_sel:BYTE_1 dst_unused:UNUSED_PAD src0_sel:BYTE_3 src1_sel:BYTE_3
	v_sub_u16_sdwa v12, v10, v21 dst_sel:DWORD dst_unused:UNUSED_PAD src0_sel:WORD_1 src1_sel:WORD_1
	v_or_b32_sdwa v2, v12, v2 dst_sel:WORD_1 dst_unused:UNUSED_PAD src0_sel:BYTE_0 src1_sel:DWORD
	v_sub_u16_sdwa v12, v10, v21 dst_sel:BYTE_1 dst_unused:UNUSED_PAD src0_sel:BYTE_1 src1_sel:BYTE_1
	v_sub_u16_e32 v10, v10, v21
	v_or_b32_sdwa v10, v10, v12 dst_sel:DWORD dst_unused:UNUSED_PAD src0_sel:BYTE_0 src1_sel:DWORD
	s_add_u32 s4, s20, s18
	v_or_b32_sdwa v10, v10, v2 dst_sel:DWORD dst_unused:UNUSED_PAD src0_sel:WORD_0 src1_sel:DWORD
	v_sub_u16_e32 v2, v3, v14
	v_sub_u16_e32 v3, v11, v19
	s_addc_u32 s5, s21, s19
	v_sub_u16_e32 v12, v9, v20
	v_sub_u16_e32 v8, v8, v17
	;; [unrolled: 1-line block ×3, first 2 shown]
	s_and_b64 vcc, exec, s[0:1]
	v_mul_u32_u24_e32 v11, 23, v0
	v_lshrrev_b32_e32 v14, 8, v10
	v_lshrrev_b32_e32 v15, 16, v10
	v_lshlrev_b16_e32 v17, 8, v2
	v_lshlrev_b16_e32 v18, 8, v3
	;; [unrolled: 1-line block ×3, first 2 shown]
	s_barrier
	s_cbranch_vccz .LBB20_117
; %bb.72:
	v_or_b32_sdwa v1, v7, v17 dst_sel:DWORD dst_unused:UNUSED_PAD src0_sel:BYTE_3 src1_sel:DWORD
	v_or_b32_sdwa v2, v12, v18 dst_sel:WORD_1 dst_unused:UNUSED_PAD src0_sel:BYTE_0 src1_sel:DWORD
	s_mov_b32 s1, 0x2010007
	v_or_b32_sdwa v22, v1, v2 dst_sel:DWORD dst_unused:UNUSED_PAD src0_sel:WORD_0 src1_sel:DWORD
	v_lshlrev_b16_e32 v2, 8, v15
	v_or_b32_sdwa v1, v6, v16 dst_sel:DWORD dst_unused:UNUSED_PAD src0_sel:BYTE_0 src1_sel:DWORD
	v_or_b32_sdwa v2, v14, v2 dst_sel:WORD_1 dst_unused:UNUSED_PAD src0_sel:BYTE_0 src1_sel:DWORD
	v_perm_b32 v21, v10, v7, s1
	v_or_b32_sdwa v20, v1, v2 dst_sel:DWORD dst_unused:UNUSED_PAD src0_sel:WORD_0 src1_sel:DWORD
	ds_write_b8 v11, v13
	ds_write_b64 v11, v[4:5] offset:1
	ds_write_b96 v11, v[20:22] offset:9
	ds_write_b8 v11, v8 offset:21
	ds_write_b8 v11, v9 offset:22
	s_waitcnt lgkmcnt(0)
	s_barrier
	ds_read_u8 v40, v0 offset:128
	ds_read_u8 v39, v0 offset:256
	;; [unrolled: 1-line block ×22, first 2 shown]
	s_add_i32 s23, s23, s22
	s_add_u32 s0, s4, s24
	s_addc_u32 s1, s5, 0
	v_mov_b32_e32 v1, 0
	v_lshl_add_u64 v[2:3], s[0:1], 0, v[0:1]
	v_cmp_gt_u32_e32 vcc, s23, v0
	s_and_saveexec_b64 s[0:1], vcc
	s_cbranch_execz .LBB20_74
; %bb.73:
	ds_read_u8 v1, v0
	s_waitcnt lgkmcnt(0)
	global_store_byte v[2:3], v1, off
.LBB20_74:
	s_or_b64 exec, exec, s[0:1]
	v_or_b32_e32 v1, 0x80, v0
	v_cmp_gt_u32_e32 vcc, s23, v1
	s_and_saveexec_b64 s[0:1], vcc
	s_cbranch_execz .LBB20_76
; %bb.75:
	s_waitcnt lgkmcnt(14)
	global_store_byte v[2:3], v40, off offset:128
.LBB20_76:
	s_or_b64 exec, exec, s[0:1]
	v_or_b32_e32 v1, 0x100, v0
	v_cmp_gt_u32_e32 vcc, s23, v1
	s_and_saveexec_b64 s[0:1], vcc
	s_cbranch_execz .LBB20_78
; %bb.77:
	s_waitcnt lgkmcnt(14)
	global_store_byte v[2:3], v39, off offset:256
.LBB20_78:
	;; [unrolled: 9-line block ×21, first 2 shown]
	s_or_b64 exec, exec, s[0:1]
	v_or_b32_e32 v1, 0xb00, v0
	v_cmp_gt_u32_e64 s[0:1], s23, v1
	s_branch .LBB20_119
.LBB20_117:
	s_mov_b64 s[0:1], 0
                                        ; implicit-def: $vgpr19
                                        ; implicit-def: $vgpr2_vgpr3
	s_cbranch_execz .LBB20_119
; %bb.118:
	v_or_b32_sdwa v1, v7, v17 dst_sel:DWORD dst_unused:UNUSED_PAD src0_sel:BYTE_3 src1_sel:DWORD
	v_or_b32_sdwa v2, v12, v18 dst_sel:WORD_1 dst_unused:UNUSED_PAD src0_sel:BYTE_0 src1_sel:DWORD
	ds_write_b8 v11, v13
	ds_write_b64 v11, v[4:5] offset:1
	v_or_b32_sdwa v4, v1, v2 dst_sel:DWORD dst_unused:UNUSED_PAD src0_sel:WORD_0 src1_sel:DWORD
	v_lshlrev_b16_e32 v2, 8, v15
	s_add_u32 s2, s4, s24
	v_or_b32_sdwa v1, v6, v16 dst_sel:DWORD dst_unused:UNUSED_PAD src0_sel:BYTE_0 src1_sel:DWORD
	v_or_b32_sdwa v2, v14, v2 dst_sel:WORD_1 dst_unused:UNUSED_PAD src0_sel:BYTE_0 src1_sel:DWORD
	s_mov_b32 s4, 0x2010007
	v_or_b32_sdwa v2, v1, v2 dst_sel:DWORD dst_unused:UNUSED_PAD src0_sel:WORD_0 src1_sel:DWORD
	v_perm_b32 v3, v10, v7, s4
	ds_write_b96 v11, v[2:4] offset:9
	ds_write_b8 v11, v8 offset:21
	ds_write_b8 v11, v9 offset:22
	s_waitcnt lgkmcnt(0)
	s_barrier
	ds_read_u8 v4, v0
	ds_read_u8 v5, v0 offset:128
	ds_read_u8 v6, v0 offset:256
	;; [unrolled: 1-line block ×22, first 2 shown]
	s_addc_u32 s3, s5, 0
	v_mov_b32_e32 v1, 0
	v_lshl_add_u64 v[2:3], s[2:3], 0, v[0:1]
	s_or_b64 s[0:1], s[0:1], exec
	s_waitcnt lgkmcnt(14)
	global_store_byte v0, v4, s[2:3]
	global_store_byte v0, v5, s[2:3] offset:128
	global_store_byte v0, v6, s[2:3] offset:256
	;; [unrolled: 1-line block ×8, first 2 shown]
	s_waitcnt lgkmcnt(13)
	global_store_byte v0, v13, s[2:3] offset:1152
	s_waitcnt lgkmcnt(12)
	global_store_byte v0, v14, s[2:3] offset:1280
	;; [unrolled: 2-line block ×13, first 2 shown]
.LBB20_119:
	s_and_saveexec_b64 s[2:3], s[0:1]
	s_cbranch_execnz .LBB20_121
; %bb.120:
	s_endpgm
.LBB20_121:
	s_waitcnt lgkmcnt(0)
	global_store_byte v[2:3], v19, off offset:2816
	s_endpgm
	.section	.rodata,"a",@progbits
	.p2align	6, 0x0
	.amdhsa_kernel _ZN7rocprim17ROCPRIM_400000_NS6detail17trampoline_kernelINS0_14default_configENS1_35adjacent_difference_config_selectorILb1EaEEZNS1_24adjacent_difference_implIS3_Lb1ELb0EPaS7_N6thrust23THRUST_200600_302600_NS5minusIaEEEE10hipError_tPvRmT2_T3_mT4_P12ihipStream_tbEUlT_E_NS1_11comp_targetILNS1_3genE5ELNS1_11target_archE942ELNS1_3gpuE9ELNS1_3repE0EEENS1_30default_config_static_selectorELNS0_4arch9wavefront6targetE1EEEvT1_
		.amdhsa_group_segment_fixed_size 2944
		.amdhsa_private_segment_fixed_size 0
		.amdhsa_kernarg_size 56
		.amdhsa_user_sgpr_count 2
		.amdhsa_user_sgpr_dispatch_ptr 0
		.amdhsa_user_sgpr_queue_ptr 0
		.amdhsa_user_sgpr_kernarg_segment_ptr 1
		.amdhsa_user_sgpr_dispatch_id 0
		.amdhsa_user_sgpr_kernarg_preload_length 0
		.amdhsa_user_sgpr_kernarg_preload_offset 0
		.amdhsa_user_sgpr_private_segment_size 0
		.amdhsa_uses_dynamic_stack 0
		.amdhsa_enable_private_segment 0
		.amdhsa_system_sgpr_workgroup_id_x 1
		.amdhsa_system_sgpr_workgroup_id_y 0
		.amdhsa_system_sgpr_workgroup_id_z 0
		.amdhsa_system_sgpr_workgroup_info 0
		.amdhsa_system_vgpr_workitem_id 0
		.amdhsa_next_free_vgpr 42
		.amdhsa_next_free_sgpr 27
		.amdhsa_accum_offset 44
		.amdhsa_reserve_vcc 1
		.amdhsa_float_round_mode_32 0
		.amdhsa_float_round_mode_16_64 0
		.amdhsa_float_denorm_mode_32 3
		.amdhsa_float_denorm_mode_16_64 3
		.amdhsa_dx10_clamp 1
		.amdhsa_ieee_mode 1
		.amdhsa_fp16_overflow 0
		.amdhsa_tg_split 0
		.amdhsa_exception_fp_ieee_invalid_op 0
		.amdhsa_exception_fp_denorm_src 0
		.amdhsa_exception_fp_ieee_div_zero 0
		.amdhsa_exception_fp_ieee_overflow 0
		.amdhsa_exception_fp_ieee_underflow 0
		.amdhsa_exception_fp_ieee_inexact 0
		.amdhsa_exception_int_div_zero 0
	.end_amdhsa_kernel
	.section	.text._ZN7rocprim17ROCPRIM_400000_NS6detail17trampoline_kernelINS0_14default_configENS1_35adjacent_difference_config_selectorILb1EaEEZNS1_24adjacent_difference_implIS3_Lb1ELb0EPaS7_N6thrust23THRUST_200600_302600_NS5minusIaEEEE10hipError_tPvRmT2_T3_mT4_P12ihipStream_tbEUlT_E_NS1_11comp_targetILNS1_3genE5ELNS1_11target_archE942ELNS1_3gpuE9ELNS1_3repE0EEENS1_30default_config_static_selectorELNS0_4arch9wavefront6targetE1EEEvT1_,"axG",@progbits,_ZN7rocprim17ROCPRIM_400000_NS6detail17trampoline_kernelINS0_14default_configENS1_35adjacent_difference_config_selectorILb1EaEEZNS1_24adjacent_difference_implIS3_Lb1ELb0EPaS7_N6thrust23THRUST_200600_302600_NS5minusIaEEEE10hipError_tPvRmT2_T3_mT4_P12ihipStream_tbEUlT_E_NS1_11comp_targetILNS1_3genE5ELNS1_11target_archE942ELNS1_3gpuE9ELNS1_3repE0EEENS1_30default_config_static_selectorELNS0_4arch9wavefront6targetE1EEEvT1_,comdat
.Lfunc_end20:
	.size	_ZN7rocprim17ROCPRIM_400000_NS6detail17trampoline_kernelINS0_14default_configENS1_35adjacent_difference_config_selectorILb1EaEEZNS1_24adjacent_difference_implIS3_Lb1ELb0EPaS7_N6thrust23THRUST_200600_302600_NS5minusIaEEEE10hipError_tPvRmT2_T3_mT4_P12ihipStream_tbEUlT_E_NS1_11comp_targetILNS1_3genE5ELNS1_11target_archE942ELNS1_3gpuE9ELNS1_3repE0EEENS1_30default_config_static_selectorELNS0_4arch9wavefront6targetE1EEEvT1_, .Lfunc_end20-_ZN7rocprim17ROCPRIM_400000_NS6detail17trampoline_kernelINS0_14default_configENS1_35adjacent_difference_config_selectorILb1EaEEZNS1_24adjacent_difference_implIS3_Lb1ELb0EPaS7_N6thrust23THRUST_200600_302600_NS5minusIaEEEE10hipError_tPvRmT2_T3_mT4_P12ihipStream_tbEUlT_E_NS1_11comp_targetILNS1_3genE5ELNS1_11target_archE942ELNS1_3gpuE9ELNS1_3repE0EEENS1_30default_config_static_selectorELNS0_4arch9wavefront6targetE1EEEvT1_
                                        ; -- End function
	.section	.AMDGPU.csdata,"",@progbits
; Kernel info:
; codeLenInByte = 5948
; NumSgprs: 33
; NumVgprs: 42
; NumAgprs: 0
; TotalNumVgprs: 42
; ScratchSize: 0
; MemoryBound: 0
; FloatMode: 240
; IeeeMode: 1
; LDSByteSize: 2944 bytes/workgroup (compile time only)
; SGPRBlocks: 4
; VGPRBlocks: 5
; NumSGPRsForWavesPerEU: 33
; NumVGPRsForWavesPerEU: 42
; AccumOffset: 44
; Occupancy: 8
; WaveLimiterHint : 1
; COMPUTE_PGM_RSRC2:SCRATCH_EN: 0
; COMPUTE_PGM_RSRC2:USER_SGPR: 2
; COMPUTE_PGM_RSRC2:TRAP_HANDLER: 0
; COMPUTE_PGM_RSRC2:TGID_X_EN: 1
; COMPUTE_PGM_RSRC2:TGID_Y_EN: 0
; COMPUTE_PGM_RSRC2:TGID_Z_EN: 0
; COMPUTE_PGM_RSRC2:TIDIG_COMP_CNT: 0
; COMPUTE_PGM_RSRC3_GFX90A:ACCUM_OFFSET: 10
; COMPUTE_PGM_RSRC3_GFX90A:TG_SPLIT: 0
	.section	.text._ZN7rocprim17ROCPRIM_400000_NS6detail17trampoline_kernelINS0_14default_configENS1_35adjacent_difference_config_selectorILb1EaEEZNS1_24adjacent_difference_implIS3_Lb1ELb0EPaS7_N6thrust23THRUST_200600_302600_NS5minusIaEEEE10hipError_tPvRmT2_T3_mT4_P12ihipStream_tbEUlT_E_NS1_11comp_targetILNS1_3genE4ELNS1_11target_archE910ELNS1_3gpuE8ELNS1_3repE0EEENS1_30default_config_static_selectorELNS0_4arch9wavefront6targetE1EEEvT1_,"axG",@progbits,_ZN7rocprim17ROCPRIM_400000_NS6detail17trampoline_kernelINS0_14default_configENS1_35adjacent_difference_config_selectorILb1EaEEZNS1_24adjacent_difference_implIS3_Lb1ELb0EPaS7_N6thrust23THRUST_200600_302600_NS5minusIaEEEE10hipError_tPvRmT2_T3_mT4_P12ihipStream_tbEUlT_E_NS1_11comp_targetILNS1_3genE4ELNS1_11target_archE910ELNS1_3gpuE8ELNS1_3repE0EEENS1_30default_config_static_selectorELNS0_4arch9wavefront6targetE1EEEvT1_,comdat
	.protected	_ZN7rocprim17ROCPRIM_400000_NS6detail17trampoline_kernelINS0_14default_configENS1_35adjacent_difference_config_selectorILb1EaEEZNS1_24adjacent_difference_implIS3_Lb1ELb0EPaS7_N6thrust23THRUST_200600_302600_NS5minusIaEEEE10hipError_tPvRmT2_T3_mT4_P12ihipStream_tbEUlT_E_NS1_11comp_targetILNS1_3genE4ELNS1_11target_archE910ELNS1_3gpuE8ELNS1_3repE0EEENS1_30default_config_static_selectorELNS0_4arch9wavefront6targetE1EEEvT1_ ; -- Begin function _ZN7rocprim17ROCPRIM_400000_NS6detail17trampoline_kernelINS0_14default_configENS1_35adjacent_difference_config_selectorILb1EaEEZNS1_24adjacent_difference_implIS3_Lb1ELb0EPaS7_N6thrust23THRUST_200600_302600_NS5minusIaEEEE10hipError_tPvRmT2_T3_mT4_P12ihipStream_tbEUlT_E_NS1_11comp_targetILNS1_3genE4ELNS1_11target_archE910ELNS1_3gpuE8ELNS1_3repE0EEENS1_30default_config_static_selectorELNS0_4arch9wavefront6targetE1EEEvT1_
	.globl	_ZN7rocprim17ROCPRIM_400000_NS6detail17trampoline_kernelINS0_14default_configENS1_35adjacent_difference_config_selectorILb1EaEEZNS1_24adjacent_difference_implIS3_Lb1ELb0EPaS7_N6thrust23THRUST_200600_302600_NS5minusIaEEEE10hipError_tPvRmT2_T3_mT4_P12ihipStream_tbEUlT_E_NS1_11comp_targetILNS1_3genE4ELNS1_11target_archE910ELNS1_3gpuE8ELNS1_3repE0EEENS1_30default_config_static_selectorELNS0_4arch9wavefront6targetE1EEEvT1_
	.p2align	8
	.type	_ZN7rocprim17ROCPRIM_400000_NS6detail17trampoline_kernelINS0_14default_configENS1_35adjacent_difference_config_selectorILb1EaEEZNS1_24adjacent_difference_implIS3_Lb1ELb0EPaS7_N6thrust23THRUST_200600_302600_NS5minusIaEEEE10hipError_tPvRmT2_T3_mT4_P12ihipStream_tbEUlT_E_NS1_11comp_targetILNS1_3genE4ELNS1_11target_archE910ELNS1_3gpuE8ELNS1_3repE0EEENS1_30default_config_static_selectorELNS0_4arch9wavefront6targetE1EEEvT1_,@function
_ZN7rocprim17ROCPRIM_400000_NS6detail17trampoline_kernelINS0_14default_configENS1_35adjacent_difference_config_selectorILb1EaEEZNS1_24adjacent_difference_implIS3_Lb1ELb0EPaS7_N6thrust23THRUST_200600_302600_NS5minusIaEEEE10hipError_tPvRmT2_T3_mT4_P12ihipStream_tbEUlT_E_NS1_11comp_targetILNS1_3genE4ELNS1_11target_archE910ELNS1_3gpuE8ELNS1_3repE0EEENS1_30default_config_static_selectorELNS0_4arch9wavefront6targetE1EEEvT1_: ; @_ZN7rocprim17ROCPRIM_400000_NS6detail17trampoline_kernelINS0_14default_configENS1_35adjacent_difference_config_selectorILb1EaEEZNS1_24adjacent_difference_implIS3_Lb1ELb0EPaS7_N6thrust23THRUST_200600_302600_NS5minusIaEEEE10hipError_tPvRmT2_T3_mT4_P12ihipStream_tbEUlT_E_NS1_11comp_targetILNS1_3genE4ELNS1_11target_archE910ELNS1_3gpuE8ELNS1_3repE0EEENS1_30default_config_static_selectorELNS0_4arch9wavefront6targetE1EEEvT1_
; %bb.0:
	.section	.rodata,"a",@progbits
	.p2align	6, 0x0
	.amdhsa_kernel _ZN7rocprim17ROCPRIM_400000_NS6detail17trampoline_kernelINS0_14default_configENS1_35adjacent_difference_config_selectorILb1EaEEZNS1_24adjacent_difference_implIS3_Lb1ELb0EPaS7_N6thrust23THRUST_200600_302600_NS5minusIaEEEE10hipError_tPvRmT2_T3_mT4_P12ihipStream_tbEUlT_E_NS1_11comp_targetILNS1_3genE4ELNS1_11target_archE910ELNS1_3gpuE8ELNS1_3repE0EEENS1_30default_config_static_selectorELNS0_4arch9wavefront6targetE1EEEvT1_
		.amdhsa_group_segment_fixed_size 0
		.amdhsa_private_segment_fixed_size 0
		.amdhsa_kernarg_size 56
		.amdhsa_user_sgpr_count 2
		.amdhsa_user_sgpr_dispatch_ptr 0
		.amdhsa_user_sgpr_queue_ptr 0
		.amdhsa_user_sgpr_kernarg_segment_ptr 1
		.amdhsa_user_sgpr_dispatch_id 0
		.amdhsa_user_sgpr_kernarg_preload_length 0
		.amdhsa_user_sgpr_kernarg_preload_offset 0
		.amdhsa_user_sgpr_private_segment_size 0
		.amdhsa_uses_dynamic_stack 0
		.amdhsa_enable_private_segment 0
		.amdhsa_system_sgpr_workgroup_id_x 1
		.amdhsa_system_sgpr_workgroup_id_y 0
		.amdhsa_system_sgpr_workgroup_id_z 0
		.amdhsa_system_sgpr_workgroup_info 0
		.amdhsa_system_vgpr_workitem_id 0
		.amdhsa_next_free_vgpr 1
		.amdhsa_next_free_sgpr 0
		.amdhsa_accum_offset 4
		.amdhsa_reserve_vcc 0
		.amdhsa_float_round_mode_32 0
		.amdhsa_float_round_mode_16_64 0
		.amdhsa_float_denorm_mode_32 3
		.amdhsa_float_denorm_mode_16_64 3
		.amdhsa_dx10_clamp 1
		.amdhsa_ieee_mode 1
		.amdhsa_fp16_overflow 0
		.amdhsa_tg_split 0
		.amdhsa_exception_fp_ieee_invalid_op 0
		.amdhsa_exception_fp_denorm_src 0
		.amdhsa_exception_fp_ieee_div_zero 0
		.amdhsa_exception_fp_ieee_overflow 0
		.amdhsa_exception_fp_ieee_underflow 0
		.amdhsa_exception_fp_ieee_inexact 0
		.amdhsa_exception_int_div_zero 0
	.end_amdhsa_kernel
	.section	.text._ZN7rocprim17ROCPRIM_400000_NS6detail17trampoline_kernelINS0_14default_configENS1_35adjacent_difference_config_selectorILb1EaEEZNS1_24adjacent_difference_implIS3_Lb1ELb0EPaS7_N6thrust23THRUST_200600_302600_NS5minusIaEEEE10hipError_tPvRmT2_T3_mT4_P12ihipStream_tbEUlT_E_NS1_11comp_targetILNS1_3genE4ELNS1_11target_archE910ELNS1_3gpuE8ELNS1_3repE0EEENS1_30default_config_static_selectorELNS0_4arch9wavefront6targetE1EEEvT1_,"axG",@progbits,_ZN7rocprim17ROCPRIM_400000_NS6detail17trampoline_kernelINS0_14default_configENS1_35adjacent_difference_config_selectorILb1EaEEZNS1_24adjacent_difference_implIS3_Lb1ELb0EPaS7_N6thrust23THRUST_200600_302600_NS5minusIaEEEE10hipError_tPvRmT2_T3_mT4_P12ihipStream_tbEUlT_E_NS1_11comp_targetILNS1_3genE4ELNS1_11target_archE910ELNS1_3gpuE8ELNS1_3repE0EEENS1_30default_config_static_selectorELNS0_4arch9wavefront6targetE1EEEvT1_,comdat
.Lfunc_end21:
	.size	_ZN7rocprim17ROCPRIM_400000_NS6detail17trampoline_kernelINS0_14default_configENS1_35adjacent_difference_config_selectorILb1EaEEZNS1_24adjacent_difference_implIS3_Lb1ELb0EPaS7_N6thrust23THRUST_200600_302600_NS5minusIaEEEE10hipError_tPvRmT2_T3_mT4_P12ihipStream_tbEUlT_E_NS1_11comp_targetILNS1_3genE4ELNS1_11target_archE910ELNS1_3gpuE8ELNS1_3repE0EEENS1_30default_config_static_selectorELNS0_4arch9wavefront6targetE1EEEvT1_, .Lfunc_end21-_ZN7rocprim17ROCPRIM_400000_NS6detail17trampoline_kernelINS0_14default_configENS1_35adjacent_difference_config_selectorILb1EaEEZNS1_24adjacent_difference_implIS3_Lb1ELb0EPaS7_N6thrust23THRUST_200600_302600_NS5minusIaEEEE10hipError_tPvRmT2_T3_mT4_P12ihipStream_tbEUlT_E_NS1_11comp_targetILNS1_3genE4ELNS1_11target_archE910ELNS1_3gpuE8ELNS1_3repE0EEENS1_30default_config_static_selectorELNS0_4arch9wavefront6targetE1EEEvT1_
                                        ; -- End function
	.section	.AMDGPU.csdata,"",@progbits
; Kernel info:
; codeLenInByte = 0
; NumSgprs: 6
; NumVgprs: 0
; NumAgprs: 0
; TotalNumVgprs: 0
; ScratchSize: 0
; MemoryBound: 0
; FloatMode: 240
; IeeeMode: 1
; LDSByteSize: 0 bytes/workgroup (compile time only)
; SGPRBlocks: 0
; VGPRBlocks: 0
; NumSGPRsForWavesPerEU: 6
; NumVGPRsForWavesPerEU: 1
; AccumOffset: 4
; Occupancy: 8
; WaveLimiterHint : 0
; COMPUTE_PGM_RSRC2:SCRATCH_EN: 0
; COMPUTE_PGM_RSRC2:USER_SGPR: 2
; COMPUTE_PGM_RSRC2:TRAP_HANDLER: 0
; COMPUTE_PGM_RSRC2:TGID_X_EN: 1
; COMPUTE_PGM_RSRC2:TGID_Y_EN: 0
; COMPUTE_PGM_RSRC2:TGID_Z_EN: 0
; COMPUTE_PGM_RSRC2:TIDIG_COMP_CNT: 0
; COMPUTE_PGM_RSRC3_GFX90A:ACCUM_OFFSET: 0
; COMPUTE_PGM_RSRC3_GFX90A:TG_SPLIT: 0
	.section	.text._ZN7rocprim17ROCPRIM_400000_NS6detail17trampoline_kernelINS0_14default_configENS1_35adjacent_difference_config_selectorILb1EaEEZNS1_24adjacent_difference_implIS3_Lb1ELb0EPaS7_N6thrust23THRUST_200600_302600_NS5minusIaEEEE10hipError_tPvRmT2_T3_mT4_P12ihipStream_tbEUlT_E_NS1_11comp_targetILNS1_3genE3ELNS1_11target_archE908ELNS1_3gpuE7ELNS1_3repE0EEENS1_30default_config_static_selectorELNS0_4arch9wavefront6targetE1EEEvT1_,"axG",@progbits,_ZN7rocprim17ROCPRIM_400000_NS6detail17trampoline_kernelINS0_14default_configENS1_35adjacent_difference_config_selectorILb1EaEEZNS1_24adjacent_difference_implIS3_Lb1ELb0EPaS7_N6thrust23THRUST_200600_302600_NS5minusIaEEEE10hipError_tPvRmT2_T3_mT4_P12ihipStream_tbEUlT_E_NS1_11comp_targetILNS1_3genE3ELNS1_11target_archE908ELNS1_3gpuE7ELNS1_3repE0EEENS1_30default_config_static_selectorELNS0_4arch9wavefront6targetE1EEEvT1_,comdat
	.protected	_ZN7rocprim17ROCPRIM_400000_NS6detail17trampoline_kernelINS0_14default_configENS1_35adjacent_difference_config_selectorILb1EaEEZNS1_24adjacent_difference_implIS3_Lb1ELb0EPaS7_N6thrust23THRUST_200600_302600_NS5minusIaEEEE10hipError_tPvRmT2_T3_mT4_P12ihipStream_tbEUlT_E_NS1_11comp_targetILNS1_3genE3ELNS1_11target_archE908ELNS1_3gpuE7ELNS1_3repE0EEENS1_30default_config_static_selectorELNS0_4arch9wavefront6targetE1EEEvT1_ ; -- Begin function _ZN7rocprim17ROCPRIM_400000_NS6detail17trampoline_kernelINS0_14default_configENS1_35adjacent_difference_config_selectorILb1EaEEZNS1_24adjacent_difference_implIS3_Lb1ELb0EPaS7_N6thrust23THRUST_200600_302600_NS5minusIaEEEE10hipError_tPvRmT2_T3_mT4_P12ihipStream_tbEUlT_E_NS1_11comp_targetILNS1_3genE3ELNS1_11target_archE908ELNS1_3gpuE7ELNS1_3repE0EEENS1_30default_config_static_selectorELNS0_4arch9wavefront6targetE1EEEvT1_
	.globl	_ZN7rocprim17ROCPRIM_400000_NS6detail17trampoline_kernelINS0_14default_configENS1_35adjacent_difference_config_selectorILb1EaEEZNS1_24adjacent_difference_implIS3_Lb1ELb0EPaS7_N6thrust23THRUST_200600_302600_NS5minusIaEEEE10hipError_tPvRmT2_T3_mT4_P12ihipStream_tbEUlT_E_NS1_11comp_targetILNS1_3genE3ELNS1_11target_archE908ELNS1_3gpuE7ELNS1_3repE0EEENS1_30default_config_static_selectorELNS0_4arch9wavefront6targetE1EEEvT1_
	.p2align	8
	.type	_ZN7rocprim17ROCPRIM_400000_NS6detail17trampoline_kernelINS0_14default_configENS1_35adjacent_difference_config_selectorILb1EaEEZNS1_24adjacent_difference_implIS3_Lb1ELb0EPaS7_N6thrust23THRUST_200600_302600_NS5minusIaEEEE10hipError_tPvRmT2_T3_mT4_P12ihipStream_tbEUlT_E_NS1_11comp_targetILNS1_3genE3ELNS1_11target_archE908ELNS1_3gpuE7ELNS1_3repE0EEENS1_30default_config_static_selectorELNS0_4arch9wavefront6targetE1EEEvT1_,@function
_ZN7rocprim17ROCPRIM_400000_NS6detail17trampoline_kernelINS0_14default_configENS1_35adjacent_difference_config_selectorILb1EaEEZNS1_24adjacent_difference_implIS3_Lb1ELb0EPaS7_N6thrust23THRUST_200600_302600_NS5minusIaEEEE10hipError_tPvRmT2_T3_mT4_P12ihipStream_tbEUlT_E_NS1_11comp_targetILNS1_3genE3ELNS1_11target_archE908ELNS1_3gpuE7ELNS1_3repE0EEENS1_30default_config_static_selectorELNS0_4arch9wavefront6targetE1EEEvT1_: ; @_ZN7rocprim17ROCPRIM_400000_NS6detail17trampoline_kernelINS0_14default_configENS1_35adjacent_difference_config_selectorILb1EaEEZNS1_24adjacent_difference_implIS3_Lb1ELb0EPaS7_N6thrust23THRUST_200600_302600_NS5minusIaEEEE10hipError_tPvRmT2_T3_mT4_P12ihipStream_tbEUlT_E_NS1_11comp_targetILNS1_3genE3ELNS1_11target_archE908ELNS1_3gpuE7ELNS1_3repE0EEENS1_30default_config_static_selectorELNS0_4arch9wavefront6targetE1EEEvT1_
; %bb.0:
	.section	.rodata,"a",@progbits
	.p2align	6, 0x0
	.amdhsa_kernel _ZN7rocprim17ROCPRIM_400000_NS6detail17trampoline_kernelINS0_14default_configENS1_35adjacent_difference_config_selectorILb1EaEEZNS1_24adjacent_difference_implIS3_Lb1ELb0EPaS7_N6thrust23THRUST_200600_302600_NS5minusIaEEEE10hipError_tPvRmT2_T3_mT4_P12ihipStream_tbEUlT_E_NS1_11comp_targetILNS1_3genE3ELNS1_11target_archE908ELNS1_3gpuE7ELNS1_3repE0EEENS1_30default_config_static_selectorELNS0_4arch9wavefront6targetE1EEEvT1_
		.amdhsa_group_segment_fixed_size 0
		.amdhsa_private_segment_fixed_size 0
		.amdhsa_kernarg_size 56
		.amdhsa_user_sgpr_count 2
		.amdhsa_user_sgpr_dispatch_ptr 0
		.amdhsa_user_sgpr_queue_ptr 0
		.amdhsa_user_sgpr_kernarg_segment_ptr 1
		.amdhsa_user_sgpr_dispatch_id 0
		.amdhsa_user_sgpr_kernarg_preload_length 0
		.amdhsa_user_sgpr_kernarg_preload_offset 0
		.amdhsa_user_sgpr_private_segment_size 0
		.amdhsa_uses_dynamic_stack 0
		.amdhsa_enable_private_segment 0
		.amdhsa_system_sgpr_workgroup_id_x 1
		.amdhsa_system_sgpr_workgroup_id_y 0
		.amdhsa_system_sgpr_workgroup_id_z 0
		.amdhsa_system_sgpr_workgroup_info 0
		.amdhsa_system_vgpr_workitem_id 0
		.amdhsa_next_free_vgpr 1
		.amdhsa_next_free_sgpr 0
		.amdhsa_accum_offset 4
		.amdhsa_reserve_vcc 0
		.amdhsa_float_round_mode_32 0
		.amdhsa_float_round_mode_16_64 0
		.amdhsa_float_denorm_mode_32 3
		.amdhsa_float_denorm_mode_16_64 3
		.amdhsa_dx10_clamp 1
		.amdhsa_ieee_mode 1
		.amdhsa_fp16_overflow 0
		.amdhsa_tg_split 0
		.amdhsa_exception_fp_ieee_invalid_op 0
		.amdhsa_exception_fp_denorm_src 0
		.amdhsa_exception_fp_ieee_div_zero 0
		.amdhsa_exception_fp_ieee_overflow 0
		.amdhsa_exception_fp_ieee_underflow 0
		.amdhsa_exception_fp_ieee_inexact 0
		.amdhsa_exception_int_div_zero 0
	.end_amdhsa_kernel
	.section	.text._ZN7rocprim17ROCPRIM_400000_NS6detail17trampoline_kernelINS0_14default_configENS1_35adjacent_difference_config_selectorILb1EaEEZNS1_24adjacent_difference_implIS3_Lb1ELb0EPaS7_N6thrust23THRUST_200600_302600_NS5minusIaEEEE10hipError_tPvRmT2_T3_mT4_P12ihipStream_tbEUlT_E_NS1_11comp_targetILNS1_3genE3ELNS1_11target_archE908ELNS1_3gpuE7ELNS1_3repE0EEENS1_30default_config_static_selectorELNS0_4arch9wavefront6targetE1EEEvT1_,"axG",@progbits,_ZN7rocprim17ROCPRIM_400000_NS6detail17trampoline_kernelINS0_14default_configENS1_35adjacent_difference_config_selectorILb1EaEEZNS1_24adjacent_difference_implIS3_Lb1ELb0EPaS7_N6thrust23THRUST_200600_302600_NS5minusIaEEEE10hipError_tPvRmT2_T3_mT4_P12ihipStream_tbEUlT_E_NS1_11comp_targetILNS1_3genE3ELNS1_11target_archE908ELNS1_3gpuE7ELNS1_3repE0EEENS1_30default_config_static_selectorELNS0_4arch9wavefront6targetE1EEEvT1_,comdat
.Lfunc_end22:
	.size	_ZN7rocprim17ROCPRIM_400000_NS6detail17trampoline_kernelINS0_14default_configENS1_35adjacent_difference_config_selectorILb1EaEEZNS1_24adjacent_difference_implIS3_Lb1ELb0EPaS7_N6thrust23THRUST_200600_302600_NS5minusIaEEEE10hipError_tPvRmT2_T3_mT4_P12ihipStream_tbEUlT_E_NS1_11comp_targetILNS1_3genE3ELNS1_11target_archE908ELNS1_3gpuE7ELNS1_3repE0EEENS1_30default_config_static_selectorELNS0_4arch9wavefront6targetE1EEEvT1_, .Lfunc_end22-_ZN7rocprim17ROCPRIM_400000_NS6detail17trampoline_kernelINS0_14default_configENS1_35adjacent_difference_config_selectorILb1EaEEZNS1_24adjacent_difference_implIS3_Lb1ELb0EPaS7_N6thrust23THRUST_200600_302600_NS5minusIaEEEE10hipError_tPvRmT2_T3_mT4_P12ihipStream_tbEUlT_E_NS1_11comp_targetILNS1_3genE3ELNS1_11target_archE908ELNS1_3gpuE7ELNS1_3repE0EEENS1_30default_config_static_selectorELNS0_4arch9wavefront6targetE1EEEvT1_
                                        ; -- End function
	.section	.AMDGPU.csdata,"",@progbits
; Kernel info:
; codeLenInByte = 0
; NumSgprs: 6
; NumVgprs: 0
; NumAgprs: 0
; TotalNumVgprs: 0
; ScratchSize: 0
; MemoryBound: 0
; FloatMode: 240
; IeeeMode: 1
; LDSByteSize: 0 bytes/workgroup (compile time only)
; SGPRBlocks: 0
; VGPRBlocks: 0
; NumSGPRsForWavesPerEU: 6
; NumVGPRsForWavesPerEU: 1
; AccumOffset: 4
; Occupancy: 8
; WaveLimiterHint : 0
; COMPUTE_PGM_RSRC2:SCRATCH_EN: 0
; COMPUTE_PGM_RSRC2:USER_SGPR: 2
; COMPUTE_PGM_RSRC2:TRAP_HANDLER: 0
; COMPUTE_PGM_RSRC2:TGID_X_EN: 1
; COMPUTE_PGM_RSRC2:TGID_Y_EN: 0
; COMPUTE_PGM_RSRC2:TGID_Z_EN: 0
; COMPUTE_PGM_RSRC2:TIDIG_COMP_CNT: 0
; COMPUTE_PGM_RSRC3_GFX90A:ACCUM_OFFSET: 0
; COMPUTE_PGM_RSRC3_GFX90A:TG_SPLIT: 0
	.section	.text._ZN7rocprim17ROCPRIM_400000_NS6detail17trampoline_kernelINS0_14default_configENS1_35adjacent_difference_config_selectorILb1EaEEZNS1_24adjacent_difference_implIS3_Lb1ELb0EPaS7_N6thrust23THRUST_200600_302600_NS5minusIaEEEE10hipError_tPvRmT2_T3_mT4_P12ihipStream_tbEUlT_E_NS1_11comp_targetILNS1_3genE2ELNS1_11target_archE906ELNS1_3gpuE6ELNS1_3repE0EEENS1_30default_config_static_selectorELNS0_4arch9wavefront6targetE1EEEvT1_,"axG",@progbits,_ZN7rocprim17ROCPRIM_400000_NS6detail17trampoline_kernelINS0_14default_configENS1_35adjacent_difference_config_selectorILb1EaEEZNS1_24adjacent_difference_implIS3_Lb1ELb0EPaS7_N6thrust23THRUST_200600_302600_NS5minusIaEEEE10hipError_tPvRmT2_T3_mT4_P12ihipStream_tbEUlT_E_NS1_11comp_targetILNS1_3genE2ELNS1_11target_archE906ELNS1_3gpuE6ELNS1_3repE0EEENS1_30default_config_static_selectorELNS0_4arch9wavefront6targetE1EEEvT1_,comdat
	.protected	_ZN7rocprim17ROCPRIM_400000_NS6detail17trampoline_kernelINS0_14default_configENS1_35adjacent_difference_config_selectorILb1EaEEZNS1_24adjacent_difference_implIS3_Lb1ELb0EPaS7_N6thrust23THRUST_200600_302600_NS5minusIaEEEE10hipError_tPvRmT2_T3_mT4_P12ihipStream_tbEUlT_E_NS1_11comp_targetILNS1_3genE2ELNS1_11target_archE906ELNS1_3gpuE6ELNS1_3repE0EEENS1_30default_config_static_selectorELNS0_4arch9wavefront6targetE1EEEvT1_ ; -- Begin function _ZN7rocprim17ROCPRIM_400000_NS6detail17trampoline_kernelINS0_14default_configENS1_35adjacent_difference_config_selectorILb1EaEEZNS1_24adjacent_difference_implIS3_Lb1ELb0EPaS7_N6thrust23THRUST_200600_302600_NS5minusIaEEEE10hipError_tPvRmT2_T3_mT4_P12ihipStream_tbEUlT_E_NS1_11comp_targetILNS1_3genE2ELNS1_11target_archE906ELNS1_3gpuE6ELNS1_3repE0EEENS1_30default_config_static_selectorELNS0_4arch9wavefront6targetE1EEEvT1_
	.globl	_ZN7rocprim17ROCPRIM_400000_NS6detail17trampoline_kernelINS0_14default_configENS1_35adjacent_difference_config_selectorILb1EaEEZNS1_24adjacent_difference_implIS3_Lb1ELb0EPaS7_N6thrust23THRUST_200600_302600_NS5minusIaEEEE10hipError_tPvRmT2_T3_mT4_P12ihipStream_tbEUlT_E_NS1_11comp_targetILNS1_3genE2ELNS1_11target_archE906ELNS1_3gpuE6ELNS1_3repE0EEENS1_30default_config_static_selectorELNS0_4arch9wavefront6targetE1EEEvT1_
	.p2align	8
	.type	_ZN7rocprim17ROCPRIM_400000_NS6detail17trampoline_kernelINS0_14default_configENS1_35adjacent_difference_config_selectorILb1EaEEZNS1_24adjacent_difference_implIS3_Lb1ELb0EPaS7_N6thrust23THRUST_200600_302600_NS5minusIaEEEE10hipError_tPvRmT2_T3_mT4_P12ihipStream_tbEUlT_E_NS1_11comp_targetILNS1_3genE2ELNS1_11target_archE906ELNS1_3gpuE6ELNS1_3repE0EEENS1_30default_config_static_selectorELNS0_4arch9wavefront6targetE1EEEvT1_,@function
_ZN7rocprim17ROCPRIM_400000_NS6detail17trampoline_kernelINS0_14default_configENS1_35adjacent_difference_config_selectorILb1EaEEZNS1_24adjacent_difference_implIS3_Lb1ELb0EPaS7_N6thrust23THRUST_200600_302600_NS5minusIaEEEE10hipError_tPvRmT2_T3_mT4_P12ihipStream_tbEUlT_E_NS1_11comp_targetILNS1_3genE2ELNS1_11target_archE906ELNS1_3gpuE6ELNS1_3repE0EEENS1_30default_config_static_selectorELNS0_4arch9wavefront6targetE1EEEvT1_: ; @_ZN7rocprim17ROCPRIM_400000_NS6detail17trampoline_kernelINS0_14default_configENS1_35adjacent_difference_config_selectorILb1EaEEZNS1_24adjacent_difference_implIS3_Lb1ELb0EPaS7_N6thrust23THRUST_200600_302600_NS5minusIaEEEE10hipError_tPvRmT2_T3_mT4_P12ihipStream_tbEUlT_E_NS1_11comp_targetILNS1_3genE2ELNS1_11target_archE906ELNS1_3gpuE6ELNS1_3repE0EEENS1_30default_config_static_selectorELNS0_4arch9wavefront6targetE1EEEvT1_
; %bb.0:
	.section	.rodata,"a",@progbits
	.p2align	6, 0x0
	.amdhsa_kernel _ZN7rocprim17ROCPRIM_400000_NS6detail17trampoline_kernelINS0_14default_configENS1_35adjacent_difference_config_selectorILb1EaEEZNS1_24adjacent_difference_implIS3_Lb1ELb0EPaS7_N6thrust23THRUST_200600_302600_NS5minusIaEEEE10hipError_tPvRmT2_T3_mT4_P12ihipStream_tbEUlT_E_NS1_11comp_targetILNS1_3genE2ELNS1_11target_archE906ELNS1_3gpuE6ELNS1_3repE0EEENS1_30default_config_static_selectorELNS0_4arch9wavefront6targetE1EEEvT1_
		.amdhsa_group_segment_fixed_size 0
		.amdhsa_private_segment_fixed_size 0
		.amdhsa_kernarg_size 56
		.amdhsa_user_sgpr_count 2
		.amdhsa_user_sgpr_dispatch_ptr 0
		.amdhsa_user_sgpr_queue_ptr 0
		.amdhsa_user_sgpr_kernarg_segment_ptr 1
		.amdhsa_user_sgpr_dispatch_id 0
		.amdhsa_user_sgpr_kernarg_preload_length 0
		.amdhsa_user_sgpr_kernarg_preload_offset 0
		.amdhsa_user_sgpr_private_segment_size 0
		.amdhsa_uses_dynamic_stack 0
		.amdhsa_enable_private_segment 0
		.amdhsa_system_sgpr_workgroup_id_x 1
		.amdhsa_system_sgpr_workgroup_id_y 0
		.amdhsa_system_sgpr_workgroup_id_z 0
		.amdhsa_system_sgpr_workgroup_info 0
		.amdhsa_system_vgpr_workitem_id 0
		.amdhsa_next_free_vgpr 1
		.amdhsa_next_free_sgpr 0
		.amdhsa_accum_offset 4
		.amdhsa_reserve_vcc 0
		.amdhsa_float_round_mode_32 0
		.amdhsa_float_round_mode_16_64 0
		.amdhsa_float_denorm_mode_32 3
		.amdhsa_float_denorm_mode_16_64 3
		.amdhsa_dx10_clamp 1
		.amdhsa_ieee_mode 1
		.amdhsa_fp16_overflow 0
		.amdhsa_tg_split 0
		.amdhsa_exception_fp_ieee_invalid_op 0
		.amdhsa_exception_fp_denorm_src 0
		.amdhsa_exception_fp_ieee_div_zero 0
		.amdhsa_exception_fp_ieee_overflow 0
		.amdhsa_exception_fp_ieee_underflow 0
		.amdhsa_exception_fp_ieee_inexact 0
		.amdhsa_exception_int_div_zero 0
	.end_amdhsa_kernel
	.section	.text._ZN7rocprim17ROCPRIM_400000_NS6detail17trampoline_kernelINS0_14default_configENS1_35adjacent_difference_config_selectorILb1EaEEZNS1_24adjacent_difference_implIS3_Lb1ELb0EPaS7_N6thrust23THRUST_200600_302600_NS5minusIaEEEE10hipError_tPvRmT2_T3_mT4_P12ihipStream_tbEUlT_E_NS1_11comp_targetILNS1_3genE2ELNS1_11target_archE906ELNS1_3gpuE6ELNS1_3repE0EEENS1_30default_config_static_selectorELNS0_4arch9wavefront6targetE1EEEvT1_,"axG",@progbits,_ZN7rocprim17ROCPRIM_400000_NS6detail17trampoline_kernelINS0_14default_configENS1_35adjacent_difference_config_selectorILb1EaEEZNS1_24adjacent_difference_implIS3_Lb1ELb0EPaS7_N6thrust23THRUST_200600_302600_NS5minusIaEEEE10hipError_tPvRmT2_T3_mT4_P12ihipStream_tbEUlT_E_NS1_11comp_targetILNS1_3genE2ELNS1_11target_archE906ELNS1_3gpuE6ELNS1_3repE0EEENS1_30default_config_static_selectorELNS0_4arch9wavefront6targetE1EEEvT1_,comdat
.Lfunc_end23:
	.size	_ZN7rocprim17ROCPRIM_400000_NS6detail17trampoline_kernelINS0_14default_configENS1_35adjacent_difference_config_selectorILb1EaEEZNS1_24adjacent_difference_implIS3_Lb1ELb0EPaS7_N6thrust23THRUST_200600_302600_NS5minusIaEEEE10hipError_tPvRmT2_T3_mT4_P12ihipStream_tbEUlT_E_NS1_11comp_targetILNS1_3genE2ELNS1_11target_archE906ELNS1_3gpuE6ELNS1_3repE0EEENS1_30default_config_static_selectorELNS0_4arch9wavefront6targetE1EEEvT1_, .Lfunc_end23-_ZN7rocprim17ROCPRIM_400000_NS6detail17trampoline_kernelINS0_14default_configENS1_35adjacent_difference_config_selectorILb1EaEEZNS1_24adjacent_difference_implIS3_Lb1ELb0EPaS7_N6thrust23THRUST_200600_302600_NS5minusIaEEEE10hipError_tPvRmT2_T3_mT4_P12ihipStream_tbEUlT_E_NS1_11comp_targetILNS1_3genE2ELNS1_11target_archE906ELNS1_3gpuE6ELNS1_3repE0EEENS1_30default_config_static_selectorELNS0_4arch9wavefront6targetE1EEEvT1_
                                        ; -- End function
	.section	.AMDGPU.csdata,"",@progbits
; Kernel info:
; codeLenInByte = 0
; NumSgprs: 6
; NumVgprs: 0
; NumAgprs: 0
; TotalNumVgprs: 0
; ScratchSize: 0
; MemoryBound: 0
; FloatMode: 240
; IeeeMode: 1
; LDSByteSize: 0 bytes/workgroup (compile time only)
; SGPRBlocks: 0
; VGPRBlocks: 0
; NumSGPRsForWavesPerEU: 6
; NumVGPRsForWavesPerEU: 1
; AccumOffset: 4
; Occupancy: 8
; WaveLimiterHint : 0
; COMPUTE_PGM_RSRC2:SCRATCH_EN: 0
; COMPUTE_PGM_RSRC2:USER_SGPR: 2
; COMPUTE_PGM_RSRC2:TRAP_HANDLER: 0
; COMPUTE_PGM_RSRC2:TGID_X_EN: 1
; COMPUTE_PGM_RSRC2:TGID_Y_EN: 0
; COMPUTE_PGM_RSRC2:TGID_Z_EN: 0
; COMPUTE_PGM_RSRC2:TIDIG_COMP_CNT: 0
; COMPUTE_PGM_RSRC3_GFX90A:ACCUM_OFFSET: 0
; COMPUTE_PGM_RSRC3_GFX90A:TG_SPLIT: 0
	.section	.text._ZN7rocprim17ROCPRIM_400000_NS6detail17trampoline_kernelINS0_14default_configENS1_35adjacent_difference_config_selectorILb1EaEEZNS1_24adjacent_difference_implIS3_Lb1ELb0EPaS7_N6thrust23THRUST_200600_302600_NS5minusIaEEEE10hipError_tPvRmT2_T3_mT4_P12ihipStream_tbEUlT_E_NS1_11comp_targetILNS1_3genE9ELNS1_11target_archE1100ELNS1_3gpuE3ELNS1_3repE0EEENS1_30default_config_static_selectorELNS0_4arch9wavefront6targetE1EEEvT1_,"axG",@progbits,_ZN7rocprim17ROCPRIM_400000_NS6detail17trampoline_kernelINS0_14default_configENS1_35adjacent_difference_config_selectorILb1EaEEZNS1_24adjacent_difference_implIS3_Lb1ELb0EPaS7_N6thrust23THRUST_200600_302600_NS5minusIaEEEE10hipError_tPvRmT2_T3_mT4_P12ihipStream_tbEUlT_E_NS1_11comp_targetILNS1_3genE9ELNS1_11target_archE1100ELNS1_3gpuE3ELNS1_3repE0EEENS1_30default_config_static_selectorELNS0_4arch9wavefront6targetE1EEEvT1_,comdat
	.protected	_ZN7rocprim17ROCPRIM_400000_NS6detail17trampoline_kernelINS0_14default_configENS1_35adjacent_difference_config_selectorILb1EaEEZNS1_24adjacent_difference_implIS3_Lb1ELb0EPaS7_N6thrust23THRUST_200600_302600_NS5minusIaEEEE10hipError_tPvRmT2_T3_mT4_P12ihipStream_tbEUlT_E_NS1_11comp_targetILNS1_3genE9ELNS1_11target_archE1100ELNS1_3gpuE3ELNS1_3repE0EEENS1_30default_config_static_selectorELNS0_4arch9wavefront6targetE1EEEvT1_ ; -- Begin function _ZN7rocprim17ROCPRIM_400000_NS6detail17trampoline_kernelINS0_14default_configENS1_35adjacent_difference_config_selectorILb1EaEEZNS1_24adjacent_difference_implIS3_Lb1ELb0EPaS7_N6thrust23THRUST_200600_302600_NS5minusIaEEEE10hipError_tPvRmT2_T3_mT4_P12ihipStream_tbEUlT_E_NS1_11comp_targetILNS1_3genE9ELNS1_11target_archE1100ELNS1_3gpuE3ELNS1_3repE0EEENS1_30default_config_static_selectorELNS0_4arch9wavefront6targetE1EEEvT1_
	.globl	_ZN7rocprim17ROCPRIM_400000_NS6detail17trampoline_kernelINS0_14default_configENS1_35adjacent_difference_config_selectorILb1EaEEZNS1_24adjacent_difference_implIS3_Lb1ELb0EPaS7_N6thrust23THRUST_200600_302600_NS5minusIaEEEE10hipError_tPvRmT2_T3_mT4_P12ihipStream_tbEUlT_E_NS1_11comp_targetILNS1_3genE9ELNS1_11target_archE1100ELNS1_3gpuE3ELNS1_3repE0EEENS1_30default_config_static_selectorELNS0_4arch9wavefront6targetE1EEEvT1_
	.p2align	8
	.type	_ZN7rocprim17ROCPRIM_400000_NS6detail17trampoline_kernelINS0_14default_configENS1_35adjacent_difference_config_selectorILb1EaEEZNS1_24adjacent_difference_implIS3_Lb1ELb0EPaS7_N6thrust23THRUST_200600_302600_NS5minusIaEEEE10hipError_tPvRmT2_T3_mT4_P12ihipStream_tbEUlT_E_NS1_11comp_targetILNS1_3genE9ELNS1_11target_archE1100ELNS1_3gpuE3ELNS1_3repE0EEENS1_30default_config_static_selectorELNS0_4arch9wavefront6targetE1EEEvT1_,@function
_ZN7rocprim17ROCPRIM_400000_NS6detail17trampoline_kernelINS0_14default_configENS1_35adjacent_difference_config_selectorILb1EaEEZNS1_24adjacent_difference_implIS3_Lb1ELb0EPaS7_N6thrust23THRUST_200600_302600_NS5minusIaEEEE10hipError_tPvRmT2_T3_mT4_P12ihipStream_tbEUlT_E_NS1_11comp_targetILNS1_3genE9ELNS1_11target_archE1100ELNS1_3gpuE3ELNS1_3repE0EEENS1_30default_config_static_selectorELNS0_4arch9wavefront6targetE1EEEvT1_: ; @_ZN7rocprim17ROCPRIM_400000_NS6detail17trampoline_kernelINS0_14default_configENS1_35adjacent_difference_config_selectorILb1EaEEZNS1_24adjacent_difference_implIS3_Lb1ELb0EPaS7_N6thrust23THRUST_200600_302600_NS5minusIaEEEE10hipError_tPvRmT2_T3_mT4_P12ihipStream_tbEUlT_E_NS1_11comp_targetILNS1_3genE9ELNS1_11target_archE1100ELNS1_3gpuE3ELNS1_3repE0EEENS1_30default_config_static_selectorELNS0_4arch9wavefront6targetE1EEEvT1_
; %bb.0:
	.section	.rodata,"a",@progbits
	.p2align	6, 0x0
	.amdhsa_kernel _ZN7rocprim17ROCPRIM_400000_NS6detail17trampoline_kernelINS0_14default_configENS1_35adjacent_difference_config_selectorILb1EaEEZNS1_24adjacent_difference_implIS3_Lb1ELb0EPaS7_N6thrust23THRUST_200600_302600_NS5minusIaEEEE10hipError_tPvRmT2_T3_mT4_P12ihipStream_tbEUlT_E_NS1_11comp_targetILNS1_3genE9ELNS1_11target_archE1100ELNS1_3gpuE3ELNS1_3repE0EEENS1_30default_config_static_selectorELNS0_4arch9wavefront6targetE1EEEvT1_
		.amdhsa_group_segment_fixed_size 0
		.amdhsa_private_segment_fixed_size 0
		.amdhsa_kernarg_size 56
		.amdhsa_user_sgpr_count 2
		.amdhsa_user_sgpr_dispatch_ptr 0
		.amdhsa_user_sgpr_queue_ptr 0
		.amdhsa_user_sgpr_kernarg_segment_ptr 1
		.amdhsa_user_sgpr_dispatch_id 0
		.amdhsa_user_sgpr_kernarg_preload_length 0
		.amdhsa_user_sgpr_kernarg_preload_offset 0
		.amdhsa_user_sgpr_private_segment_size 0
		.amdhsa_uses_dynamic_stack 0
		.amdhsa_enable_private_segment 0
		.amdhsa_system_sgpr_workgroup_id_x 1
		.amdhsa_system_sgpr_workgroup_id_y 0
		.amdhsa_system_sgpr_workgroup_id_z 0
		.amdhsa_system_sgpr_workgroup_info 0
		.amdhsa_system_vgpr_workitem_id 0
		.amdhsa_next_free_vgpr 1
		.amdhsa_next_free_sgpr 0
		.amdhsa_accum_offset 4
		.amdhsa_reserve_vcc 0
		.amdhsa_float_round_mode_32 0
		.amdhsa_float_round_mode_16_64 0
		.amdhsa_float_denorm_mode_32 3
		.amdhsa_float_denorm_mode_16_64 3
		.amdhsa_dx10_clamp 1
		.amdhsa_ieee_mode 1
		.amdhsa_fp16_overflow 0
		.amdhsa_tg_split 0
		.amdhsa_exception_fp_ieee_invalid_op 0
		.amdhsa_exception_fp_denorm_src 0
		.amdhsa_exception_fp_ieee_div_zero 0
		.amdhsa_exception_fp_ieee_overflow 0
		.amdhsa_exception_fp_ieee_underflow 0
		.amdhsa_exception_fp_ieee_inexact 0
		.amdhsa_exception_int_div_zero 0
	.end_amdhsa_kernel
	.section	.text._ZN7rocprim17ROCPRIM_400000_NS6detail17trampoline_kernelINS0_14default_configENS1_35adjacent_difference_config_selectorILb1EaEEZNS1_24adjacent_difference_implIS3_Lb1ELb0EPaS7_N6thrust23THRUST_200600_302600_NS5minusIaEEEE10hipError_tPvRmT2_T3_mT4_P12ihipStream_tbEUlT_E_NS1_11comp_targetILNS1_3genE9ELNS1_11target_archE1100ELNS1_3gpuE3ELNS1_3repE0EEENS1_30default_config_static_selectorELNS0_4arch9wavefront6targetE1EEEvT1_,"axG",@progbits,_ZN7rocprim17ROCPRIM_400000_NS6detail17trampoline_kernelINS0_14default_configENS1_35adjacent_difference_config_selectorILb1EaEEZNS1_24adjacent_difference_implIS3_Lb1ELb0EPaS7_N6thrust23THRUST_200600_302600_NS5minusIaEEEE10hipError_tPvRmT2_T3_mT4_P12ihipStream_tbEUlT_E_NS1_11comp_targetILNS1_3genE9ELNS1_11target_archE1100ELNS1_3gpuE3ELNS1_3repE0EEENS1_30default_config_static_selectorELNS0_4arch9wavefront6targetE1EEEvT1_,comdat
.Lfunc_end24:
	.size	_ZN7rocprim17ROCPRIM_400000_NS6detail17trampoline_kernelINS0_14default_configENS1_35adjacent_difference_config_selectorILb1EaEEZNS1_24adjacent_difference_implIS3_Lb1ELb0EPaS7_N6thrust23THRUST_200600_302600_NS5minusIaEEEE10hipError_tPvRmT2_T3_mT4_P12ihipStream_tbEUlT_E_NS1_11comp_targetILNS1_3genE9ELNS1_11target_archE1100ELNS1_3gpuE3ELNS1_3repE0EEENS1_30default_config_static_selectorELNS0_4arch9wavefront6targetE1EEEvT1_, .Lfunc_end24-_ZN7rocprim17ROCPRIM_400000_NS6detail17trampoline_kernelINS0_14default_configENS1_35adjacent_difference_config_selectorILb1EaEEZNS1_24adjacent_difference_implIS3_Lb1ELb0EPaS7_N6thrust23THRUST_200600_302600_NS5minusIaEEEE10hipError_tPvRmT2_T3_mT4_P12ihipStream_tbEUlT_E_NS1_11comp_targetILNS1_3genE9ELNS1_11target_archE1100ELNS1_3gpuE3ELNS1_3repE0EEENS1_30default_config_static_selectorELNS0_4arch9wavefront6targetE1EEEvT1_
                                        ; -- End function
	.section	.AMDGPU.csdata,"",@progbits
; Kernel info:
; codeLenInByte = 0
; NumSgprs: 6
; NumVgprs: 0
; NumAgprs: 0
; TotalNumVgprs: 0
; ScratchSize: 0
; MemoryBound: 0
; FloatMode: 240
; IeeeMode: 1
; LDSByteSize: 0 bytes/workgroup (compile time only)
; SGPRBlocks: 0
; VGPRBlocks: 0
; NumSGPRsForWavesPerEU: 6
; NumVGPRsForWavesPerEU: 1
; AccumOffset: 4
; Occupancy: 8
; WaveLimiterHint : 0
; COMPUTE_PGM_RSRC2:SCRATCH_EN: 0
; COMPUTE_PGM_RSRC2:USER_SGPR: 2
; COMPUTE_PGM_RSRC2:TRAP_HANDLER: 0
; COMPUTE_PGM_RSRC2:TGID_X_EN: 1
; COMPUTE_PGM_RSRC2:TGID_Y_EN: 0
; COMPUTE_PGM_RSRC2:TGID_Z_EN: 0
; COMPUTE_PGM_RSRC2:TIDIG_COMP_CNT: 0
; COMPUTE_PGM_RSRC3_GFX90A:ACCUM_OFFSET: 0
; COMPUTE_PGM_RSRC3_GFX90A:TG_SPLIT: 0
	.section	.text._ZN7rocprim17ROCPRIM_400000_NS6detail17trampoline_kernelINS0_14default_configENS1_35adjacent_difference_config_selectorILb1EaEEZNS1_24adjacent_difference_implIS3_Lb1ELb0EPaS7_N6thrust23THRUST_200600_302600_NS5minusIaEEEE10hipError_tPvRmT2_T3_mT4_P12ihipStream_tbEUlT_E_NS1_11comp_targetILNS1_3genE8ELNS1_11target_archE1030ELNS1_3gpuE2ELNS1_3repE0EEENS1_30default_config_static_selectorELNS0_4arch9wavefront6targetE1EEEvT1_,"axG",@progbits,_ZN7rocprim17ROCPRIM_400000_NS6detail17trampoline_kernelINS0_14default_configENS1_35adjacent_difference_config_selectorILb1EaEEZNS1_24adjacent_difference_implIS3_Lb1ELb0EPaS7_N6thrust23THRUST_200600_302600_NS5minusIaEEEE10hipError_tPvRmT2_T3_mT4_P12ihipStream_tbEUlT_E_NS1_11comp_targetILNS1_3genE8ELNS1_11target_archE1030ELNS1_3gpuE2ELNS1_3repE0EEENS1_30default_config_static_selectorELNS0_4arch9wavefront6targetE1EEEvT1_,comdat
	.protected	_ZN7rocprim17ROCPRIM_400000_NS6detail17trampoline_kernelINS0_14default_configENS1_35adjacent_difference_config_selectorILb1EaEEZNS1_24adjacent_difference_implIS3_Lb1ELb0EPaS7_N6thrust23THRUST_200600_302600_NS5minusIaEEEE10hipError_tPvRmT2_T3_mT4_P12ihipStream_tbEUlT_E_NS1_11comp_targetILNS1_3genE8ELNS1_11target_archE1030ELNS1_3gpuE2ELNS1_3repE0EEENS1_30default_config_static_selectorELNS0_4arch9wavefront6targetE1EEEvT1_ ; -- Begin function _ZN7rocprim17ROCPRIM_400000_NS6detail17trampoline_kernelINS0_14default_configENS1_35adjacent_difference_config_selectorILb1EaEEZNS1_24adjacent_difference_implIS3_Lb1ELb0EPaS7_N6thrust23THRUST_200600_302600_NS5minusIaEEEE10hipError_tPvRmT2_T3_mT4_P12ihipStream_tbEUlT_E_NS1_11comp_targetILNS1_3genE8ELNS1_11target_archE1030ELNS1_3gpuE2ELNS1_3repE0EEENS1_30default_config_static_selectorELNS0_4arch9wavefront6targetE1EEEvT1_
	.globl	_ZN7rocprim17ROCPRIM_400000_NS6detail17trampoline_kernelINS0_14default_configENS1_35adjacent_difference_config_selectorILb1EaEEZNS1_24adjacent_difference_implIS3_Lb1ELb0EPaS7_N6thrust23THRUST_200600_302600_NS5minusIaEEEE10hipError_tPvRmT2_T3_mT4_P12ihipStream_tbEUlT_E_NS1_11comp_targetILNS1_3genE8ELNS1_11target_archE1030ELNS1_3gpuE2ELNS1_3repE0EEENS1_30default_config_static_selectorELNS0_4arch9wavefront6targetE1EEEvT1_
	.p2align	8
	.type	_ZN7rocprim17ROCPRIM_400000_NS6detail17trampoline_kernelINS0_14default_configENS1_35adjacent_difference_config_selectorILb1EaEEZNS1_24adjacent_difference_implIS3_Lb1ELb0EPaS7_N6thrust23THRUST_200600_302600_NS5minusIaEEEE10hipError_tPvRmT2_T3_mT4_P12ihipStream_tbEUlT_E_NS1_11comp_targetILNS1_3genE8ELNS1_11target_archE1030ELNS1_3gpuE2ELNS1_3repE0EEENS1_30default_config_static_selectorELNS0_4arch9wavefront6targetE1EEEvT1_,@function
_ZN7rocprim17ROCPRIM_400000_NS6detail17trampoline_kernelINS0_14default_configENS1_35adjacent_difference_config_selectorILb1EaEEZNS1_24adjacent_difference_implIS3_Lb1ELb0EPaS7_N6thrust23THRUST_200600_302600_NS5minusIaEEEE10hipError_tPvRmT2_T3_mT4_P12ihipStream_tbEUlT_E_NS1_11comp_targetILNS1_3genE8ELNS1_11target_archE1030ELNS1_3gpuE2ELNS1_3repE0EEENS1_30default_config_static_selectorELNS0_4arch9wavefront6targetE1EEEvT1_: ; @_ZN7rocprim17ROCPRIM_400000_NS6detail17trampoline_kernelINS0_14default_configENS1_35adjacent_difference_config_selectorILb1EaEEZNS1_24adjacent_difference_implIS3_Lb1ELb0EPaS7_N6thrust23THRUST_200600_302600_NS5minusIaEEEE10hipError_tPvRmT2_T3_mT4_P12ihipStream_tbEUlT_E_NS1_11comp_targetILNS1_3genE8ELNS1_11target_archE1030ELNS1_3gpuE2ELNS1_3repE0EEENS1_30default_config_static_selectorELNS0_4arch9wavefront6targetE1EEEvT1_
; %bb.0:
	.section	.rodata,"a",@progbits
	.p2align	6, 0x0
	.amdhsa_kernel _ZN7rocprim17ROCPRIM_400000_NS6detail17trampoline_kernelINS0_14default_configENS1_35adjacent_difference_config_selectorILb1EaEEZNS1_24adjacent_difference_implIS3_Lb1ELb0EPaS7_N6thrust23THRUST_200600_302600_NS5minusIaEEEE10hipError_tPvRmT2_T3_mT4_P12ihipStream_tbEUlT_E_NS1_11comp_targetILNS1_3genE8ELNS1_11target_archE1030ELNS1_3gpuE2ELNS1_3repE0EEENS1_30default_config_static_selectorELNS0_4arch9wavefront6targetE1EEEvT1_
		.amdhsa_group_segment_fixed_size 0
		.amdhsa_private_segment_fixed_size 0
		.amdhsa_kernarg_size 56
		.amdhsa_user_sgpr_count 2
		.amdhsa_user_sgpr_dispatch_ptr 0
		.amdhsa_user_sgpr_queue_ptr 0
		.amdhsa_user_sgpr_kernarg_segment_ptr 1
		.amdhsa_user_sgpr_dispatch_id 0
		.amdhsa_user_sgpr_kernarg_preload_length 0
		.amdhsa_user_sgpr_kernarg_preload_offset 0
		.amdhsa_user_sgpr_private_segment_size 0
		.amdhsa_uses_dynamic_stack 0
		.amdhsa_enable_private_segment 0
		.amdhsa_system_sgpr_workgroup_id_x 1
		.amdhsa_system_sgpr_workgroup_id_y 0
		.amdhsa_system_sgpr_workgroup_id_z 0
		.amdhsa_system_sgpr_workgroup_info 0
		.amdhsa_system_vgpr_workitem_id 0
		.amdhsa_next_free_vgpr 1
		.amdhsa_next_free_sgpr 0
		.amdhsa_accum_offset 4
		.amdhsa_reserve_vcc 0
		.amdhsa_float_round_mode_32 0
		.amdhsa_float_round_mode_16_64 0
		.amdhsa_float_denorm_mode_32 3
		.amdhsa_float_denorm_mode_16_64 3
		.amdhsa_dx10_clamp 1
		.amdhsa_ieee_mode 1
		.amdhsa_fp16_overflow 0
		.amdhsa_tg_split 0
		.amdhsa_exception_fp_ieee_invalid_op 0
		.amdhsa_exception_fp_denorm_src 0
		.amdhsa_exception_fp_ieee_div_zero 0
		.amdhsa_exception_fp_ieee_overflow 0
		.amdhsa_exception_fp_ieee_underflow 0
		.amdhsa_exception_fp_ieee_inexact 0
		.amdhsa_exception_int_div_zero 0
	.end_amdhsa_kernel
	.section	.text._ZN7rocprim17ROCPRIM_400000_NS6detail17trampoline_kernelINS0_14default_configENS1_35adjacent_difference_config_selectorILb1EaEEZNS1_24adjacent_difference_implIS3_Lb1ELb0EPaS7_N6thrust23THRUST_200600_302600_NS5minusIaEEEE10hipError_tPvRmT2_T3_mT4_P12ihipStream_tbEUlT_E_NS1_11comp_targetILNS1_3genE8ELNS1_11target_archE1030ELNS1_3gpuE2ELNS1_3repE0EEENS1_30default_config_static_selectorELNS0_4arch9wavefront6targetE1EEEvT1_,"axG",@progbits,_ZN7rocprim17ROCPRIM_400000_NS6detail17trampoline_kernelINS0_14default_configENS1_35adjacent_difference_config_selectorILb1EaEEZNS1_24adjacent_difference_implIS3_Lb1ELb0EPaS7_N6thrust23THRUST_200600_302600_NS5minusIaEEEE10hipError_tPvRmT2_T3_mT4_P12ihipStream_tbEUlT_E_NS1_11comp_targetILNS1_3genE8ELNS1_11target_archE1030ELNS1_3gpuE2ELNS1_3repE0EEENS1_30default_config_static_selectorELNS0_4arch9wavefront6targetE1EEEvT1_,comdat
.Lfunc_end25:
	.size	_ZN7rocprim17ROCPRIM_400000_NS6detail17trampoline_kernelINS0_14default_configENS1_35adjacent_difference_config_selectorILb1EaEEZNS1_24adjacent_difference_implIS3_Lb1ELb0EPaS7_N6thrust23THRUST_200600_302600_NS5minusIaEEEE10hipError_tPvRmT2_T3_mT4_P12ihipStream_tbEUlT_E_NS1_11comp_targetILNS1_3genE8ELNS1_11target_archE1030ELNS1_3gpuE2ELNS1_3repE0EEENS1_30default_config_static_selectorELNS0_4arch9wavefront6targetE1EEEvT1_, .Lfunc_end25-_ZN7rocprim17ROCPRIM_400000_NS6detail17trampoline_kernelINS0_14default_configENS1_35adjacent_difference_config_selectorILb1EaEEZNS1_24adjacent_difference_implIS3_Lb1ELb0EPaS7_N6thrust23THRUST_200600_302600_NS5minusIaEEEE10hipError_tPvRmT2_T3_mT4_P12ihipStream_tbEUlT_E_NS1_11comp_targetILNS1_3genE8ELNS1_11target_archE1030ELNS1_3gpuE2ELNS1_3repE0EEENS1_30default_config_static_selectorELNS0_4arch9wavefront6targetE1EEEvT1_
                                        ; -- End function
	.section	.AMDGPU.csdata,"",@progbits
; Kernel info:
; codeLenInByte = 0
; NumSgprs: 6
; NumVgprs: 0
; NumAgprs: 0
; TotalNumVgprs: 0
; ScratchSize: 0
; MemoryBound: 0
; FloatMode: 240
; IeeeMode: 1
; LDSByteSize: 0 bytes/workgroup (compile time only)
; SGPRBlocks: 0
; VGPRBlocks: 0
; NumSGPRsForWavesPerEU: 6
; NumVGPRsForWavesPerEU: 1
; AccumOffset: 4
; Occupancy: 8
; WaveLimiterHint : 0
; COMPUTE_PGM_RSRC2:SCRATCH_EN: 0
; COMPUTE_PGM_RSRC2:USER_SGPR: 2
; COMPUTE_PGM_RSRC2:TRAP_HANDLER: 0
; COMPUTE_PGM_RSRC2:TGID_X_EN: 1
; COMPUTE_PGM_RSRC2:TGID_Y_EN: 0
; COMPUTE_PGM_RSRC2:TGID_Z_EN: 0
; COMPUTE_PGM_RSRC2:TIDIG_COMP_CNT: 0
; COMPUTE_PGM_RSRC3_GFX90A:ACCUM_OFFSET: 0
; COMPUTE_PGM_RSRC3_GFX90A:TG_SPLIT: 0
	.section	.text._ZN7rocprim17ROCPRIM_400000_NS6detail17trampoline_kernelINS0_14default_configENS1_35adjacent_difference_config_selectorILb0EaEEZNS1_24adjacent_difference_implIS3_Lb0ELb0EPaS7_N6thrust23THRUST_200600_302600_NS4plusIaEEEE10hipError_tPvRmT2_T3_mT4_P12ihipStream_tbEUlT_E_NS1_11comp_targetILNS1_3genE0ELNS1_11target_archE4294967295ELNS1_3gpuE0ELNS1_3repE0EEENS1_30default_config_static_selectorELNS0_4arch9wavefront6targetE1EEEvT1_,"axG",@progbits,_ZN7rocprim17ROCPRIM_400000_NS6detail17trampoline_kernelINS0_14default_configENS1_35adjacent_difference_config_selectorILb0EaEEZNS1_24adjacent_difference_implIS3_Lb0ELb0EPaS7_N6thrust23THRUST_200600_302600_NS4plusIaEEEE10hipError_tPvRmT2_T3_mT4_P12ihipStream_tbEUlT_E_NS1_11comp_targetILNS1_3genE0ELNS1_11target_archE4294967295ELNS1_3gpuE0ELNS1_3repE0EEENS1_30default_config_static_selectorELNS0_4arch9wavefront6targetE1EEEvT1_,comdat
	.protected	_ZN7rocprim17ROCPRIM_400000_NS6detail17trampoline_kernelINS0_14default_configENS1_35adjacent_difference_config_selectorILb0EaEEZNS1_24adjacent_difference_implIS3_Lb0ELb0EPaS7_N6thrust23THRUST_200600_302600_NS4plusIaEEEE10hipError_tPvRmT2_T3_mT4_P12ihipStream_tbEUlT_E_NS1_11comp_targetILNS1_3genE0ELNS1_11target_archE4294967295ELNS1_3gpuE0ELNS1_3repE0EEENS1_30default_config_static_selectorELNS0_4arch9wavefront6targetE1EEEvT1_ ; -- Begin function _ZN7rocprim17ROCPRIM_400000_NS6detail17trampoline_kernelINS0_14default_configENS1_35adjacent_difference_config_selectorILb0EaEEZNS1_24adjacent_difference_implIS3_Lb0ELb0EPaS7_N6thrust23THRUST_200600_302600_NS4plusIaEEEE10hipError_tPvRmT2_T3_mT4_P12ihipStream_tbEUlT_E_NS1_11comp_targetILNS1_3genE0ELNS1_11target_archE4294967295ELNS1_3gpuE0ELNS1_3repE0EEENS1_30default_config_static_selectorELNS0_4arch9wavefront6targetE1EEEvT1_
	.globl	_ZN7rocprim17ROCPRIM_400000_NS6detail17trampoline_kernelINS0_14default_configENS1_35adjacent_difference_config_selectorILb0EaEEZNS1_24adjacent_difference_implIS3_Lb0ELb0EPaS7_N6thrust23THRUST_200600_302600_NS4plusIaEEEE10hipError_tPvRmT2_T3_mT4_P12ihipStream_tbEUlT_E_NS1_11comp_targetILNS1_3genE0ELNS1_11target_archE4294967295ELNS1_3gpuE0ELNS1_3repE0EEENS1_30default_config_static_selectorELNS0_4arch9wavefront6targetE1EEEvT1_
	.p2align	8
	.type	_ZN7rocprim17ROCPRIM_400000_NS6detail17trampoline_kernelINS0_14default_configENS1_35adjacent_difference_config_selectorILb0EaEEZNS1_24adjacent_difference_implIS3_Lb0ELb0EPaS7_N6thrust23THRUST_200600_302600_NS4plusIaEEEE10hipError_tPvRmT2_T3_mT4_P12ihipStream_tbEUlT_E_NS1_11comp_targetILNS1_3genE0ELNS1_11target_archE4294967295ELNS1_3gpuE0ELNS1_3repE0EEENS1_30default_config_static_selectorELNS0_4arch9wavefront6targetE1EEEvT1_,@function
_ZN7rocprim17ROCPRIM_400000_NS6detail17trampoline_kernelINS0_14default_configENS1_35adjacent_difference_config_selectorILb0EaEEZNS1_24adjacent_difference_implIS3_Lb0ELb0EPaS7_N6thrust23THRUST_200600_302600_NS4plusIaEEEE10hipError_tPvRmT2_T3_mT4_P12ihipStream_tbEUlT_E_NS1_11comp_targetILNS1_3genE0ELNS1_11target_archE4294967295ELNS1_3gpuE0ELNS1_3repE0EEENS1_30default_config_static_selectorELNS0_4arch9wavefront6targetE1EEEvT1_: ; @_ZN7rocprim17ROCPRIM_400000_NS6detail17trampoline_kernelINS0_14default_configENS1_35adjacent_difference_config_selectorILb0EaEEZNS1_24adjacent_difference_implIS3_Lb0ELb0EPaS7_N6thrust23THRUST_200600_302600_NS4plusIaEEEE10hipError_tPvRmT2_T3_mT4_P12ihipStream_tbEUlT_E_NS1_11comp_targetILNS1_3genE0ELNS1_11target_archE4294967295ELNS1_3gpuE0ELNS1_3repE0EEENS1_30default_config_static_selectorELNS0_4arch9wavefront6targetE1EEEvT1_
; %bb.0:
	.section	.rodata,"a",@progbits
	.p2align	6, 0x0
	.amdhsa_kernel _ZN7rocprim17ROCPRIM_400000_NS6detail17trampoline_kernelINS0_14default_configENS1_35adjacent_difference_config_selectorILb0EaEEZNS1_24adjacent_difference_implIS3_Lb0ELb0EPaS7_N6thrust23THRUST_200600_302600_NS4plusIaEEEE10hipError_tPvRmT2_T3_mT4_P12ihipStream_tbEUlT_E_NS1_11comp_targetILNS1_3genE0ELNS1_11target_archE4294967295ELNS1_3gpuE0ELNS1_3repE0EEENS1_30default_config_static_selectorELNS0_4arch9wavefront6targetE1EEEvT1_
		.amdhsa_group_segment_fixed_size 0
		.amdhsa_private_segment_fixed_size 0
		.amdhsa_kernarg_size 56
		.amdhsa_user_sgpr_count 2
		.amdhsa_user_sgpr_dispatch_ptr 0
		.amdhsa_user_sgpr_queue_ptr 0
		.amdhsa_user_sgpr_kernarg_segment_ptr 1
		.amdhsa_user_sgpr_dispatch_id 0
		.amdhsa_user_sgpr_kernarg_preload_length 0
		.amdhsa_user_sgpr_kernarg_preload_offset 0
		.amdhsa_user_sgpr_private_segment_size 0
		.amdhsa_uses_dynamic_stack 0
		.amdhsa_enable_private_segment 0
		.amdhsa_system_sgpr_workgroup_id_x 1
		.amdhsa_system_sgpr_workgroup_id_y 0
		.amdhsa_system_sgpr_workgroup_id_z 0
		.amdhsa_system_sgpr_workgroup_info 0
		.amdhsa_system_vgpr_workitem_id 0
		.amdhsa_next_free_vgpr 1
		.amdhsa_next_free_sgpr 0
		.amdhsa_accum_offset 4
		.amdhsa_reserve_vcc 0
		.amdhsa_float_round_mode_32 0
		.amdhsa_float_round_mode_16_64 0
		.amdhsa_float_denorm_mode_32 3
		.amdhsa_float_denorm_mode_16_64 3
		.amdhsa_dx10_clamp 1
		.amdhsa_ieee_mode 1
		.amdhsa_fp16_overflow 0
		.amdhsa_tg_split 0
		.amdhsa_exception_fp_ieee_invalid_op 0
		.amdhsa_exception_fp_denorm_src 0
		.amdhsa_exception_fp_ieee_div_zero 0
		.amdhsa_exception_fp_ieee_overflow 0
		.amdhsa_exception_fp_ieee_underflow 0
		.amdhsa_exception_fp_ieee_inexact 0
		.amdhsa_exception_int_div_zero 0
	.end_amdhsa_kernel
	.section	.text._ZN7rocprim17ROCPRIM_400000_NS6detail17trampoline_kernelINS0_14default_configENS1_35adjacent_difference_config_selectorILb0EaEEZNS1_24adjacent_difference_implIS3_Lb0ELb0EPaS7_N6thrust23THRUST_200600_302600_NS4plusIaEEEE10hipError_tPvRmT2_T3_mT4_P12ihipStream_tbEUlT_E_NS1_11comp_targetILNS1_3genE0ELNS1_11target_archE4294967295ELNS1_3gpuE0ELNS1_3repE0EEENS1_30default_config_static_selectorELNS0_4arch9wavefront6targetE1EEEvT1_,"axG",@progbits,_ZN7rocprim17ROCPRIM_400000_NS6detail17trampoline_kernelINS0_14default_configENS1_35adjacent_difference_config_selectorILb0EaEEZNS1_24adjacent_difference_implIS3_Lb0ELb0EPaS7_N6thrust23THRUST_200600_302600_NS4plusIaEEEE10hipError_tPvRmT2_T3_mT4_P12ihipStream_tbEUlT_E_NS1_11comp_targetILNS1_3genE0ELNS1_11target_archE4294967295ELNS1_3gpuE0ELNS1_3repE0EEENS1_30default_config_static_selectorELNS0_4arch9wavefront6targetE1EEEvT1_,comdat
.Lfunc_end26:
	.size	_ZN7rocprim17ROCPRIM_400000_NS6detail17trampoline_kernelINS0_14default_configENS1_35adjacent_difference_config_selectorILb0EaEEZNS1_24adjacent_difference_implIS3_Lb0ELb0EPaS7_N6thrust23THRUST_200600_302600_NS4plusIaEEEE10hipError_tPvRmT2_T3_mT4_P12ihipStream_tbEUlT_E_NS1_11comp_targetILNS1_3genE0ELNS1_11target_archE4294967295ELNS1_3gpuE0ELNS1_3repE0EEENS1_30default_config_static_selectorELNS0_4arch9wavefront6targetE1EEEvT1_, .Lfunc_end26-_ZN7rocprim17ROCPRIM_400000_NS6detail17trampoline_kernelINS0_14default_configENS1_35adjacent_difference_config_selectorILb0EaEEZNS1_24adjacent_difference_implIS3_Lb0ELb0EPaS7_N6thrust23THRUST_200600_302600_NS4plusIaEEEE10hipError_tPvRmT2_T3_mT4_P12ihipStream_tbEUlT_E_NS1_11comp_targetILNS1_3genE0ELNS1_11target_archE4294967295ELNS1_3gpuE0ELNS1_3repE0EEENS1_30default_config_static_selectorELNS0_4arch9wavefront6targetE1EEEvT1_
                                        ; -- End function
	.section	.AMDGPU.csdata,"",@progbits
; Kernel info:
; codeLenInByte = 0
; NumSgprs: 6
; NumVgprs: 0
; NumAgprs: 0
; TotalNumVgprs: 0
; ScratchSize: 0
; MemoryBound: 0
; FloatMode: 240
; IeeeMode: 1
; LDSByteSize: 0 bytes/workgroup (compile time only)
; SGPRBlocks: 0
; VGPRBlocks: 0
; NumSGPRsForWavesPerEU: 6
; NumVGPRsForWavesPerEU: 1
; AccumOffset: 4
; Occupancy: 8
; WaveLimiterHint : 0
; COMPUTE_PGM_RSRC2:SCRATCH_EN: 0
; COMPUTE_PGM_RSRC2:USER_SGPR: 2
; COMPUTE_PGM_RSRC2:TRAP_HANDLER: 0
; COMPUTE_PGM_RSRC2:TGID_X_EN: 1
; COMPUTE_PGM_RSRC2:TGID_Y_EN: 0
; COMPUTE_PGM_RSRC2:TGID_Z_EN: 0
; COMPUTE_PGM_RSRC2:TIDIG_COMP_CNT: 0
; COMPUTE_PGM_RSRC3_GFX90A:ACCUM_OFFSET: 0
; COMPUTE_PGM_RSRC3_GFX90A:TG_SPLIT: 0
	.section	.text._ZN7rocprim17ROCPRIM_400000_NS6detail17trampoline_kernelINS0_14default_configENS1_35adjacent_difference_config_selectorILb0EaEEZNS1_24adjacent_difference_implIS3_Lb0ELb0EPaS7_N6thrust23THRUST_200600_302600_NS4plusIaEEEE10hipError_tPvRmT2_T3_mT4_P12ihipStream_tbEUlT_E_NS1_11comp_targetILNS1_3genE10ELNS1_11target_archE1201ELNS1_3gpuE5ELNS1_3repE0EEENS1_30default_config_static_selectorELNS0_4arch9wavefront6targetE1EEEvT1_,"axG",@progbits,_ZN7rocprim17ROCPRIM_400000_NS6detail17trampoline_kernelINS0_14default_configENS1_35adjacent_difference_config_selectorILb0EaEEZNS1_24adjacent_difference_implIS3_Lb0ELb0EPaS7_N6thrust23THRUST_200600_302600_NS4plusIaEEEE10hipError_tPvRmT2_T3_mT4_P12ihipStream_tbEUlT_E_NS1_11comp_targetILNS1_3genE10ELNS1_11target_archE1201ELNS1_3gpuE5ELNS1_3repE0EEENS1_30default_config_static_selectorELNS0_4arch9wavefront6targetE1EEEvT1_,comdat
	.protected	_ZN7rocprim17ROCPRIM_400000_NS6detail17trampoline_kernelINS0_14default_configENS1_35adjacent_difference_config_selectorILb0EaEEZNS1_24adjacent_difference_implIS3_Lb0ELb0EPaS7_N6thrust23THRUST_200600_302600_NS4plusIaEEEE10hipError_tPvRmT2_T3_mT4_P12ihipStream_tbEUlT_E_NS1_11comp_targetILNS1_3genE10ELNS1_11target_archE1201ELNS1_3gpuE5ELNS1_3repE0EEENS1_30default_config_static_selectorELNS0_4arch9wavefront6targetE1EEEvT1_ ; -- Begin function _ZN7rocprim17ROCPRIM_400000_NS6detail17trampoline_kernelINS0_14default_configENS1_35adjacent_difference_config_selectorILb0EaEEZNS1_24adjacent_difference_implIS3_Lb0ELb0EPaS7_N6thrust23THRUST_200600_302600_NS4plusIaEEEE10hipError_tPvRmT2_T3_mT4_P12ihipStream_tbEUlT_E_NS1_11comp_targetILNS1_3genE10ELNS1_11target_archE1201ELNS1_3gpuE5ELNS1_3repE0EEENS1_30default_config_static_selectorELNS0_4arch9wavefront6targetE1EEEvT1_
	.globl	_ZN7rocprim17ROCPRIM_400000_NS6detail17trampoline_kernelINS0_14default_configENS1_35adjacent_difference_config_selectorILb0EaEEZNS1_24adjacent_difference_implIS3_Lb0ELb0EPaS7_N6thrust23THRUST_200600_302600_NS4plusIaEEEE10hipError_tPvRmT2_T3_mT4_P12ihipStream_tbEUlT_E_NS1_11comp_targetILNS1_3genE10ELNS1_11target_archE1201ELNS1_3gpuE5ELNS1_3repE0EEENS1_30default_config_static_selectorELNS0_4arch9wavefront6targetE1EEEvT1_
	.p2align	8
	.type	_ZN7rocprim17ROCPRIM_400000_NS6detail17trampoline_kernelINS0_14default_configENS1_35adjacent_difference_config_selectorILb0EaEEZNS1_24adjacent_difference_implIS3_Lb0ELb0EPaS7_N6thrust23THRUST_200600_302600_NS4plusIaEEEE10hipError_tPvRmT2_T3_mT4_P12ihipStream_tbEUlT_E_NS1_11comp_targetILNS1_3genE10ELNS1_11target_archE1201ELNS1_3gpuE5ELNS1_3repE0EEENS1_30default_config_static_selectorELNS0_4arch9wavefront6targetE1EEEvT1_,@function
_ZN7rocprim17ROCPRIM_400000_NS6detail17trampoline_kernelINS0_14default_configENS1_35adjacent_difference_config_selectorILb0EaEEZNS1_24adjacent_difference_implIS3_Lb0ELb0EPaS7_N6thrust23THRUST_200600_302600_NS4plusIaEEEE10hipError_tPvRmT2_T3_mT4_P12ihipStream_tbEUlT_E_NS1_11comp_targetILNS1_3genE10ELNS1_11target_archE1201ELNS1_3gpuE5ELNS1_3repE0EEENS1_30default_config_static_selectorELNS0_4arch9wavefront6targetE1EEEvT1_: ; @_ZN7rocprim17ROCPRIM_400000_NS6detail17trampoline_kernelINS0_14default_configENS1_35adjacent_difference_config_selectorILb0EaEEZNS1_24adjacent_difference_implIS3_Lb0ELb0EPaS7_N6thrust23THRUST_200600_302600_NS4plusIaEEEE10hipError_tPvRmT2_T3_mT4_P12ihipStream_tbEUlT_E_NS1_11comp_targetILNS1_3genE10ELNS1_11target_archE1201ELNS1_3gpuE5ELNS1_3repE0EEENS1_30default_config_static_selectorELNS0_4arch9wavefront6targetE1EEEvT1_
; %bb.0:
	.section	.rodata,"a",@progbits
	.p2align	6, 0x0
	.amdhsa_kernel _ZN7rocprim17ROCPRIM_400000_NS6detail17trampoline_kernelINS0_14default_configENS1_35adjacent_difference_config_selectorILb0EaEEZNS1_24adjacent_difference_implIS3_Lb0ELb0EPaS7_N6thrust23THRUST_200600_302600_NS4plusIaEEEE10hipError_tPvRmT2_T3_mT4_P12ihipStream_tbEUlT_E_NS1_11comp_targetILNS1_3genE10ELNS1_11target_archE1201ELNS1_3gpuE5ELNS1_3repE0EEENS1_30default_config_static_selectorELNS0_4arch9wavefront6targetE1EEEvT1_
		.amdhsa_group_segment_fixed_size 0
		.amdhsa_private_segment_fixed_size 0
		.amdhsa_kernarg_size 56
		.amdhsa_user_sgpr_count 2
		.amdhsa_user_sgpr_dispatch_ptr 0
		.amdhsa_user_sgpr_queue_ptr 0
		.amdhsa_user_sgpr_kernarg_segment_ptr 1
		.amdhsa_user_sgpr_dispatch_id 0
		.amdhsa_user_sgpr_kernarg_preload_length 0
		.amdhsa_user_sgpr_kernarg_preload_offset 0
		.amdhsa_user_sgpr_private_segment_size 0
		.amdhsa_uses_dynamic_stack 0
		.amdhsa_enable_private_segment 0
		.amdhsa_system_sgpr_workgroup_id_x 1
		.amdhsa_system_sgpr_workgroup_id_y 0
		.amdhsa_system_sgpr_workgroup_id_z 0
		.amdhsa_system_sgpr_workgroup_info 0
		.amdhsa_system_vgpr_workitem_id 0
		.amdhsa_next_free_vgpr 1
		.amdhsa_next_free_sgpr 0
		.amdhsa_accum_offset 4
		.amdhsa_reserve_vcc 0
		.amdhsa_float_round_mode_32 0
		.amdhsa_float_round_mode_16_64 0
		.amdhsa_float_denorm_mode_32 3
		.amdhsa_float_denorm_mode_16_64 3
		.amdhsa_dx10_clamp 1
		.amdhsa_ieee_mode 1
		.amdhsa_fp16_overflow 0
		.amdhsa_tg_split 0
		.amdhsa_exception_fp_ieee_invalid_op 0
		.amdhsa_exception_fp_denorm_src 0
		.amdhsa_exception_fp_ieee_div_zero 0
		.amdhsa_exception_fp_ieee_overflow 0
		.amdhsa_exception_fp_ieee_underflow 0
		.amdhsa_exception_fp_ieee_inexact 0
		.amdhsa_exception_int_div_zero 0
	.end_amdhsa_kernel
	.section	.text._ZN7rocprim17ROCPRIM_400000_NS6detail17trampoline_kernelINS0_14default_configENS1_35adjacent_difference_config_selectorILb0EaEEZNS1_24adjacent_difference_implIS3_Lb0ELb0EPaS7_N6thrust23THRUST_200600_302600_NS4plusIaEEEE10hipError_tPvRmT2_T3_mT4_P12ihipStream_tbEUlT_E_NS1_11comp_targetILNS1_3genE10ELNS1_11target_archE1201ELNS1_3gpuE5ELNS1_3repE0EEENS1_30default_config_static_selectorELNS0_4arch9wavefront6targetE1EEEvT1_,"axG",@progbits,_ZN7rocprim17ROCPRIM_400000_NS6detail17trampoline_kernelINS0_14default_configENS1_35adjacent_difference_config_selectorILb0EaEEZNS1_24adjacent_difference_implIS3_Lb0ELb0EPaS7_N6thrust23THRUST_200600_302600_NS4plusIaEEEE10hipError_tPvRmT2_T3_mT4_P12ihipStream_tbEUlT_E_NS1_11comp_targetILNS1_3genE10ELNS1_11target_archE1201ELNS1_3gpuE5ELNS1_3repE0EEENS1_30default_config_static_selectorELNS0_4arch9wavefront6targetE1EEEvT1_,comdat
.Lfunc_end27:
	.size	_ZN7rocprim17ROCPRIM_400000_NS6detail17trampoline_kernelINS0_14default_configENS1_35adjacent_difference_config_selectorILb0EaEEZNS1_24adjacent_difference_implIS3_Lb0ELb0EPaS7_N6thrust23THRUST_200600_302600_NS4plusIaEEEE10hipError_tPvRmT2_T3_mT4_P12ihipStream_tbEUlT_E_NS1_11comp_targetILNS1_3genE10ELNS1_11target_archE1201ELNS1_3gpuE5ELNS1_3repE0EEENS1_30default_config_static_selectorELNS0_4arch9wavefront6targetE1EEEvT1_, .Lfunc_end27-_ZN7rocprim17ROCPRIM_400000_NS6detail17trampoline_kernelINS0_14default_configENS1_35adjacent_difference_config_selectorILb0EaEEZNS1_24adjacent_difference_implIS3_Lb0ELb0EPaS7_N6thrust23THRUST_200600_302600_NS4plusIaEEEE10hipError_tPvRmT2_T3_mT4_P12ihipStream_tbEUlT_E_NS1_11comp_targetILNS1_3genE10ELNS1_11target_archE1201ELNS1_3gpuE5ELNS1_3repE0EEENS1_30default_config_static_selectorELNS0_4arch9wavefront6targetE1EEEvT1_
                                        ; -- End function
	.section	.AMDGPU.csdata,"",@progbits
; Kernel info:
; codeLenInByte = 0
; NumSgprs: 6
; NumVgprs: 0
; NumAgprs: 0
; TotalNumVgprs: 0
; ScratchSize: 0
; MemoryBound: 0
; FloatMode: 240
; IeeeMode: 1
; LDSByteSize: 0 bytes/workgroup (compile time only)
; SGPRBlocks: 0
; VGPRBlocks: 0
; NumSGPRsForWavesPerEU: 6
; NumVGPRsForWavesPerEU: 1
; AccumOffset: 4
; Occupancy: 8
; WaveLimiterHint : 0
; COMPUTE_PGM_RSRC2:SCRATCH_EN: 0
; COMPUTE_PGM_RSRC2:USER_SGPR: 2
; COMPUTE_PGM_RSRC2:TRAP_HANDLER: 0
; COMPUTE_PGM_RSRC2:TGID_X_EN: 1
; COMPUTE_PGM_RSRC2:TGID_Y_EN: 0
; COMPUTE_PGM_RSRC2:TGID_Z_EN: 0
; COMPUTE_PGM_RSRC2:TIDIG_COMP_CNT: 0
; COMPUTE_PGM_RSRC3_GFX90A:ACCUM_OFFSET: 0
; COMPUTE_PGM_RSRC3_GFX90A:TG_SPLIT: 0
	.section	.text._ZN7rocprim17ROCPRIM_400000_NS6detail17trampoline_kernelINS0_14default_configENS1_35adjacent_difference_config_selectorILb0EaEEZNS1_24adjacent_difference_implIS3_Lb0ELb0EPaS7_N6thrust23THRUST_200600_302600_NS4plusIaEEEE10hipError_tPvRmT2_T3_mT4_P12ihipStream_tbEUlT_E_NS1_11comp_targetILNS1_3genE5ELNS1_11target_archE942ELNS1_3gpuE9ELNS1_3repE0EEENS1_30default_config_static_selectorELNS0_4arch9wavefront6targetE1EEEvT1_,"axG",@progbits,_ZN7rocprim17ROCPRIM_400000_NS6detail17trampoline_kernelINS0_14default_configENS1_35adjacent_difference_config_selectorILb0EaEEZNS1_24adjacent_difference_implIS3_Lb0ELb0EPaS7_N6thrust23THRUST_200600_302600_NS4plusIaEEEE10hipError_tPvRmT2_T3_mT4_P12ihipStream_tbEUlT_E_NS1_11comp_targetILNS1_3genE5ELNS1_11target_archE942ELNS1_3gpuE9ELNS1_3repE0EEENS1_30default_config_static_selectorELNS0_4arch9wavefront6targetE1EEEvT1_,comdat
	.protected	_ZN7rocprim17ROCPRIM_400000_NS6detail17trampoline_kernelINS0_14default_configENS1_35adjacent_difference_config_selectorILb0EaEEZNS1_24adjacent_difference_implIS3_Lb0ELb0EPaS7_N6thrust23THRUST_200600_302600_NS4plusIaEEEE10hipError_tPvRmT2_T3_mT4_P12ihipStream_tbEUlT_E_NS1_11comp_targetILNS1_3genE5ELNS1_11target_archE942ELNS1_3gpuE9ELNS1_3repE0EEENS1_30default_config_static_selectorELNS0_4arch9wavefront6targetE1EEEvT1_ ; -- Begin function _ZN7rocprim17ROCPRIM_400000_NS6detail17trampoline_kernelINS0_14default_configENS1_35adjacent_difference_config_selectorILb0EaEEZNS1_24adjacent_difference_implIS3_Lb0ELb0EPaS7_N6thrust23THRUST_200600_302600_NS4plusIaEEEE10hipError_tPvRmT2_T3_mT4_P12ihipStream_tbEUlT_E_NS1_11comp_targetILNS1_3genE5ELNS1_11target_archE942ELNS1_3gpuE9ELNS1_3repE0EEENS1_30default_config_static_selectorELNS0_4arch9wavefront6targetE1EEEvT1_
	.globl	_ZN7rocprim17ROCPRIM_400000_NS6detail17trampoline_kernelINS0_14default_configENS1_35adjacent_difference_config_selectorILb0EaEEZNS1_24adjacent_difference_implIS3_Lb0ELb0EPaS7_N6thrust23THRUST_200600_302600_NS4plusIaEEEE10hipError_tPvRmT2_T3_mT4_P12ihipStream_tbEUlT_E_NS1_11comp_targetILNS1_3genE5ELNS1_11target_archE942ELNS1_3gpuE9ELNS1_3repE0EEENS1_30default_config_static_selectorELNS0_4arch9wavefront6targetE1EEEvT1_
	.p2align	8
	.type	_ZN7rocprim17ROCPRIM_400000_NS6detail17trampoline_kernelINS0_14default_configENS1_35adjacent_difference_config_selectorILb0EaEEZNS1_24adjacent_difference_implIS3_Lb0ELb0EPaS7_N6thrust23THRUST_200600_302600_NS4plusIaEEEE10hipError_tPvRmT2_T3_mT4_P12ihipStream_tbEUlT_E_NS1_11comp_targetILNS1_3genE5ELNS1_11target_archE942ELNS1_3gpuE9ELNS1_3repE0EEENS1_30default_config_static_selectorELNS0_4arch9wavefront6targetE1EEEvT1_,@function
_ZN7rocprim17ROCPRIM_400000_NS6detail17trampoline_kernelINS0_14default_configENS1_35adjacent_difference_config_selectorILb0EaEEZNS1_24adjacent_difference_implIS3_Lb0ELb0EPaS7_N6thrust23THRUST_200600_302600_NS4plusIaEEEE10hipError_tPvRmT2_T3_mT4_P12ihipStream_tbEUlT_E_NS1_11comp_targetILNS1_3genE5ELNS1_11target_archE942ELNS1_3gpuE9ELNS1_3repE0EEENS1_30default_config_static_selectorELNS0_4arch9wavefront6targetE1EEEvT1_: ; @_ZN7rocprim17ROCPRIM_400000_NS6detail17trampoline_kernelINS0_14default_configENS1_35adjacent_difference_config_selectorILb0EaEEZNS1_24adjacent_difference_implIS3_Lb0ELb0EPaS7_N6thrust23THRUST_200600_302600_NS4plusIaEEEE10hipError_tPvRmT2_T3_mT4_P12ihipStream_tbEUlT_E_NS1_11comp_targetILNS1_3genE5ELNS1_11target_archE942ELNS1_3gpuE9ELNS1_3repE0EEENS1_30default_config_static_selectorELNS0_4arch9wavefront6targetE1EEEvT1_
; %bb.0:
	s_load_dwordx8 s[40:47], s[0:1], 0x0
	s_mov_b32 s4, 0x5ca1aca0
	v_bfrev_b32_e32 v1, 6
	s_movk_i32 s3, 0x980
	s_load_dwordx2 s[0:1], s[0:1], 0x30
	s_waitcnt lgkmcnt(0)
	s_add_u32 s6, s40, s42
	s_addc_u32 s7, s41, s43
	s_add_u32 s4, 0x14a, s4
	s_addc_u32 s5, 0, 0
	v_add_co_u32_e32 v1, vcc, s4, v1
	s_cmp_lg_u64 vcc, 0
	v_readfirstlane_b32 s8, v1
	s_addc_u32 s4, s5, 0x1af286
	s_mul_hi_u32 s9, s8, 0xfffff680
	s_mul_i32 s5, s4, 0xfffff680
	s_sub_i32 s9, s9, s8
	s_add_i32 s9, s9, s5
	s_mul_i32 s11, s8, 0xfffff680
	s_mul_hi_u32 s5, s8, s9
	s_mul_i32 s10, s8, s9
	s_mul_hi_u32 s8, s8, s11
	s_add_u32 s8, s8, s10
	s_addc_u32 s5, 0, s5
	s_mul_hi_u32 s12, s4, s11
	s_mul_i32 s11, s4, s11
	s_add_u32 s8, s8, s11
	s_mul_hi_u32 s10, s4, s9
	s_addc_u32 s5, s5, s12
	s_addc_u32 s8, s10, 0
	s_mul_i32 s9, s4, s9
	s_add_u32 s5, s5, s9
	s_addc_u32 s8, 0, s8
	v_add_co_u32_e32 v1, vcc, s5, v1
	s_cmp_lg_u64 vcc, 0
	s_addc_u32 s4, s4, s8
	v_readfirstlane_b32 s9, v1
	s_mul_i32 s8, s46, s4
	s_mul_hi_u32 s10, s46, s9
	s_mul_hi_u32 s5, s46, s4
	s_add_u32 s8, s10, s8
	s_addc_u32 s5, 0, s5
	s_mul_hi_u32 s11, s47, s9
	s_mul_i32 s9, s47, s9
	s_add_u32 s8, s8, s9
	s_mul_hi_u32 s10, s47, s4
	s_addc_u32 s5, s5, s11
	s_addc_u32 s8, s10, 0
	s_mul_i32 s4, s47, s4
	s_add_u32 s4, s5, s4
	s_addc_u32 s5, 0, s8
	s_add_u32 s8, s4, 1
	s_addc_u32 s9, s5, 0
	s_add_u32 s10, s4, 2
	s_mul_i32 s12, s5, 0x980
	s_mul_hi_u32 s13, s4, 0x980
	s_addc_u32 s11, s5, 0
	s_add_i32 s13, s13, s12
	s_mul_i32 s12, s4, 0x980
	v_mov_b32_e32 v1, s12
	v_sub_co_u32_e32 v1, vcc, s46, v1
	s_cmp_lg_u64 vcc, 0
	s_subb_u32 s12, s47, s13
	v_subrev_co_u32_e32 v2, vcc, s3, v1
	s_cmp_lg_u64 vcc, 0
	s_subb_u32 s3, s12, 0
	v_readfirstlane_b32 s13, v2
	s_cmpk_gt_u32 s13, 0x97f
	s_cselect_b32 s13, -1, 0
	s_cmp_eq_u32 s3, 0
	s_cselect_b32 s3, s13, -1
	s_cmp_lg_u32 s3, 0
	s_cselect_b32 s3, s10, s8
	s_cselect_b32 s8, s11, s9
	v_readfirstlane_b32 s9, v1
	s_cmpk_gt_u32 s9, 0x97f
	s_cselect_b32 s9, -1, 0
	s_cmp_eq_u32 s12, 0
	s_cselect_b32 s9, s9, -1
	s_cmp_lg_u32 s9, 0
	s_cselect_b32 s8, s8, s5
	s_cselect_b32 s3, s3, s4
	s_mul_i32 s4, s8, 0x980
	s_mul_hi_u32 s5, s3, 0x980
	s_add_i32 s5, s5, s4
	s_mul_i32 s4, s3, 0x980
	s_sub_u32 s4, s46, s4
	s_subb_u32 s5, s47, s5
	s_cmp_lg_u64 s[4:5], 0
	s_cselect_b64 s[4:5], -1, 0
	v_cndmask_b32_e64 v1, 0, 1, s[4:5]
	s_mul_i32 s33, s2, 0x980
	v_readfirstlane_b32 s4, v1
	s_add_u32 s4, s3, s4
	s_addc_u32 s5, s8, 0
	s_add_u32 s2, s0, s2
	s_addc_u32 s3, s1, 0
	s_add_u32 s8, s4, -1
	s_addc_u32 s9, s5, -1
	v_mov_b64_e32 v[2:3], s[8:9]
	v_cmp_ge_u64_e64 s[0:1], s[2:3], v[2:3]
	s_mov_b64 s[10:11], -1
	s_and_b64 vcc, exec, s[0:1]
	s_mul_i32 s47, s8, 0xfffff680
	s_cbranch_vccz .LBB28_40
; %bb.1:
	s_add_i32 s14, s47, s46
	s_add_u32 s10, s6, s33
	s_addc_u32 s11, s7, 0
	v_cmp_gt_u32_e32 vcc, s14, v0
                                        ; implicit-def: $vgpr1
	s_and_saveexec_b64 s[12:13], vcc
	s_cbranch_execz .LBB28_3
; %bb.2:
	global_load_ubyte v1, v0, s[10:11]
.LBB28_3:
	s_or_b64 exec, exec, s[12:13]
	v_or_b32_e32 v2, 0x80, v0
	v_cmp_gt_u32_e32 vcc, s14, v2
                                        ; implicit-def: $vgpr2
	s_and_saveexec_b64 s[12:13], vcc
	s_cbranch_execz .LBB28_5
; %bb.4:
	global_load_ubyte v2, v0, s[10:11] offset:128
.LBB28_5:
	s_or_b64 exec, exec, s[12:13]
	v_or_b32_e32 v3, 0x100, v0
	v_cmp_gt_u32_e32 vcc, s14, v3
                                        ; implicit-def: $vgpr3
	s_and_saveexec_b64 s[12:13], vcc
	s_cbranch_execz .LBB28_7
; %bb.6:
	global_load_ubyte v3, v0, s[10:11] offset:256
.LBB28_7:
	s_or_b64 exec, exec, s[12:13]
	v_or_b32_e32 v4, 0x180, v0
	v_cmp_gt_u32_e32 vcc, s14, v4
                                        ; implicit-def: $vgpr4
	s_and_saveexec_b64 s[12:13], vcc
	s_cbranch_execz .LBB28_9
; %bb.8:
	global_load_ubyte v4, v0, s[10:11] offset:384
.LBB28_9:
	s_or_b64 exec, exec, s[12:13]
	v_or_b32_e32 v5, 0x200, v0
	v_cmp_gt_u32_e32 vcc, s14, v5
                                        ; implicit-def: $vgpr5
	s_and_saveexec_b64 s[12:13], vcc
	s_cbranch_execz .LBB28_11
; %bb.10:
	global_load_ubyte v5, v0, s[10:11] offset:512
.LBB28_11:
	s_or_b64 exec, exec, s[12:13]
	v_or_b32_e32 v6, 0x280, v0
	v_cmp_gt_u32_e32 vcc, s14, v6
                                        ; implicit-def: $vgpr6
	s_and_saveexec_b64 s[12:13], vcc
	s_cbranch_execz .LBB28_13
; %bb.12:
	global_load_ubyte v6, v0, s[10:11] offset:640
.LBB28_13:
	s_or_b64 exec, exec, s[12:13]
	v_or_b32_e32 v7, 0x300, v0
	v_cmp_gt_u32_e32 vcc, s14, v7
                                        ; implicit-def: $vgpr7
	s_and_saveexec_b64 s[12:13], vcc
	s_cbranch_execz .LBB28_15
; %bb.14:
	global_load_ubyte v7, v0, s[10:11] offset:768
.LBB28_15:
	s_or_b64 exec, exec, s[12:13]
	v_or_b32_e32 v8, 0x380, v0
	v_cmp_gt_u32_e32 vcc, s14, v8
                                        ; implicit-def: $vgpr8
	s_and_saveexec_b64 s[12:13], vcc
	s_cbranch_execz .LBB28_17
; %bb.16:
	global_load_ubyte v8, v0, s[10:11] offset:896
.LBB28_17:
	s_or_b64 exec, exec, s[12:13]
	v_or_b32_e32 v9, 0x400, v0
	v_cmp_gt_u32_e32 vcc, s14, v9
                                        ; implicit-def: $vgpr9
	s_and_saveexec_b64 s[12:13], vcc
	s_cbranch_execz .LBB28_19
; %bb.18:
	global_load_ubyte v9, v0, s[10:11] offset:1024
.LBB28_19:
	s_or_b64 exec, exec, s[12:13]
	v_or_b32_e32 v10, 0x480, v0
	v_cmp_gt_u32_e32 vcc, s14, v10
                                        ; implicit-def: $vgpr10
	s_and_saveexec_b64 s[12:13], vcc
	s_cbranch_execz .LBB28_21
; %bb.20:
	global_load_ubyte v10, v0, s[10:11] offset:1152
.LBB28_21:
	s_or_b64 exec, exec, s[12:13]
	v_or_b32_e32 v11, 0x500, v0
	v_cmp_gt_u32_e32 vcc, s14, v11
                                        ; implicit-def: $vgpr11
	s_and_saveexec_b64 s[12:13], vcc
	s_cbranch_execz .LBB28_23
; %bb.22:
	global_load_ubyte v11, v0, s[10:11] offset:1280
.LBB28_23:
	s_or_b64 exec, exec, s[12:13]
	v_or_b32_e32 v12, 0x580, v0
	v_cmp_gt_u32_e32 vcc, s14, v12
                                        ; implicit-def: $vgpr12
	s_and_saveexec_b64 s[12:13], vcc
	s_cbranch_execz .LBB28_25
; %bb.24:
	global_load_ubyte v12, v0, s[10:11] offset:1408
.LBB28_25:
	s_or_b64 exec, exec, s[12:13]
	v_or_b32_e32 v13, 0x600, v0
	v_cmp_gt_u32_e32 vcc, s14, v13
                                        ; implicit-def: $vgpr13
	s_and_saveexec_b64 s[12:13], vcc
	s_cbranch_execz .LBB28_27
; %bb.26:
	global_load_ubyte v13, v0, s[10:11] offset:1536
.LBB28_27:
	s_or_b64 exec, exec, s[12:13]
	v_or_b32_e32 v14, 0x680, v0
	v_cmp_gt_u32_e32 vcc, s14, v14
                                        ; implicit-def: $vgpr14
	s_and_saveexec_b64 s[12:13], vcc
	s_cbranch_execz .LBB28_29
; %bb.28:
	global_load_ubyte v14, v0, s[10:11] offset:1664
.LBB28_29:
	s_or_b64 exec, exec, s[12:13]
	v_or_b32_e32 v15, 0x700, v0
	v_cmp_gt_u32_e32 vcc, s14, v15
                                        ; implicit-def: $vgpr15
	s_and_saveexec_b64 s[12:13], vcc
	s_cbranch_execz .LBB28_31
; %bb.30:
	global_load_ubyte v15, v0, s[10:11] offset:1792
.LBB28_31:
	s_or_b64 exec, exec, s[12:13]
	v_or_b32_e32 v16, 0x780, v0
	v_cmp_gt_u32_e32 vcc, s14, v16
                                        ; implicit-def: $vgpr16
	s_and_saveexec_b64 s[12:13], vcc
	s_cbranch_execz .LBB28_33
; %bb.32:
	global_load_ubyte v16, v0, s[10:11] offset:1920
.LBB28_33:
	s_or_b64 exec, exec, s[12:13]
	v_or_b32_e32 v17, 0x800, v0
	v_cmp_gt_u32_e32 vcc, s14, v17
                                        ; implicit-def: $vgpr17
	s_and_saveexec_b64 s[12:13], vcc
	s_cbranch_execz .LBB28_35
; %bb.34:
	global_load_ubyte v17, v0, s[10:11] offset:2048
.LBB28_35:
	s_or_b64 exec, exec, s[12:13]
	v_or_b32_e32 v18, 0x880, v0
	v_cmp_gt_u32_e32 vcc, s14, v18
                                        ; implicit-def: $vgpr18
	s_and_saveexec_b64 s[12:13], vcc
	s_cbranch_execz .LBB28_37
; %bb.36:
	global_load_ubyte v18, v0, s[10:11] offset:2176
.LBB28_37:
	s_or_b64 exec, exec, s[12:13]
	v_or_b32_e32 v19, 0x900, v0
	v_cmp_gt_u32_e32 vcc, s14, v19
                                        ; implicit-def: $vgpr19
	s_and_saveexec_b64 s[12:13], vcc
	s_cbranch_execz .LBB28_39
; %bb.38:
	global_load_ubyte v19, v0, s[10:11] offset:2304
.LBB28_39:
	s_or_b64 exec, exec, s[12:13]
	s_mov_b64 s[10:11], 0
	s_waitcnt vmcnt(0)
	ds_write_b8 v0, v1
	ds_write_b8 v0, v2 offset:128
	ds_write_b8 v0, v3 offset:256
	;; [unrolled: 1-line block ×18, first 2 shown]
	s_waitcnt lgkmcnt(0)
	s_barrier
.LBB28_40:
	s_and_b64 vcc, exec, s[10:11]
	s_cbranch_vccz .LBB28_42
; %bb.41:
	s_add_u32 s10, s6, s33
	s_addc_u32 s11, s7, 0
	global_load_ubyte v1, v0, s[10:11]
	global_load_ubyte v2, v0, s[10:11] offset:128
	global_load_ubyte v3, v0, s[10:11] offset:256
	;; [unrolled: 1-line block ×18, first 2 shown]
	s_waitcnt vmcnt(18)
	ds_write_b8 v0, v1
	s_waitcnt vmcnt(17)
	ds_write_b8 v0, v2 offset:128
	s_waitcnt vmcnt(16)
	ds_write_b8 v0, v3 offset:256
	;; [unrolled: 2-line block ×18, first 2 shown]
	s_waitcnt lgkmcnt(0)
	s_barrier
.LBB28_42:
	v_mul_u32_u24_e32 v6, 19, v0
	ds_read_b128 v[2:5], v6
	ds_read_u8 v1, v6 offset:16
	ds_read_u8 v7, v6 offset:17
	;; [unrolled: 1-line block ×3, first 2 shown]
	s_cmp_eq_u64 s[2:3], 0
	s_waitcnt lgkmcnt(3)
	v_lshrrev_b32_e32 v9, 8, v2
	v_lshrrev_b32_e32 v10, 16, v2
	;; [unrolled: 1-line block ×12, first 2 shown]
	s_waitcnt lgkmcnt(0)
	s_barrier
	s_cbranch_scc1 .LBB28_47
; %bb.43:
	v_mov_b32_e32 v6, s33
	global_load_ubyte v38, v6, s[6:7] offset:-1
	s_cmp_eq_u64 s[2:3], s[8:9]
	s_cbranch_scc1 .LBB28_48
; %bb.44:
	v_cmp_ne_u32_e32 vcc, 0, v0
	s_waitcnt vmcnt(0)
	v_mov_b32_e32 v6, v38
	ds_write_b8 v0, v8
	s_waitcnt lgkmcnt(0)
	s_barrier
	s_and_saveexec_b64 s[6:7], vcc
	s_cbranch_execz .LBB28_46
; %bb.45:
	v_add_u32_e32 v6, -1, v0
	ds_read_u8 v6, v6
.LBB28_46:
	s_or_b64 exec, exec, s[6:7]
	s_waitcnt lgkmcnt(0)
	v_add_u16_e32 v6, v6, v2
	s_mov_b64 s[6:7], 0
	s_branch .LBB28_49
.LBB28_47:
                                        ; implicit-def: $vgpr6
                                        ; implicit-def: $vgpr39
                                        ; implicit-def: $vgpr37
                                        ; implicit-def: $vgpr36
                                        ; implicit-def: $vgpr35
                                        ; implicit-def: $vgpr34
                                        ; implicit-def: $vgpr33
                                        ; implicit-def: $vgpr32
                                        ; implicit-def: $vgpr31
                                        ; implicit-def: $vgpr30
                                        ; implicit-def: $vgpr28
                                        ; implicit-def: $vgpr27
                                        ; implicit-def: $vgpr26
                                        ; implicit-def: $vgpr25
                                        ; implicit-def: $vgpr24
                                        ; implicit-def: $vgpr23
                                        ; implicit-def: $vgpr22
                                        ; implicit-def: $vgpr21
                                        ; implicit-def: $vgpr29
	s_branch .LBB28_54
.LBB28_48:
	s_mov_b64 s[6:7], -1
                                        ; implicit-def: $vgpr6
.LBB28_49:
	s_and_b64 vcc, exec, s[6:7]
	v_mov_b32_e32 v39, v2
	v_mov_b32_e32 v37, v9
	;; [unrolled: 1-line block ×18, first 2 shown]
	s_cbranch_vccz .LBB28_53
; %bb.50:
	v_mul_u32_u24_e32 v6, 19, v0
	v_cmp_ne_u32_e32 vcc, 0, v0
	ds_write_b8 v0, v8
	s_waitcnt lgkmcnt(0)
	s_barrier
	s_and_saveexec_b64 s[6:7], vcc
	s_cbranch_execz .LBB28_52
; %bb.51:
	v_add_u32_e32 v21, -1, v0
	s_waitcnt vmcnt(0)
	ds_read_u8 v38, v21
.LBB28_52:
	s_or_b64 exec, exec, s[6:7]
	s_mulk_i32 s2, 0xf680
	s_add_i32 s2, s2, s46
	v_add_u32_e32 v21, 18, v6
	v_cmp_gt_u32_e32 vcc, s2, v21
	v_add_u32_e32 v21, 17, v6
	v_add_u32_e32 v22, 16, v6
	v_cndmask_b32_e32 v29, 0, v7, vcc
	v_cmp_gt_u32_e32 vcc, s2, v21
	v_add_u32_e32 v23, 15, v6
	v_add_u32_e32 v24, 14, v6
	v_cndmask_b32_e32 v21, 0, v1, vcc
	;; [unrolled: 4-line block ×8, first 2 shown]
	v_cmp_gt_u32_e32 vcc, s2, v28
	v_add_u32_e32 v39, 1, v6
	s_nop 0
	v_cndmask_b32_e32 v28, 0, v15, vcc
	v_cmp_gt_u32_e32 vcc, s2, v30
	s_nop 1
	v_cndmask_b32_e32 v30, 0, v4, vcc
	v_cmp_gt_u32_e32 vcc, s2, v31
	;; [unrolled: 3-line block ×10, first 2 shown]
	s_waitcnt vmcnt(0) lgkmcnt(0)
	s_nop 0
	v_cndmask_b32_e32 v6, 0, v38, vcc
	v_add_u16_e32 v6, v6, v2
.LBB28_53:
	s_cbranch_execnz .LBB28_64
.LBB28_54:
	s_cmp_eq_u64 s[4:5], 1
	v_cmp_ne_u32_e32 vcc, 0, v0
	s_cbranch_scc1 .LBB28_58
; %bb.55:
	v_mov_b32_e32 v6, v2
	ds_write_b8 v0, v8
	s_waitcnt lgkmcnt(0)
	s_barrier
	s_and_saveexec_b64 s[2:3], vcc
	s_cbranch_execz .LBB28_57
; %bb.56:
	v_add_u32_e32 v6, -1, v0
	ds_read_u8 v6, v6
	s_waitcnt lgkmcnt(0)
	v_add_u16_e32 v6, v6, v2
.LBB28_57:
	s_or_b64 exec, exec, s[2:3]
	s_mov_b64 s[2:3], 0
	s_branch .LBB28_59
.LBB28_58:
	s_mov_b64 s[2:3], -1
                                        ; implicit-def: $vgpr6
.LBB28_59:
	s_andn2_b64 vcc, exec, s[2:3]
	v_mov_b32_e32 v37, v9
	v_mov_b32_e32 v36, v10
	;; [unrolled: 1-line block ×17, first 2 shown]
	s_cbranch_vccnz .LBB28_63
; %bb.60:
	v_mad_u32_u24 v21, v0, 19, 18
	v_cmp_gt_u32_e32 vcc, s46, v21
	v_mad_u32_u24 v21, v0, 19, 17
	v_cmp_gt_u32_e64 s[2:3], s46, v21
	v_mad_u32_u24 v21, v0, 19, 16
	v_cmp_gt_u32_e64 s[4:5], s46, v21
	v_mad_u32_u24 v21, v0, 19, 15
	v_cmp_gt_u32_e64 s[6:7], s46, v21
	v_mad_u32_u24 v21, v0, 19, 14
	v_cmp_gt_u32_e64 s[8:9], s46, v21
	v_mad_u32_u24 v21, v0, 19, 13
	v_cmp_gt_u32_e64 s[10:11], s46, v21
	v_mad_u32_u24 v21, v0, 19, 12
	v_cmp_gt_u32_e64 s[12:13], s46, v21
	v_mad_u32_u24 v21, v0, 19, 11
	v_cmp_gt_u32_e64 s[14:15], s46, v21
	v_mad_u32_u24 v21, v0, 19, 10
	v_cmp_gt_u32_e64 s[16:17], s46, v21
	v_mad_u32_u24 v21, v0, 19, 9
	v_cmp_gt_u32_e64 s[18:19], s46, v21
	v_mad_u32_u24 v21, v0, 19, 8
	v_cmp_gt_u32_e64 s[20:21], s46, v21
	v_mad_u32_u24 v21, v0, 19, 7
	v_cmp_gt_u32_e64 s[22:23], s46, v21
	v_mad_u32_u24 v21, v0, 19, 6
	v_cmp_gt_u32_e64 s[24:25], s46, v21
	v_mad_u32_u24 v21, v0, 19, 5
	v_cmp_gt_u32_e64 s[26:27], s46, v21
	v_mad_u32_u24 v21, v0, 19, 4
	v_cmp_gt_u32_e64 s[28:29], s46, v21
	v_mad_u32_u24 v21, v0, 19, 3
	v_mul_u32_u24_e32 v6, 19, v0
	v_cmp_gt_u32_e64 s[30:31], s46, v21
	v_mad_u32_u24 v21, v0, 19, 2
	v_cmp_gt_u32_e64 s[34:35], s46, v21
	v_mad_u32_u24 v21, v0, 19, 1
	v_cmp_ne_u32_e64 s[38:39], 0, v0
	v_cmp_gt_u32_e64 s[40:41], s46, v6
	v_cmp_gt_u32_e64 s[36:37], s46, v21
	s_and_b64 s[40:41], s[38:39], s[40:41]
	v_mov_b32_e32 v6, v2
	ds_write_b8 v0, v8
	s_waitcnt lgkmcnt(0)
	s_barrier
	s_and_saveexec_b64 s[38:39], s[40:41]
	s_cbranch_execz .LBB28_62
; %bb.61:
	v_add_u32_e32 v6, -1, v0
	ds_read_u8 v6, v6
	s_waitcnt lgkmcnt(0)
	v_add_u16_e32 v6, v6, v2
.LBB28_62:
	s_or_b64 exec, exec, s[38:39]
	v_cndmask_b32_e32 v29, 0, v7, vcc
	v_cndmask_b32_e64 v21, 0, v1, s[2:3]
	v_cndmask_b32_e64 v22, 0, v20, s[4:5]
	;; [unrolled: 1-line block ×17, first 2 shown]
.LBB28_63:
	v_mov_b32_e32 v39, v2
.LBB28_64:
	s_add_u32 s4, s44, s42
	v_add_u16_e32 v8, v29, v8
	v_add_u16_e32 v2, v39, v9
	;; [unrolled: 1-line block ×13, first 2 shown]
	s_addc_u32 s5, s45, s43
	v_add_u16_e32 v12, v31, v4
	v_add_u16_e32 v14, v26, v5
	;; [unrolled: 1-line block ×5, first 2 shown]
	s_and_b64 vcc, exec, s[0:1]
	v_mul_u32_u24_e32 v7, 19, v0
	v_lshlrev_b16_e32 v22, 8, v17
	v_lshlrev_b16_e32 v23, 8, v18
	;; [unrolled: 1-line block ×8, first 2 shown]
	s_barrier
	s_cbranch_vccz .LBB28_102
; %bb.65:
	v_or_b32_sdwa v1, v14, v22 dst_sel:DWORD dst_unused:UNUSED_PAD src0_sel:BYTE_0 src1_sel:DWORD
	v_or_b32_sdwa v2, v15, v23 dst_sel:WORD_1 dst_unused:UNUSED_PAD src0_sel:BYTE_0 src1_sel:DWORD
	s_add_i32 s47, s47, s46
	v_or_b32_sdwa v27, v1, v2 dst_sel:DWORD dst_unused:UNUSED_PAD src0_sel:WORD_0 src1_sel:DWORD
	v_or_b32_sdwa v1, v12, v20 dst_sel:DWORD dst_unused:UNUSED_PAD src0_sel:BYTE_0 src1_sel:DWORD
	v_or_b32_sdwa v2, v13, v21 dst_sel:WORD_1 dst_unused:UNUSED_PAD src0_sel:BYTE_0 src1_sel:DWORD
	s_add_u32 s0, s4, s33
	v_or_b32_sdwa v26, v1, v2 dst_sel:DWORD dst_unused:UNUSED_PAD src0_sel:WORD_0 src1_sel:DWORD
	v_or_b32_sdwa v1, v10, v18 dst_sel:DWORD dst_unused:UNUSED_PAD src0_sel:BYTE_0 src1_sel:DWORD
	v_or_b32_sdwa v2, v11, v19 dst_sel:WORD_1 dst_unused:UNUSED_PAD src0_sel:BYTE_0 src1_sel:DWORD
	s_addc_u32 s1, s5, 0
	v_or_b32_sdwa v25, v1, v2 dst_sel:DWORD dst_unused:UNUSED_PAD src0_sel:WORD_0 src1_sel:DWORD
	v_or_b32_sdwa v1, v6, v16 dst_sel:DWORD dst_unused:UNUSED_PAD src0_sel:BYTE_0 src1_sel:DWORD
	v_or_b32_sdwa v2, v9, v17 dst_sel:WORD_1 dst_unused:UNUSED_PAD src0_sel:BYTE_0 src1_sel:DWORD
	v_cmp_gt_u32_e32 vcc, s47, v0
	v_or_b32_sdwa v24, v1, v2 dst_sel:DWORD dst_unused:UNUSED_PAD src0_sel:WORD_0 src1_sel:DWORD
	ds_write_b128 v7, v[24:27]
	ds_write_b8 v7, v4 offset:16
	ds_write_b8 v7, v5 offset:17
	;; [unrolled: 1-line block ×3, first 2 shown]
	s_waitcnt lgkmcnt(0)
	s_barrier
	ds_read_u8 v41, v0 offset:128
	ds_read_u8 v40, v0 offset:256
	;; [unrolled: 1-line block ×3, first 2 shown]
	s_waitcnt vmcnt(0)
	ds_read_u8 v38, v0 offset:512
	ds_read_u8 v37, v0 offset:640
	;; [unrolled: 1-line block ×15, first 2 shown]
	v_mov_b32_e32 v1, 0
	v_lshl_add_u64 v[2:3], s[0:1], 0, v[0:1]
	s_and_saveexec_b64 s[0:1], vcc
	s_cbranch_execz .LBB28_67
; %bb.66:
	ds_read_u8 v1, v0
	s_waitcnt lgkmcnt(0)
	global_store_byte v[2:3], v1, off
.LBB28_67:
	s_or_b64 exec, exec, s[0:1]
	v_or_b32_e32 v1, 0x80, v0
	v_cmp_gt_u32_e32 vcc, s47, v1
	s_and_saveexec_b64 s[0:1], vcc
	s_cbranch_execz .LBB28_69
; %bb.68:
	s_waitcnt lgkmcnt(14)
	global_store_byte v[2:3], v41, off offset:128
.LBB28_69:
	s_or_b64 exec, exec, s[0:1]
	v_or_b32_e32 v1, 0x100, v0
	v_cmp_gt_u32_e32 vcc, s47, v1
	s_and_saveexec_b64 s[0:1], vcc
	s_cbranch_execz .LBB28_71
; %bb.70:
	s_waitcnt lgkmcnt(14)
	global_store_byte v[2:3], v40, off offset:256
.LBB28_71:
	;; [unrolled: 9-line block ×17, first 2 shown]
	s_or_b64 exec, exec, s[0:1]
	v_or_b32_e32 v1, 0x900, v0
	v_cmp_gt_u32_e64 s[0:1], s47, v1
	s_branch .LBB28_104
.LBB28_102:
	s_mov_b64 s[0:1], 0
                                        ; implicit-def: $vgpr24
                                        ; implicit-def: $vgpr2_vgpr3
	s_cbranch_execz .LBB28_104
; %bb.103:
	v_or_b32_sdwa v1, v14, v22 dst_sel:DWORD dst_unused:UNUSED_PAD src0_sel:BYTE_0 src1_sel:DWORD
	v_or_b32_sdwa v2, v15, v23 dst_sel:WORD_1 dst_unused:UNUSED_PAD src0_sel:BYTE_0 src1_sel:DWORD
	s_add_u32 s2, s4, s33
	v_or_b32_sdwa v15, v1, v2 dst_sel:DWORD dst_unused:UNUSED_PAD src0_sel:WORD_0 src1_sel:DWORD
	v_or_b32_sdwa v1, v12, v20 dst_sel:DWORD dst_unused:UNUSED_PAD src0_sel:BYTE_0 src1_sel:DWORD
	v_or_b32_sdwa v2, v13, v21 dst_sel:WORD_1 dst_unused:UNUSED_PAD src0_sel:BYTE_0 src1_sel:DWORD
	s_addc_u32 s3, s5, 0
	v_or_b32_sdwa v14, v1, v2 dst_sel:DWORD dst_unused:UNUSED_PAD src0_sel:WORD_0 src1_sel:DWORD
	v_or_b32_sdwa v1, v10, v18 dst_sel:DWORD dst_unused:UNUSED_PAD src0_sel:BYTE_0 src1_sel:DWORD
	v_or_b32_sdwa v2, v11, v19 dst_sel:WORD_1 dst_unused:UNUSED_PAD src0_sel:BYTE_0 src1_sel:DWORD
	s_or_b64 s[0:1], s[0:1], exec
	v_or_b32_sdwa v13, v1, v2 dst_sel:DWORD dst_unused:UNUSED_PAD src0_sel:WORD_0 src1_sel:DWORD
	v_or_b32_sdwa v1, v6, v16 dst_sel:DWORD dst_unused:UNUSED_PAD src0_sel:BYTE_0 src1_sel:DWORD
	v_or_b32_sdwa v2, v9, v17 dst_sel:WORD_1 dst_unused:UNUSED_PAD src0_sel:BYTE_0 src1_sel:DWORD
	s_nop 0
	v_or_b32_sdwa v12, v1, v2 dst_sel:DWORD dst_unused:UNUSED_PAD src0_sel:WORD_0 src1_sel:DWORD
	ds_write_b128 v7, v[12:15]
	ds_write_b8 v7, v4 offset:16
	ds_write_b8 v7, v5 offset:17
	;; [unrolled: 1-line block ×3, first 2 shown]
	s_waitcnt lgkmcnt(0)
	s_barrier
	ds_read_u8 v4, v0
	ds_read_u8 v5, v0 offset:128
	ds_read_u8 v6, v0 offset:256
	;; [unrolled: 1-line block ×18, first 2 shown]
	v_mov_b32_e32 v1, 0
	v_lshl_add_u64 v[2:3], s[2:3], 0, v[0:1]
	s_waitcnt lgkmcnt(14)
	global_store_byte v0, v4, s[2:3]
	global_store_byte v0, v5, s[2:3] offset:128
	global_store_byte v0, v6, s[2:3] offset:256
	;; [unrolled: 1-line block ×4, first 2 shown]
	s_waitcnt lgkmcnt(13)
	global_store_byte v0, v9, s[2:3] offset:640
	s_waitcnt lgkmcnt(12)
	global_store_byte v0, v10, s[2:3] offset:768
	;; [unrolled: 2-line block ×13, first 2 shown]
.LBB28_104:
	s_and_saveexec_b64 s[2:3], s[0:1]
	s_cbranch_execnz .LBB28_106
; %bb.105:
	s_endpgm
.LBB28_106:
	s_waitcnt lgkmcnt(0)
	global_store_byte v[2:3], v24, off offset:2304
	s_endpgm
	.section	.rodata,"a",@progbits
	.p2align	6, 0x0
	.amdhsa_kernel _ZN7rocprim17ROCPRIM_400000_NS6detail17trampoline_kernelINS0_14default_configENS1_35adjacent_difference_config_selectorILb0EaEEZNS1_24adjacent_difference_implIS3_Lb0ELb0EPaS7_N6thrust23THRUST_200600_302600_NS4plusIaEEEE10hipError_tPvRmT2_T3_mT4_P12ihipStream_tbEUlT_E_NS1_11comp_targetILNS1_3genE5ELNS1_11target_archE942ELNS1_3gpuE9ELNS1_3repE0EEENS1_30default_config_static_selectorELNS0_4arch9wavefront6targetE1EEEvT1_
		.amdhsa_group_segment_fixed_size 2432
		.amdhsa_private_segment_fixed_size 0
		.amdhsa_kernarg_size 56
		.amdhsa_user_sgpr_count 2
		.amdhsa_user_sgpr_dispatch_ptr 0
		.amdhsa_user_sgpr_queue_ptr 0
		.amdhsa_user_sgpr_kernarg_segment_ptr 1
		.amdhsa_user_sgpr_dispatch_id 0
		.amdhsa_user_sgpr_kernarg_preload_length 0
		.amdhsa_user_sgpr_kernarg_preload_offset 0
		.amdhsa_user_sgpr_private_segment_size 0
		.amdhsa_uses_dynamic_stack 0
		.amdhsa_enable_private_segment 0
		.amdhsa_system_sgpr_workgroup_id_x 1
		.amdhsa_system_sgpr_workgroup_id_y 0
		.amdhsa_system_sgpr_workgroup_id_z 0
		.amdhsa_system_sgpr_workgroup_info 0
		.amdhsa_system_vgpr_workitem_id 0
		.amdhsa_next_free_vgpr 42
		.amdhsa_next_free_sgpr 48
		.amdhsa_accum_offset 44
		.amdhsa_reserve_vcc 1
		.amdhsa_float_round_mode_32 0
		.amdhsa_float_round_mode_16_64 0
		.amdhsa_float_denorm_mode_32 3
		.amdhsa_float_denorm_mode_16_64 3
		.amdhsa_dx10_clamp 1
		.amdhsa_ieee_mode 1
		.amdhsa_fp16_overflow 0
		.amdhsa_tg_split 0
		.amdhsa_exception_fp_ieee_invalid_op 0
		.amdhsa_exception_fp_denorm_src 0
		.amdhsa_exception_fp_ieee_div_zero 0
		.amdhsa_exception_fp_ieee_overflow 0
		.amdhsa_exception_fp_ieee_underflow 0
		.amdhsa_exception_fp_ieee_inexact 0
		.amdhsa_exception_int_div_zero 0
	.end_amdhsa_kernel
	.section	.text._ZN7rocprim17ROCPRIM_400000_NS6detail17trampoline_kernelINS0_14default_configENS1_35adjacent_difference_config_selectorILb0EaEEZNS1_24adjacent_difference_implIS3_Lb0ELb0EPaS7_N6thrust23THRUST_200600_302600_NS4plusIaEEEE10hipError_tPvRmT2_T3_mT4_P12ihipStream_tbEUlT_E_NS1_11comp_targetILNS1_3genE5ELNS1_11target_archE942ELNS1_3gpuE9ELNS1_3repE0EEENS1_30default_config_static_selectorELNS0_4arch9wavefront6targetE1EEEvT1_,"axG",@progbits,_ZN7rocprim17ROCPRIM_400000_NS6detail17trampoline_kernelINS0_14default_configENS1_35adjacent_difference_config_selectorILb0EaEEZNS1_24adjacent_difference_implIS3_Lb0ELb0EPaS7_N6thrust23THRUST_200600_302600_NS4plusIaEEEE10hipError_tPvRmT2_T3_mT4_P12ihipStream_tbEUlT_E_NS1_11comp_targetILNS1_3genE5ELNS1_11target_archE942ELNS1_3gpuE9ELNS1_3repE0EEENS1_30default_config_static_selectorELNS0_4arch9wavefront6targetE1EEEvT1_,comdat
.Lfunc_end28:
	.size	_ZN7rocprim17ROCPRIM_400000_NS6detail17trampoline_kernelINS0_14default_configENS1_35adjacent_difference_config_selectorILb0EaEEZNS1_24adjacent_difference_implIS3_Lb0ELb0EPaS7_N6thrust23THRUST_200600_302600_NS4plusIaEEEE10hipError_tPvRmT2_T3_mT4_P12ihipStream_tbEUlT_E_NS1_11comp_targetILNS1_3genE5ELNS1_11target_archE942ELNS1_3gpuE9ELNS1_3repE0EEENS1_30default_config_static_selectorELNS0_4arch9wavefront6targetE1EEEvT1_, .Lfunc_end28-_ZN7rocprim17ROCPRIM_400000_NS6detail17trampoline_kernelINS0_14default_configENS1_35adjacent_difference_config_selectorILb0EaEEZNS1_24adjacent_difference_implIS3_Lb0ELb0EPaS7_N6thrust23THRUST_200600_302600_NS4plusIaEEEE10hipError_tPvRmT2_T3_mT4_P12ihipStream_tbEUlT_E_NS1_11comp_targetILNS1_3genE5ELNS1_11target_archE942ELNS1_3gpuE9ELNS1_3repE0EEENS1_30default_config_static_selectorELNS0_4arch9wavefront6targetE1EEEvT1_
                                        ; -- End function
	.section	.AMDGPU.csdata,"",@progbits
; Kernel info:
; codeLenInByte = 4608
; NumSgprs: 54
; NumVgprs: 42
; NumAgprs: 0
; TotalNumVgprs: 42
; ScratchSize: 0
; MemoryBound: 0
; FloatMode: 240
; IeeeMode: 1
; LDSByteSize: 2432 bytes/workgroup (compile time only)
; SGPRBlocks: 6
; VGPRBlocks: 5
; NumSGPRsForWavesPerEU: 54
; NumVGPRsForWavesPerEU: 42
; AccumOffset: 44
; Occupancy: 8
; WaveLimiterHint : 1
; COMPUTE_PGM_RSRC2:SCRATCH_EN: 0
; COMPUTE_PGM_RSRC2:USER_SGPR: 2
; COMPUTE_PGM_RSRC2:TRAP_HANDLER: 0
; COMPUTE_PGM_RSRC2:TGID_X_EN: 1
; COMPUTE_PGM_RSRC2:TGID_Y_EN: 0
; COMPUTE_PGM_RSRC2:TGID_Z_EN: 0
; COMPUTE_PGM_RSRC2:TIDIG_COMP_CNT: 0
; COMPUTE_PGM_RSRC3_GFX90A:ACCUM_OFFSET: 10
; COMPUTE_PGM_RSRC3_GFX90A:TG_SPLIT: 0
	.section	.text._ZN7rocprim17ROCPRIM_400000_NS6detail17trampoline_kernelINS0_14default_configENS1_35adjacent_difference_config_selectorILb0EaEEZNS1_24adjacent_difference_implIS3_Lb0ELb0EPaS7_N6thrust23THRUST_200600_302600_NS4plusIaEEEE10hipError_tPvRmT2_T3_mT4_P12ihipStream_tbEUlT_E_NS1_11comp_targetILNS1_3genE4ELNS1_11target_archE910ELNS1_3gpuE8ELNS1_3repE0EEENS1_30default_config_static_selectorELNS0_4arch9wavefront6targetE1EEEvT1_,"axG",@progbits,_ZN7rocprim17ROCPRIM_400000_NS6detail17trampoline_kernelINS0_14default_configENS1_35adjacent_difference_config_selectorILb0EaEEZNS1_24adjacent_difference_implIS3_Lb0ELb0EPaS7_N6thrust23THRUST_200600_302600_NS4plusIaEEEE10hipError_tPvRmT2_T3_mT4_P12ihipStream_tbEUlT_E_NS1_11comp_targetILNS1_3genE4ELNS1_11target_archE910ELNS1_3gpuE8ELNS1_3repE0EEENS1_30default_config_static_selectorELNS0_4arch9wavefront6targetE1EEEvT1_,comdat
	.protected	_ZN7rocprim17ROCPRIM_400000_NS6detail17trampoline_kernelINS0_14default_configENS1_35adjacent_difference_config_selectorILb0EaEEZNS1_24adjacent_difference_implIS3_Lb0ELb0EPaS7_N6thrust23THRUST_200600_302600_NS4plusIaEEEE10hipError_tPvRmT2_T3_mT4_P12ihipStream_tbEUlT_E_NS1_11comp_targetILNS1_3genE4ELNS1_11target_archE910ELNS1_3gpuE8ELNS1_3repE0EEENS1_30default_config_static_selectorELNS0_4arch9wavefront6targetE1EEEvT1_ ; -- Begin function _ZN7rocprim17ROCPRIM_400000_NS6detail17trampoline_kernelINS0_14default_configENS1_35adjacent_difference_config_selectorILb0EaEEZNS1_24adjacent_difference_implIS3_Lb0ELb0EPaS7_N6thrust23THRUST_200600_302600_NS4plusIaEEEE10hipError_tPvRmT2_T3_mT4_P12ihipStream_tbEUlT_E_NS1_11comp_targetILNS1_3genE4ELNS1_11target_archE910ELNS1_3gpuE8ELNS1_3repE0EEENS1_30default_config_static_selectorELNS0_4arch9wavefront6targetE1EEEvT1_
	.globl	_ZN7rocprim17ROCPRIM_400000_NS6detail17trampoline_kernelINS0_14default_configENS1_35adjacent_difference_config_selectorILb0EaEEZNS1_24adjacent_difference_implIS3_Lb0ELb0EPaS7_N6thrust23THRUST_200600_302600_NS4plusIaEEEE10hipError_tPvRmT2_T3_mT4_P12ihipStream_tbEUlT_E_NS1_11comp_targetILNS1_3genE4ELNS1_11target_archE910ELNS1_3gpuE8ELNS1_3repE0EEENS1_30default_config_static_selectorELNS0_4arch9wavefront6targetE1EEEvT1_
	.p2align	8
	.type	_ZN7rocprim17ROCPRIM_400000_NS6detail17trampoline_kernelINS0_14default_configENS1_35adjacent_difference_config_selectorILb0EaEEZNS1_24adjacent_difference_implIS3_Lb0ELb0EPaS7_N6thrust23THRUST_200600_302600_NS4plusIaEEEE10hipError_tPvRmT2_T3_mT4_P12ihipStream_tbEUlT_E_NS1_11comp_targetILNS1_3genE4ELNS1_11target_archE910ELNS1_3gpuE8ELNS1_3repE0EEENS1_30default_config_static_selectorELNS0_4arch9wavefront6targetE1EEEvT1_,@function
_ZN7rocprim17ROCPRIM_400000_NS6detail17trampoline_kernelINS0_14default_configENS1_35adjacent_difference_config_selectorILb0EaEEZNS1_24adjacent_difference_implIS3_Lb0ELb0EPaS7_N6thrust23THRUST_200600_302600_NS4plusIaEEEE10hipError_tPvRmT2_T3_mT4_P12ihipStream_tbEUlT_E_NS1_11comp_targetILNS1_3genE4ELNS1_11target_archE910ELNS1_3gpuE8ELNS1_3repE0EEENS1_30default_config_static_selectorELNS0_4arch9wavefront6targetE1EEEvT1_: ; @_ZN7rocprim17ROCPRIM_400000_NS6detail17trampoline_kernelINS0_14default_configENS1_35adjacent_difference_config_selectorILb0EaEEZNS1_24adjacent_difference_implIS3_Lb0ELb0EPaS7_N6thrust23THRUST_200600_302600_NS4plusIaEEEE10hipError_tPvRmT2_T3_mT4_P12ihipStream_tbEUlT_E_NS1_11comp_targetILNS1_3genE4ELNS1_11target_archE910ELNS1_3gpuE8ELNS1_3repE0EEENS1_30default_config_static_selectorELNS0_4arch9wavefront6targetE1EEEvT1_
; %bb.0:
	.section	.rodata,"a",@progbits
	.p2align	6, 0x0
	.amdhsa_kernel _ZN7rocprim17ROCPRIM_400000_NS6detail17trampoline_kernelINS0_14default_configENS1_35adjacent_difference_config_selectorILb0EaEEZNS1_24adjacent_difference_implIS3_Lb0ELb0EPaS7_N6thrust23THRUST_200600_302600_NS4plusIaEEEE10hipError_tPvRmT2_T3_mT4_P12ihipStream_tbEUlT_E_NS1_11comp_targetILNS1_3genE4ELNS1_11target_archE910ELNS1_3gpuE8ELNS1_3repE0EEENS1_30default_config_static_selectorELNS0_4arch9wavefront6targetE1EEEvT1_
		.amdhsa_group_segment_fixed_size 0
		.amdhsa_private_segment_fixed_size 0
		.amdhsa_kernarg_size 56
		.amdhsa_user_sgpr_count 2
		.amdhsa_user_sgpr_dispatch_ptr 0
		.amdhsa_user_sgpr_queue_ptr 0
		.amdhsa_user_sgpr_kernarg_segment_ptr 1
		.amdhsa_user_sgpr_dispatch_id 0
		.amdhsa_user_sgpr_kernarg_preload_length 0
		.amdhsa_user_sgpr_kernarg_preload_offset 0
		.amdhsa_user_sgpr_private_segment_size 0
		.amdhsa_uses_dynamic_stack 0
		.amdhsa_enable_private_segment 0
		.amdhsa_system_sgpr_workgroup_id_x 1
		.amdhsa_system_sgpr_workgroup_id_y 0
		.amdhsa_system_sgpr_workgroup_id_z 0
		.amdhsa_system_sgpr_workgroup_info 0
		.amdhsa_system_vgpr_workitem_id 0
		.amdhsa_next_free_vgpr 1
		.amdhsa_next_free_sgpr 0
		.amdhsa_accum_offset 4
		.amdhsa_reserve_vcc 0
		.amdhsa_float_round_mode_32 0
		.amdhsa_float_round_mode_16_64 0
		.amdhsa_float_denorm_mode_32 3
		.amdhsa_float_denorm_mode_16_64 3
		.amdhsa_dx10_clamp 1
		.amdhsa_ieee_mode 1
		.amdhsa_fp16_overflow 0
		.amdhsa_tg_split 0
		.amdhsa_exception_fp_ieee_invalid_op 0
		.amdhsa_exception_fp_denorm_src 0
		.amdhsa_exception_fp_ieee_div_zero 0
		.amdhsa_exception_fp_ieee_overflow 0
		.amdhsa_exception_fp_ieee_underflow 0
		.amdhsa_exception_fp_ieee_inexact 0
		.amdhsa_exception_int_div_zero 0
	.end_amdhsa_kernel
	.section	.text._ZN7rocprim17ROCPRIM_400000_NS6detail17trampoline_kernelINS0_14default_configENS1_35adjacent_difference_config_selectorILb0EaEEZNS1_24adjacent_difference_implIS3_Lb0ELb0EPaS7_N6thrust23THRUST_200600_302600_NS4plusIaEEEE10hipError_tPvRmT2_T3_mT4_P12ihipStream_tbEUlT_E_NS1_11comp_targetILNS1_3genE4ELNS1_11target_archE910ELNS1_3gpuE8ELNS1_3repE0EEENS1_30default_config_static_selectorELNS0_4arch9wavefront6targetE1EEEvT1_,"axG",@progbits,_ZN7rocprim17ROCPRIM_400000_NS6detail17trampoline_kernelINS0_14default_configENS1_35adjacent_difference_config_selectorILb0EaEEZNS1_24adjacent_difference_implIS3_Lb0ELb0EPaS7_N6thrust23THRUST_200600_302600_NS4plusIaEEEE10hipError_tPvRmT2_T3_mT4_P12ihipStream_tbEUlT_E_NS1_11comp_targetILNS1_3genE4ELNS1_11target_archE910ELNS1_3gpuE8ELNS1_3repE0EEENS1_30default_config_static_selectorELNS0_4arch9wavefront6targetE1EEEvT1_,comdat
.Lfunc_end29:
	.size	_ZN7rocprim17ROCPRIM_400000_NS6detail17trampoline_kernelINS0_14default_configENS1_35adjacent_difference_config_selectorILb0EaEEZNS1_24adjacent_difference_implIS3_Lb0ELb0EPaS7_N6thrust23THRUST_200600_302600_NS4plusIaEEEE10hipError_tPvRmT2_T3_mT4_P12ihipStream_tbEUlT_E_NS1_11comp_targetILNS1_3genE4ELNS1_11target_archE910ELNS1_3gpuE8ELNS1_3repE0EEENS1_30default_config_static_selectorELNS0_4arch9wavefront6targetE1EEEvT1_, .Lfunc_end29-_ZN7rocprim17ROCPRIM_400000_NS6detail17trampoline_kernelINS0_14default_configENS1_35adjacent_difference_config_selectorILb0EaEEZNS1_24adjacent_difference_implIS3_Lb0ELb0EPaS7_N6thrust23THRUST_200600_302600_NS4plusIaEEEE10hipError_tPvRmT2_T3_mT4_P12ihipStream_tbEUlT_E_NS1_11comp_targetILNS1_3genE4ELNS1_11target_archE910ELNS1_3gpuE8ELNS1_3repE0EEENS1_30default_config_static_selectorELNS0_4arch9wavefront6targetE1EEEvT1_
                                        ; -- End function
	.section	.AMDGPU.csdata,"",@progbits
; Kernel info:
; codeLenInByte = 0
; NumSgprs: 6
; NumVgprs: 0
; NumAgprs: 0
; TotalNumVgprs: 0
; ScratchSize: 0
; MemoryBound: 0
; FloatMode: 240
; IeeeMode: 1
; LDSByteSize: 0 bytes/workgroup (compile time only)
; SGPRBlocks: 0
; VGPRBlocks: 0
; NumSGPRsForWavesPerEU: 6
; NumVGPRsForWavesPerEU: 1
; AccumOffset: 4
; Occupancy: 8
; WaveLimiterHint : 0
; COMPUTE_PGM_RSRC2:SCRATCH_EN: 0
; COMPUTE_PGM_RSRC2:USER_SGPR: 2
; COMPUTE_PGM_RSRC2:TRAP_HANDLER: 0
; COMPUTE_PGM_RSRC2:TGID_X_EN: 1
; COMPUTE_PGM_RSRC2:TGID_Y_EN: 0
; COMPUTE_PGM_RSRC2:TGID_Z_EN: 0
; COMPUTE_PGM_RSRC2:TIDIG_COMP_CNT: 0
; COMPUTE_PGM_RSRC3_GFX90A:ACCUM_OFFSET: 0
; COMPUTE_PGM_RSRC3_GFX90A:TG_SPLIT: 0
	.section	.text._ZN7rocprim17ROCPRIM_400000_NS6detail17trampoline_kernelINS0_14default_configENS1_35adjacent_difference_config_selectorILb0EaEEZNS1_24adjacent_difference_implIS3_Lb0ELb0EPaS7_N6thrust23THRUST_200600_302600_NS4plusIaEEEE10hipError_tPvRmT2_T3_mT4_P12ihipStream_tbEUlT_E_NS1_11comp_targetILNS1_3genE3ELNS1_11target_archE908ELNS1_3gpuE7ELNS1_3repE0EEENS1_30default_config_static_selectorELNS0_4arch9wavefront6targetE1EEEvT1_,"axG",@progbits,_ZN7rocprim17ROCPRIM_400000_NS6detail17trampoline_kernelINS0_14default_configENS1_35adjacent_difference_config_selectorILb0EaEEZNS1_24adjacent_difference_implIS3_Lb0ELb0EPaS7_N6thrust23THRUST_200600_302600_NS4plusIaEEEE10hipError_tPvRmT2_T3_mT4_P12ihipStream_tbEUlT_E_NS1_11comp_targetILNS1_3genE3ELNS1_11target_archE908ELNS1_3gpuE7ELNS1_3repE0EEENS1_30default_config_static_selectorELNS0_4arch9wavefront6targetE1EEEvT1_,comdat
	.protected	_ZN7rocprim17ROCPRIM_400000_NS6detail17trampoline_kernelINS0_14default_configENS1_35adjacent_difference_config_selectorILb0EaEEZNS1_24adjacent_difference_implIS3_Lb0ELb0EPaS7_N6thrust23THRUST_200600_302600_NS4plusIaEEEE10hipError_tPvRmT2_T3_mT4_P12ihipStream_tbEUlT_E_NS1_11comp_targetILNS1_3genE3ELNS1_11target_archE908ELNS1_3gpuE7ELNS1_3repE0EEENS1_30default_config_static_selectorELNS0_4arch9wavefront6targetE1EEEvT1_ ; -- Begin function _ZN7rocprim17ROCPRIM_400000_NS6detail17trampoline_kernelINS0_14default_configENS1_35adjacent_difference_config_selectorILb0EaEEZNS1_24adjacent_difference_implIS3_Lb0ELb0EPaS7_N6thrust23THRUST_200600_302600_NS4plusIaEEEE10hipError_tPvRmT2_T3_mT4_P12ihipStream_tbEUlT_E_NS1_11comp_targetILNS1_3genE3ELNS1_11target_archE908ELNS1_3gpuE7ELNS1_3repE0EEENS1_30default_config_static_selectorELNS0_4arch9wavefront6targetE1EEEvT1_
	.globl	_ZN7rocprim17ROCPRIM_400000_NS6detail17trampoline_kernelINS0_14default_configENS1_35adjacent_difference_config_selectorILb0EaEEZNS1_24adjacent_difference_implIS3_Lb0ELb0EPaS7_N6thrust23THRUST_200600_302600_NS4plusIaEEEE10hipError_tPvRmT2_T3_mT4_P12ihipStream_tbEUlT_E_NS1_11comp_targetILNS1_3genE3ELNS1_11target_archE908ELNS1_3gpuE7ELNS1_3repE0EEENS1_30default_config_static_selectorELNS0_4arch9wavefront6targetE1EEEvT1_
	.p2align	8
	.type	_ZN7rocprim17ROCPRIM_400000_NS6detail17trampoline_kernelINS0_14default_configENS1_35adjacent_difference_config_selectorILb0EaEEZNS1_24adjacent_difference_implIS3_Lb0ELb0EPaS7_N6thrust23THRUST_200600_302600_NS4plusIaEEEE10hipError_tPvRmT2_T3_mT4_P12ihipStream_tbEUlT_E_NS1_11comp_targetILNS1_3genE3ELNS1_11target_archE908ELNS1_3gpuE7ELNS1_3repE0EEENS1_30default_config_static_selectorELNS0_4arch9wavefront6targetE1EEEvT1_,@function
_ZN7rocprim17ROCPRIM_400000_NS6detail17trampoline_kernelINS0_14default_configENS1_35adjacent_difference_config_selectorILb0EaEEZNS1_24adjacent_difference_implIS3_Lb0ELb0EPaS7_N6thrust23THRUST_200600_302600_NS4plusIaEEEE10hipError_tPvRmT2_T3_mT4_P12ihipStream_tbEUlT_E_NS1_11comp_targetILNS1_3genE3ELNS1_11target_archE908ELNS1_3gpuE7ELNS1_3repE0EEENS1_30default_config_static_selectorELNS0_4arch9wavefront6targetE1EEEvT1_: ; @_ZN7rocprim17ROCPRIM_400000_NS6detail17trampoline_kernelINS0_14default_configENS1_35adjacent_difference_config_selectorILb0EaEEZNS1_24adjacent_difference_implIS3_Lb0ELb0EPaS7_N6thrust23THRUST_200600_302600_NS4plusIaEEEE10hipError_tPvRmT2_T3_mT4_P12ihipStream_tbEUlT_E_NS1_11comp_targetILNS1_3genE3ELNS1_11target_archE908ELNS1_3gpuE7ELNS1_3repE0EEENS1_30default_config_static_selectorELNS0_4arch9wavefront6targetE1EEEvT1_
; %bb.0:
	.section	.rodata,"a",@progbits
	.p2align	6, 0x0
	.amdhsa_kernel _ZN7rocprim17ROCPRIM_400000_NS6detail17trampoline_kernelINS0_14default_configENS1_35adjacent_difference_config_selectorILb0EaEEZNS1_24adjacent_difference_implIS3_Lb0ELb0EPaS7_N6thrust23THRUST_200600_302600_NS4plusIaEEEE10hipError_tPvRmT2_T3_mT4_P12ihipStream_tbEUlT_E_NS1_11comp_targetILNS1_3genE3ELNS1_11target_archE908ELNS1_3gpuE7ELNS1_3repE0EEENS1_30default_config_static_selectorELNS0_4arch9wavefront6targetE1EEEvT1_
		.amdhsa_group_segment_fixed_size 0
		.amdhsa_private_segment_fixed_size 0
		.amdhsa_kernarg_size 56
		.amdhsa_user_sgpr_count 2
		.amdhsa_user_sgpr_dispatch_ptr 0
		.amdhsa_user_sgpr_queue_ptr 0
		.amdhsa_user_sgpr_kernarg_segment_ptr 1
		.amdhsa_user_sgpr_dispatch_id 0
		.amdhsa_user_sgpr_kernarg_preload_length 0
		.amdhsa_user_sgpr_kernarg_preload_offset 0
		.amdhsa_user_sgpr_private_segment_size 0
		.amdhsa_uses_dynamic_stack 0
		.amdhsa_enable_private_segment 0
		.amdhsa_system_sgpr_workgroup_id_x 1
		.amdhsa_system_sgpr_workgroup_id_y 0
		.amdhsa_system_sgpr_workgroup_id_z 0
		.amdhsa_system_sgpr_workgroup_info 0
		.amdhsa_system_vgpr_workitem_id 0
		.amdhsa_next_free_vgpr 1
		.amdhsa_next_free_sgpr 0
		.amdhsa_accum_offset 4
		.amdhsa_reserve_vcc 0
		.amdhsa_float_round_mode_32 0
		.amdhsa_float_round_mode_16_64 0
		.amdhsa_float_denorm_mode_32 3
		.amdhsa_float_denorm_mode_16_64 3
		.amdhsa_dx10_clamp 1
		.amdhsa_ieee_mode 1
		.amdhsa_fp16_overflow 0
		.amdhsa_tg_split 0
		.amdhsa_exception_fp_ieee_invalid_op 0
		.amdhsa_exception_fp_denorm_src 0
		.amdhsa_exception_fp_ieee_div_zero 0
		.amdhsa_exception_fp_ieee_overflow 0
		.amdhsa_exception_fp_ieee_underflow 0
		.amdhsa_exception_fp_ieee_inexact 0
		.amdhsa_exception_int_div_zero 0
	.end_amdhsa_kernel
	.section	.text._ZN7rocprim17ROCPRIM_400000_NS6detail17trampoline_kernelINS0_14default_configENS1_35adjacent_difference_config_selectorILb0EaEEZNS1_24adjacent_difference_implIS3_Lb0ELb0EPaS7_N6thrust23THRUST_200600_302600_NS4plusIaEEEE10hipError_tPvRmT2_T3_mT4_P12ihipStream_tbEUlT_E_NS1_11comp_targetILNS1_3genE3ELNS1_11target_archE908ELNS1_3gpuE7ELNS1_3repE0EEENS1_30default_config_static_selectorELNS0_4arch9wavefront6targetE1EEEvT1_,"axG",@progbits,_ZN7rocprim17ROCPRIM_400000_NS6detail17trampoline_kernelINS0_14default_configENS1_35adjacent_difference_config_selectorILb0EaEEZNS1_24adjacent_difference_implIS3_Lb0ELb0EPaS7_N6thrust23THRUST_200600_302600_NS4plusIaEEEE10hipError_tPvRmT2_T3_mT4_P12ihipStream_tbEUlT_E_NS1_11comp_targetILNS1_3genE3ELNS1_11target_archE908ELNS1_3gpuE7ELNS1_3repE0EEENS1_30default_config_static_selectorELNS0_4arch9wavefront6targetE1EEEvT1_,comdat
.Lfunc_end30:
	.size	_ZN7rocprim17ROCPRIM_400000_NS6detail17trampoline_kernelINS0_14default_configENS1_35adjacent_difference_config_selectorILb0EaEEZNS1_24adjacent_difference_implIS3_Lb0ELb0EPaS7_N6thrust23THRUST_200600_302600_NS4plusIaEEEE10hipError_tPvRmT2_T3_mT4_P12ihipStream_tbEUlT_E_NS1_11comp_targetILNS1_3genE3ELNS1_11target_archE908ELNS1_3gpuE7ELNS1_3repE0EEENS1_30default_config_static_selectorELNS0_4arch9wavefront6targetE1EEEvT1_, .Lfunc_end30-_ZN7rocprim17ROCPRIM_400000_NS6detail17trampoline_kernelINS0_14default_configENS1_35adjacent_difference_config_selectorILb0EaEEZNS1_24adjacent_difference_implIS3_Lb0ELb0EPaS7_N6thrust23THRUST_200600_302600_NS4plusIaEEEE10hipError_tPvRmT2_T3_mT4_P12ihipStream_tbEUlT_E_NS1_11comp_targetILNS1_3genE3ELNS1_11target_archE908ELNS1_3gpuE7ELNS1_3repE0EEENS1_30default_config_static_selectorELNS0_4arch9wavefront6targetE1EEEvT1_
                                        ; -- End function
	.section	.AMDGPU.csdata,"",@progbits
; Kernel info:
; codeLenInByte = 0
; NumSgprs: 6
; NumVgprs: 0
; NumAgprs: 0
; TotalNumVgprs: 0
; ScratchSize: 0
; MemoryBound: 0
; FloatMode: 240
; IeeeMode: 1
; LDSByteSize: 0 bytes/workgroup (compile time only)
; SGPRBlocks: 0
; VGPRBlocks: 0
; NumSGPRsForWavesPerEU: 6
; NumVGPRsForWavesPerEU: 1
; AccumOffset: 4
; Occupancy: 8
; WaveLimiterHint : 0
; COMPUTE_PGM_RSRC2:SCRATCH_EN: 0
; COMPUTE_PGM_RSRC2:USER_SGPR: 2
; COMPUTE_PGM_RSRC2:TRAP_HANDLER: 0
; COMPUTE_PGM_RSRC2:TGID_X_EN: 1
; COMPUTE_PGM_RSRC2:TGID_Y_EN: 0
; COMPUTE_PGM_RSRC2:TGID_Z_EN: 0
; COMPUTE_PGM_RSRC2:TIDIG_COMP_CNT: 0
; COMPUTE_PGM_RSRC3_GFX90A:ACCUM_OFFSET: 0
; COMPUTE_PGM_RSRC3_GFX90A:TG_SPLIT: 0
	.section	.text._ZN7rocprim17ROCPRIM_400000_NS6detail17trampoline_kernelINS0_14default_configENS1_35adjacent_difference_config_selectorILb0EaEEZNS1_24adjacent_difference_implIS3_Lb0ELb0EPaS7_N6thrust23THRUST_200600_302600_NS4plusIaEEEE10hipError_tPvRmT2_T3_mT4_P12ihipStream_tbEUlT_E_NS1_11comp_targetILNS1_3genE2ELNS1_11target_archE906ELNS1_3gpuE6ELNS1_3repE0EEENS1_30default_config_static_selectorELNS0_4arch9wavefront6targetE1EEEvT1_,"axG",@progbits,_ZN7rocprim17ROCPRIM_400000_NS6detail17trampoline_kernelINS0_14default_configENS1_35adjacent_difference_config_selectorILb0EaEEZNS1_24adjacent_difference_implIS3_Lb0ELb0EPaS7_N6thrust23THRUST_200600_302600_NS4plusIaEEEE10hipError_tPvRmT2_T3_mT4_P12ihipStream_tbEUlT_E_NS1_11comp_targetILNS1_3genE2ELNS1_11target_archE906ELNS1_3gpuE6ELNS1_3repE0EEENS1_30default_config_static_selectorELNS0_4arch9wavefront6targetE1EEEvT1_,comdat
	.protected	_ZN7rocprim17ROCPRIM_400000_NS6detail17trampoline_kernelINS0_14default_configENS1_35adjacent_difference_config_selectorILb0EaEEZNS1_24adjacent_difference_implIS3_Lb0ELb0EPaS7_N6thrust23THRUST_200600_302600_NS4plusIaEEEE10hipError_tPvRmT2_T3_mT4_P12ihipStream_tbEUlT_E_NS1_11comp_targetILNS1_3genE2ELNS1_11target_archE906ELNS1_3gpuE6ELNS1_3repE0EEENS1_30default_config_static_selectorELNS0_4arch9wavefront6targetE1EEEvT1_ ; -- Begin function _ZN7rocprim17ROCPRIM_400000_NS6detail17trampoline_kernelINS0_14default_configENS1_35adjacent_difference_config_selectorILb0EaEEZNS1_24adjacent_difference_implIS3_Lb0ELb0EPaS7_N6thrust23THRUST_200600_302600_NS4plusIaEEEE10hipError_tPvRmT2_T3_mT4_P12ihipStream_tbEUlT_E_NS1_11comp_targetILNS1_3genE2ELNS1_11target_archE906ELNS1_3gpuE6ELNS1_3repE0EEENS1_30default_config_static_selectorELNS0_4arch9wavefront6targetE1EEEvT1_
	.globl	_ZN7rocprim17ROCPRIM_400000_NS6detail17trampoline_kernelINS0_14default_configENS1_35adjacent_difference_config_selectorILb0EaEEZNS1_24adjacent_difference_implIS3_Lb0ELb0EPaS7_N6thrust23THRUST_200600_302600_NS4plusIaEEEE10hipError_tPvRmT2_T3_mT4_P12ihipStream_tbEUlT_E_NS1_11comp_targetILNS1_3genE2ELNS1_11target_archE906ELNS1_3gpuE6ELNS1_3repE0EEENS1_30default_config_static_selectorELNS0_4arch9wavefront6targetE1EEEvT1_
	.p2align	8
	.type	_ZN7rocprim17ROCPRIM_400000_NS6detail17trampoline_kernelINS0_14default_configENS1_35adjacent_difference_config_selectorILb0EaEEZNS1_24adjacent_difference_implIS3_Lb0ELb0EPaS7_N6thrust23THRUST_200600_302600_NS4plusIaEEEE10hipError_tPvRmT2_T3_mT4_P12ihipStream_tbEUlT_E_NS1_11comp_targetILNS1_3genE2ELNS1_11target_archE906ELNS1_3gpuE6ELNS1_3repE0EEENS1_30default_config_static_selectorELNS0_4arch9wavefront6targetE1EEEvT1_,@function
_ZN7rocprim17ROCPRIM_400000_NS6detail17trampoline_kernelINS0_14default_configENS1_35adjacent_difference_config_selectorILb0EaEEZNS1_24adjacent_difference_implIS3_Lb0ELb0EPaS7_N6thrust23THRUST_200600_302600_NS4plusIaEEEE10hipError_tPvRmT2_T3_mT4_P12ihipStream_tbEUlT_E_NS1_11comp_targetILNS1_3genE2ELNS1_11target_archE906ELNS1_3gpuE6ELNS1_3repE0EEENS1_30default_config_static_selectorELNS0_4arch9wavefront6targetE1EEEvT1_: ; @_ZN7rocprim17ROCPRIM_400000_NS6detail17trampoline_kernelINS0_14default_configENS1_35adjacent_difference_config_selectorILb0EaEEZNS1_24adjacent_difference_implIS3_Lb0ELb0EPaS7_N6thrust23THRUST_200600_302600_NS4plusIaEEEE10hipError_tPvRmT2_T3_mT4_P12ihipStream_tbEUlT_E_NS1_11comp_targetILNS1_3genE2ELNS1_11target_archE906ELNS1_3gpuE6ELNS1_3repE0EEENS1_30default_config_static_selectorELNS0_4arch9wavefront6targetE1EEEvT1_
; %bb.0:
	.section	.rodata,"a",@progbits
	.p2align	6, 0x0
	.amdhsa_kernel _ZN7rocprim17ROCPRIM_400000_NS6detail17trampoline_kernelINS0_14default_configENS1_35adjacent_difference_config_selectorILb0EaEEZNS1_24adjacent_difference_implIS3_Lb0ELb0EPaS7_N6thrust23THRUST_200600_302600_NS4plusIaEEEE10hipError_tPvRmT2_T3_mT4_P12ihipStream_tbEUlT_E_NS1_11comp_targetILNS1_3genE2ELNS1_11target_archE906ELNS1_3gpuE6ELNS1_3repE0EEENS1_30default_config_static_selectorELNS0_4arch9wavefront6targetE1EEEvT1_
		.amdhsa_group_segment_fixed_size 0
		.amdhsa_private_segment_fixed_size 0
		.amdhsa_kernarg_size 56
		.amdhsa_user_sgpr_count 2
		.amdhsa_user_sgpr_dispatch_ptr 0
		.amdhsa_user_sgpr_queue_ptr 0
		.amdhsa_user_sgpr_kernarg_segment_ptr 1
		.amdhsa_user_sgpr_dispatch_id 0
		.amdhsa_user_sgpr_kernarg_preload_length 0
		.amdhsa_user_sgpr_kernarg_preload_offset 0
		.amdhsa_user_sgpr_private_segment_size 0
		.amdhsa_uses_dynamic_stack 0
		.amdhsa_enable_private_segment 0
		.amdhsa_system_sgpr_workgroup_id_x 1
		.amdhsa_system_sgpr_workgroup_id_y 0
		.amdhsa_system_sgpr_workgroup_id_z 0
		.amdhsa_system_sgpr_workgroup_info 0
		.amdhsa_system_vgpr_workitem_id 0
		.amdhsa_next_free_vgpr 1
		.amdhsa_next_free_sgpr 0
		.amdhsa_accum_offset 4
		.amdhsa_reserve_vcc 0
		.amdhsa_float_round_mode_32 0
		.amdhsa_float_round_mode_16_64 0
		.amdhsa_float_denorm_mode_32 3
		.amdhsa_float_denorm_mode_16_64 3
		.amdhsa_dx10_clamp 1
		.amdhsa_ieee_mode 1
		.amdhsa_fp16_overflow 0
		.amdhsa_tg_split 0
		.amdhsa_exception_fp_ieee_invalid_op 0
		.amdhsa_exception_fp_denorm_src 0
		.amdhsa_exception_fp_ieee_div_zero 0
		.amdhsa_exception_fp_ieee_overflow 0
		.amdhsa_exception_fp_ieee_underflow 0
		.amdhsa_exception_fp_ieee_inexact 0
		.amdhsa_exception_int_div_zero 0
	.end_amdhsa_kernel
	.section	.text._ZN7rocprim17ROCPRIM_400000_NS6detail17trampoline_kernelINS0_14default_configENS1_35adjacent_difference_config_selectorILb0EaEEZNS1_24adjacent_difference_implIS3_Lb0ELb0EPaS7_N6thrust23THRUST_200600_302600_NS4plusIaEEEE10hipError_tPvRmT2_T3_mT4_P12ihipStream_tbEUlT_E_NS1_11comp_targetILNS1_3genE2ELNS1_11target_archE906ELNS1_3gpuE6ELNS1_3repE0EEENS1_30default_config_static_selectorELNS0_4arch9wavefront6targetE1EEEvT1_,"axG",@progbits,_ZN7rocprim17ROCPRIM_400000_NS6detail17trampoline_kernelINS0_14default_configENS1_35adjacent_difference_config_selectorILb0EaEEZNS1_24adjacent_difference_implIS3_Lb0ELb0EPaS7_N6thrust23THRUST_200600_302600_NS4plusIaEEEE10hipError_tPvRmT2_T3_mT4_P12ihipStream_tbEUlT_E_NS1_11comp_targetILNS1_3genE2ELNS1_11target_archE906ELNS1_3gpuE6ELNS1_3repE0EEENS1_30default_config_static_selectorELNS0_4arch9wavefront6targetE1EEEvT1_,comdat
.Lfunc_end31:
	.size	_ZN7rocprim17ROCPRIM_400000_NS6detail17trampoline_kernelINS0_14default_configENS1_35adjacent_difference_config_selectorILb0EaEEZNS1_24adjacent_difference_implIS3_Lb0ELb0EPaS7_N6thrust23THRUST_200600_302600_NS4plusIaEEEE10hipError_tPvRmT2_T3_mT4_P12ihipStream_tbEUlT_E_NS1_11comp_targetILNS1_3genE2ELNS1_11target_archE906ELNS1_3gpuE6ELNS1_3repE0EEENS1_30default_config_static_selectorELNS0_4arch9wavefront6targetE1EEEvT1_, .Lfunc_end31-_ZN7rocprim17ROCPRIM_400000_NS6detail17trampoline_kernelINS0_14default_configENS1_35adjacent_difference_config_selectorILb0EaEEZNS1_24adjacent_difference_implIS3_Lb0ELb0EPaS7_N6thrust23THRUST_200600_302600_NS4plusIaEEEE10hipError_tPvRmT2_T3_mT4_P12ihipStream_tbEUlT_E_NS1_11comp_targetILNS1_3genE2ELNS1_11target_archE906ELNS1_3gpuE6ELNS1_3repE0EEENS1_30default_config_static_selectorELNS0_4arch9wavefront6targetE1EEEvT1_
                                        ; -- End function
	.section	.AMDGPU.csdata,"",@progbits
; Kernel info:
; codeLenInByte = 0
; NumSgprs: 6
; NumVgprs: 0
; NumAgprs: 0
; TotalNumVgprs: 0
; ScratchSize: 0
; MemoryBound: 0
; FloatMode: 240
; IeeeMode: 1
; LDSByteSize: 0 bytes/workgroup (compile time only)
; SGPRBlocks: 0
; VGPRBlocks: 0
; NumSGPRsForWavesPerEU: 6
; NumVGPRsForWavesPerEU: 1
; AccumOffset: 4
; Occupancy: 8
; WaveLimiterHint : 0
; COMPUTE_PGM_RSRC2:SCRATCH_EN: 0
; COMPUTE_PGM_RSRC2:USER_SGPR: 2
; COMPUTE_PGM_RSRC2:TRAP_HANDLER: 0
; COMPUTE_PGM_RSRC2:TGID_X_EN: 1
; COMPUTE_PGM_RSRC2:TGID_Y_EN: 0
; COMPUTE_PGM_RSRC2:TGID_Z_EN: 0
; COMPUTE_PGM_RSRC2:TIDIG_COMP_CNT: 0
; COMPUTE_PGM_RSRC3_GFX90A:ACCUM_OFFSET: 0
; COMPUTE_PGM_RSRC3_GFX90A:TG_SPLIT: 0
	.section	.text._ZN7rocprim17ROCPRIM_400000_NS6detail17trampoline_kernelINS0_14default_configENS1_35adjacent_difference_config_selectorILb0EaEEZNS1_24adjacent_difference_implIS3_Lb0ELb0EPaS7_N6thrust23THRUST_200600_302600_NS4plusIaEEEE10hipError_tPvRmT2_T3_mT4_P12ihipStream_tbEUlT_E_NS1_11comp_targetILNS1_3genE9ELNS1_11target_archE1100ELNS1_3gpuE3ELNS1_3repE0EEENS1_30default_config_static_selectorELNS0_4arch9wavefront6targetE1EEEvT1_,"axG",@progbits,_ZN7rocprim17ROCPRIM_400000_NS6detail17trampoline_kernelINS0_14default_configENS1_35adjacent_difference_config_selectorILb0EaEEZNS1_24adjacent_difference_implIS3_Lb0ELb0EPaS7_N6thrust23THRUST_200600_302600_NS4plusIaEEEE10hipError_tPvRmT2_T3_mT4_P12ihipStream_tbEUlT_E_NS1_11comp_targetILNS1_3genE9ELNS1_11target_archE1100ELNS1_3gpuE3ELNS1_3repE0EEENS1_30default_config_static_selectorELNS0_4arch9wavefront6targetE1EEEvT1_,comdat
	.protected	_ZN7rocprim17ROCPRIM_400000_NS6detail17trampoline_kernelINS0_14default_configENS1_35adjacent_difference_config_selectorILb0EaEEZNS1_24adjacent_difference_implIS3_Lb0ELb0EPaS7_N6thrust23THRUST_200600_302600_NS4plusIaEEEE10hipError_tPvRmT2_T3_mT4_P12ihipStream_tbEUlT_E_NS1_11comp_targetILNS1_3genE9ELNS1_11target_archE1100ELNS1_3gpuE3ELNS1_3repE0EEENS1_30default_config_static_selectorELNS0_4arch9wavefront6targetE1EEEvT1_ ; -- Begin function _ZN7rocprim17ROCPRIM_400000_NS6detail17trampoline_kernelINS0_14default_configENS1_35adjacent_difference_config_selectorILb0EaEEZNS1_24adjacent_difference_implIS3_Lb0ELb0EPaS7_N6thrust23THRUST_200600_302600_NS4plusIaEEEE10hipError_tPvRmT2_T3_mT4_P12ihipStream_tbEUlT_E_NS1_11comp_targetILNS1_3genE9ELNS1_11target_archE1100ELNS1_3gpuE3ELNS1_3repE0EEENS1_30default_config_static_selectorELNS0_4arch9wavefront6targetE1EEEvT1_
	.globl	_ZN7rocprim17ROCPRIM_400000_NS6detail17trampoline_kernelINS0_14default_configENS1_35adjacent_difference_config_selectorILb0EaEEZNS1_24adjacent_difference_implIS3_Lb0ELb0EPaS7_N6thrust23THRUST_200600_302600_NS4plusIaEEEE10hipError_tPvRmT2_T3_mT4_P12ihipStream_tbEUlT_E_NS1_11comp_targetILNS1_3genE9ELNS1_11target_archE1100ELNS1_3gpuE3ELNS1_3repE0EEENS1_30default_config_static_selectorELNS0_4arch9wavefront6targetE1EEEvT1_
	.p2align	8
	.type	_ZN7rocprim17ROCPRIM_400000_NS6detail17trampoline_kernelINS0_14default_configENS1_35adjacent_difference_config_selectorILb0EaEEZNS1_24adjacent_difference_implIS3_Lb0ELb0EPaS7_N6thrust23THRUST_200600_302600_NS4plusIaEEEE10hipError_tPvRmT2_T3_mT4_P12ihipStream_tbEUlT_E_NS1_11comp_targetILNS1_3genE9ELNS1_11target_archE1100ELNS1_3gpuE3ELNS1_3repE0EEENS1_30default_config_static_selectorELNS0_4arch9wavefront6targetE1EEEvT1_,@function
_ZN7rocprim17ROCPRIM_400000_NS6detail17trampoline_kernelINS0_14default_configENS1_35adjacent_difference_config_selectorILb0EaEEZNS1_24adjacent_difference_implIS3_Lb0ELb0EPaS7_N6thrust23THRUST_200600_302600_NS4plusIaEEEE10hipError_tPvRmT2_T3_mT4_P12ihipStream_tbEUlT_E_NS1_11comp_targetILNS1_3genE9ELNS1_11target_archE1100ELNS1_3gpuE3ELNS1_3repE0EEENS1_30default_config_static_selectorELNS0_4arch9wavefront6targetE1EEEvT1_: ; @_ZN7rocprim17ROCPRIM_400000_NS6detail17trampoline_kernelINS0_14default_configENS1_35adjacent_difference_config_selectorILb0EaEEZNS1_24adjacent_difference_implIS3_Lb0ELb0EPaS7_N6thrust23THRUST_200600_302600_NS4plusIaEEEE10hipError_tPvRmT2_T3_mT4_P12ihipStream_tbEUlT_E_NS1_11comp_targetILNS1_3genE9ELNS1_11target_archE1100ELNS1_3gpuE3ELNS1_3repE0EEENS1_30default_config_static_selectorELNS0_4arch9wavefront6targetE1EEEvT1_
; %bb.0:
	.section	.rodata,"a",@progbits
	.p2align	6, 0x0
	.amdhsa_kernel _ZN7rocprim17ROCPRIM_400000_NS6detail17trampoline_kernelINS0_14default_configENS1_35adjacent_difference_config_selectorILb0EaEEZNS1_24adjacent_difference_implIS3_Lb0ELb0EPaS7_N6thrust23THRUST_200600_302600_NS4plusIaEEEE10hipError_tPvRmT2_T3_mT4_P12ihipStream_tbEUlT_E_NS1_11comp_targetILNS1_3genE9ELNS1_11target_archE1100ELNS1_3gpuE3ELNS1_3repE0EEENS1_30default_config_static_selectorELNS0_4arch9wavefront6targetE1EEEvT1_
		.amdhsa_group_segment_fixed_size 0
		.amdhsa_private_segment_fixed_size 0
		.amdhsa_kernarg_size 56
		.amdhsa_user_sgpr_count 2
		.amdhsa_user_sgpr_dispatch_ptr 0
		.amdhsa_user_sgpr_queue_ptr 0
		.amdhsa_user_sgpr_kernarg_segment_ptr 1
		.amdhsa_user_sgpr_dispatch_id 0
		.amdhsa_user_sgpr_kernarg_preload_length 0
		.amdhsa_user_sgpr_kernarg_preload_offset 0
		.amdhsa_user_sgpr_private_segment_size 0
		.amdhsa_uses_dynamic_stack 0
		.amdhsa_enable_private_segment 0
		.amdhsa_system_sgpr_workgroup_id_x 1
		.amdhsa_system_sgpr_workgroup_id_y 0
		.amdhsa_system_sgpr_workgroup_id_z 0
		.amdhsa_system_sgpr_workgroup_info 0
		.amdhsa_system_vgpr_workitem_id 0
		.amdhsa_next_free_vgpr 1
		.amdhsa_next_free_sgpr 0
		.amdhsa_accum_offset 4
		.amdhsa_reserve_vcc 0
		.amdhsa_float_round_mode_32 0
		.amdhsa_float_round_mode_16_64 0
		.amdhsa_float_denorm_mode_32 3
		.amdhsa_float_denorm_mode_16_64 3
		.amdhsa_dx10_clamp 1
		.amdhsa_ieee_mode 1
		.amdhsa_fp16_overflow 0
		.amdhsa_tg_split 0
		.amdhsa_exception_fp_ieee_invalid_op 0
		.amdhsa_exception_fp_denorm_src 0
		.amdhsa_exception_fp_ieee_div_zero 0
		.amdhsa_exception_fp_ieee_overflow 0
		.amdhsa_exception_fp_ieee_underflow 0
		.amdhsa_exception_fp_ieee_inexact 0
		.amdhsa_exception_int_div_zero 0
	.end_amdhsa_kernel
	.section	.text._ZN7rocprim17ROCPRIM_400000_NS6detail17trampoline_kernelINS0_14default_configENS1_35adjacent_difference_config_selectorILb0EaEEZNS1_24adjacent_difference_implIS3_Lb0ELb0EPaS7_N6thrust23THRUST_200600_302600_NS4plusIaEEEE10hipError_tPvRmT2_T3_mT4_P12ihipStream_tbEUlT_E_NS1_11comp_targetILNS1_3genE9ELNS1_11target_archE1100ELNS1_3gpuE3ELNS1_3repE0EEENS1_30default_config_static_selectorELNS0_4arch9wavefront6targetE1EEEvT1_,"axG",@progbits,_ZN7rocprim17ROCPRIM_400000_NS6detail17trampoline_kernelINS0_14default_configENS1_35adjacent_difference_config_selectorILb0EaEEZNS1_24adjacent_difference_implIS3_Lb0ELb0EPaS7_N6thrust23THRUST_200600_302600_NS4plusIaEEEE10hipError_tPvRmT2_T3_mT4_P12ihipStream_tbEUlT_E_NS1_11comp_targetILNS1_3genE9ELNS1_11target_archE1100ELNS1_3gpuE3ELNS1_3repE0EEENS1_30default_config_static_selectorELNS0_4arch9wavefront6targetE1EEEvT1_,comdat
.Lfunc_end32:
	.size	_ZN7rocprim17ROCPRIM_400000_NS6detail17trampoline_kernelINS0_14default_configENS1_35adjacent_difference_config_selectorILb0EaEEZNS1_24adjacent_difference_implIS3_Lb0ELb0EPaS7_N6thrust23THRUST_200600_302600_NS4plusIaEEEE10hipError_tPvRmT2_T3_mT4_P12ihipStream_tbEUlT_E_NS1_11comp_targetILNS1_3genE9ELNS1_11target_archE1100ELNS1_3gpuE3ELNS1_3repE0EEENS1_30default_config_static_selectorELNS0_4arch9wavefront6targetE1EEEvT1_, .Lfunc_end32-_ZN7rocprim17ROCPRIM_400000_NS6detail17trampoline_kernelINS0_14default_configENS1_35adjacent_difference_config_selectorILb0EaEEZNS1_24adjacent_difference_implIS3_Lb0ELb0EPaS7_N6thrust23THRUST_200600_302600_NS4plusIaEEEE10hipError_tPvRmT2_T3_mT4_P12ihipStream_tbEUlT_E_NS1_11comp_targetILNS1_3genE9ELNS1_11target_archE1100ELNS1_3gpuE3ELNS1_3repE0EEENS1_30default_config_static_selectorELNS0_4arch9wavefront6targetE1EEEvT1_
                                        ; -- End function
	.section	.AMDGPU.csdata,"",@progbits
; Kernel info:
; codeLenInByte = 0
; NumSgprs: 6
; NumVgprs: 0
; NumAgprs: 0
; TotalNumVgprs: 0
; ScratchSize: 0
; MemoryBound: 0
; FloatMode: 240
; IeeeMode: 1
; LDSByteSize: 0 bytes/workgroup (compile time only)
; SGPRBlocks: 0
; VGPRBlocks: 0
; NumSGPRsForWavesPerEU: 6
; NumVGPRsForWavesPerEU: 1
; AccumOffset: 4
; Occupancy: 8
; WaveLimiterHint : 0
; COMPUTE_PGM_RSRC2:SCRATCH_EN: 0
; COMPUTE_PGM_RSRC2:USER_SGPR: 2
; COMPUTE_PGM_RSRC2:TRAP_HANDLER: 0
; COMPUTE_PGM_RSRC2:TGID_X_EN: 1
; COMPUTE_PGM_RSRC2:TGID_Y_EN: 0
; COMPUTE_PGM_RSRC2:TGID_Z_EN: 0
; COMPUTE_PGM_RSRC2:TIDIG_COMP_CNT: 0
; COMPUTE_PGM_RSRC3_GFX90A:ACCUM_OFFSET: 0
; COMPUTE_PGM_RSRC3_GFX90A:TG_SPLIT: 0
	.section	.text._ZN7rocprim17ROCPRIM_400000_NS6detail17trampoline_kernelINS0_14default_configENS1_35adjacent_difference_config_selectorILb0EaEEZNS1_24adjacent_difference_implIS3_Lb0ELb0EPaS7_N6thrust23THRUST_200600_302600_NS4plusIaEEEE10hipError_tPvRmT2_T3_mT4_P12ihipStream_tbEUlT_E_NS1_11comp_targetILNS1_3genE8ELNS1_11target_archE1030ELNS1_3gpuE2ELNS1_3repE0EEENS1_30default_config_static_selectorELNS0_4arch9wavefront6targetE1EEEvT1_,"axG",@progbits,_ZN7rocprim17ROCPRIM_400000_NS6detail17trampoline_kernelINS0_14default_configENS1_35adjacent_difference_config_selectorILb0EaEEZNS1_24adjacent_difference_implIS3_Lb0ELb0EPaS7_N6thrust23THRUST_200600_302600_NS4plusIaEEEE10hipError_tPvRmT2_T3_mT4_P12ihipStream_tbEUlT_E_NS1_11comp_targetILNS1_3genE8ELNS1_11target_archE1030ELNS1_3gpuE2ELNS1_3repE0EEENS1_30default_config_static_selectorELNS0_4arch9wavefront6targetE1EEEvT1_,comdat
	.protected	_ZN7rocprim17ROCPRIM_400000_NS6detail17trampoline_kernelINS0_14default_configENS1_35adjacent_difference_config_selectorILb0EaEEZNS1_24adjacent_difference_implIS3_Lb0ELb0EPaS7_N6thrust23THRUST_200600_302600_NS4plusIaEEEE10hipError_tPvRmT2_T3_mT4_P12ihipStream_tbEUlT_E_NS1_11comp_targetILNS1_3genE8ELNS1_11target_archE1030ELNS1_3gpuE2ELNS1_3repE0EEENS1_30default_config_static_selectorELNS0_4arch9wavefront6targetE1EEEvT1_ ; -- Begin function _ZN7rocprim17ROCPRIM_400000_NS6detail17trampoline_kernelINS0_14default_configENS1_35adjacent_difference_config_selectorILb0EaEEZNS1_24adjacent_difference_implIS3_Lb0ELb0EPaS7_N6thrust23THRUST_200600_302600_NS4plusIaEEEE10hipError_tPvRmT2_T3_mT4_P12ihipStream_tbEUlT_E_NS1_11comp_targetILNS1_3genE8ELNS1_11target_archE1030ELNS1_3gpuE2ELNS1_3repE0EEENS1_30default_config_static_selectorELNS0_4arch9wavefront6targetE1EEEvT1_
	.globl	_ZN7rocprim17ROCPRIM_400000_NS6detail17trampoline_kernelINS0_14default_configENS1_35adjacent_difference_config_selectorILb0EaEEZNS1_24adjacent_difference_implIS3_Lb0ELb0EPaS7_N6thrust23THRUST_200600_302600_NS4plusIaEEEE10hipError_tPvRmT2_T3_mT4_P12ihipStream_tbEUlT_E_NS1_11comp_targetILNS1_3genE8ELNS1_11target_archE1030ELNS1_3gpuE2ELNS1_3repE0EEENS1_30default_config_static_selectorELNS0_4arch9wavefront6targetE1EEEvT1_
	.p2align	8
	.type	_ZN7rocprim17ROCPRIM_400000_NS6detail17trampoline_kernelINS0_14default_configENS1_35adjacent_difference_config_selectorILb0EaEEZNS1_24adjacent_difference_implIS3_Lb0ELb0EPaS7_N6thrust23THRUST_200600_302600_NS4plusIaEEEE10hipError_tPvRmT2_T3_mT4_P12ihipStream_tbEUlT_E_NS1_11comp_targetILNS1_3genE8ELNS1_11target_archE1030ELNS1_3gpuE2ELNS1_3repE0EEENS1_30default_config_static_selectorELNS0_4arch9wavefront6targetE1EEEvT1_,@function
_ZN7rocprim17ROCPRIM_400000_NS6detail17trampoline_kernelINS0_14default_configENS1_35adjacent_difference_config_selectorILb0EaEEZNS1_24adjacent_difference_implIS3_Lb0ELb0EPaS7_N6thrust23THRUST_200600_302600_NS4plusIaEEEE10hipError_tPvRmT2_T3_mT4_P12ihipStream_tbEUlT_E_NS1_11comp_targetILNS1_3genE8ELNS1_11target_archE1030ELNS1_3gpuE2ELNS1_3repE0EEENS1_30default_config_static_selectorELNS0_4arch9wavefront6targetE1EEEvT1_: ; @_ZN7rocprim17ROCPRIM_400000_NS6detail17trampoline_kernelINS0_14default_configENS1_35adjacent_difference_config_selectorILb0EaEEZNS1_24adjacent_difference_implIS3_Lb0ELb0EPaS7_N6thrust23THRUST_200600_302600_NS4plusIaEEEE10hipError_tPvRmT2_T3_mT4_P12ihipStream_tbEUlT_E_NS1_11comp_targetILNS1_3genE8ELNS1_11target_archE1030ELNS1_3gpuE2ELNS1_3repE0EEENS1_30default_config_static_selectorELNS0_4arch9wavefront6targetE1EEEvT1_
; %bb.0:
	.section	.rodata,"a",@progbits
	.p2align	6, 0x0
	.amdhsa_kernel _ZN7rocprim17ROCPRIM_400000_NS6detail17trampoline_kernelINS0_14default_configENS1_35adjacent_difference_config_selectorILb0EaEEZNS1_24adjacent_difference_implIS3_Lb0ELb0EPaS7_N6thrust23THRUST_200600_302600_NS4plusIaEEEE10hipError_tPvRmT2_T3_mT4_P12ihipStream_tbEUlT_E_NS1_11comp_targetILNS1_3genE8ELNS1_11target_archE1030ELNS1_3gpuE2ELNS1_3repE0EEENS1_30default_config_static_selectorELNS0_4arch9wavefront6targetE1EEEvT1_
		.amdhsa_group_segment_fixed_size 0
		.amdhsa_private_segment_fixed_size 0
		.amdhsa_kernarg_size 56
		.amdhsa_user_sgpr_count 2
		.amdhsa_user_sgpr_dispatch_ptr 0
		.amdhsa_user_sgpr_queue_ptr 0
		.amdhsa_user_sgpr_kernarg_segment_ptr 1
		.amdhsa_user_sgpr_dispatch_id 0
		.amdhsa_user_sgpr_kernarg_preload_length 0
		.amdhsa_user_sgpr_kernarg_preload_offset 0
		.amdhsa_user_sgpr_private_segment_size 0
		.amdhsa_uses_dynamic_stack 0
		.amdhsa_enable_private_segment 0
		.amdhsa_system_sgpr_workgroup_id_x 1
		.amdhsa_system_sgpr_workgroup_id_y 0
		.amdhsa_system_sgpr_workgroup_id_z 0
		.amdhsa_system_sgpr_workgroup_info 0
		.amdhsa_system_vgpr_workitem_id 0
		.amdhsa_next_free_vgpr 1
		.amdhsa_next_free_sgpr 0
		.amdhsa_accum_offset 4
		.amdhsa_reserve_vcc 0
		.amdhsa_float_round_mode_32 0
		.amdhsa_float_round_mode_16_64 0
		.amdhsa_float_denorm_mode_32 3
		.amdhsa_float_denorm_mode_16_64 3
		.amdhsa_dx10_clamp 1
		.amdhsa_ieee_mode 1
		.amdhsa_fp16_overflow 0
		.amdhsa_tg_split 0
		.amdhsa_exception_fp_ieee_invalid_op 0
		.amdhsa_exception_fp_denorm_src 0
		.amdhsa_exception_fp_ieee_div_zero 0
		.amdhsa_exception_fp_ieee_overflow 0
		.amdhsa_exception_fp_ieee_underflow 0
		.amdhsa_exception_fp_ieee_inexact 0
		.amdhsa_exception_int_div_zero 0
	.end_amdhsa_kernel
	.section	.text._ZN7rocprim17ROCPRIM_400000_NS6detail17trampoline_kernelINS0_14default_configENS1_35adjacent_difference_config_selectorILb0EaEEZNS1_24adjacent_difference_implIS3_Lb0ELb0EPaS7_N6thrust23THRUST_200600_302600_NS4plusIaEEEE10hipError_tPvRmT2_T3_mT4_P12ihipStream_tbEUlT_E_NS1_11comp_targetILNS1_3genE8ELNS1_11target_archE1030ELNS1_3gpuE2ELNS1_3repE0EEENS1_30default_config_static_selectorELNS0_4arch9wavefront6targetE1EEEvT1_,"axG",@progbits,_ZN7rocprim17ROCPRIM_400000_NS6detail17trampoline_kernelINS0_14default_configENS1_35adjacent_difference_config_selectorILb0EaEEZNS1_24adjacent_difference_implIS3_Lb0ELb0EPaS7_N6thrust23THRUST_200600_302600_NS4plusIaEEEE10hipError_tPvRmT2_T3_mT4_P12ihipStream_tbEUlT_E_NS1_11comp_targetILNS1_3genE8ELNS1_11target_archE1030ELNS1_3gpuE2ELNS1_3repE0EEENS1_30default_config_static_selectorELNS0_4arch9wavefront6targetE1EEEvT1_,comdat
.Lfunc_end33:
	.size	_ZN7rocprim17ROCPRIM_400000_NS6detail17trampoline_kernelINS0_14default_configENS1_35adjacent_difference_config_selectorILb0EaEEZNS1_24adjacent_difference_implIS3_Lb0ELb0EPaS7_N6thrust23THRUST_200600_302600_NS4plusIaEEEE10hipError_tPvRmT2_T3_mT4_P12ihipStream_tbEUlT_E_NS1_11comp_targetILNS1_3genE8ELNS1_11target_archE1030ELNS1_3gpuE2ELNS1_3repE0EEENS1_30default_config_static_selectorELNS0_4arch9wavefront6targetE1EEEvT1_, .Lfunc_end33-_ZN7rocprim17ROCPRIM_400000_NS6detail17trampoline_kernelINS0_14default_configENS1_35adjacent_difference_config_selectorILb0EaEEZNS1_24adjacent_difference_implIS3_Lb0ELb0EPaS7_N6thrust23THRUST_200600_302600_NS4plusIaEEEE10hipError_tPvRmT2_T3_mT4_P12ihipStream_tbEUlT_E_NS1_11comp_targetILNS1_3genE8ELNS1_11target_archE1030ELNS1_3gpuE2ELNS1_3repE0EEENS1_30default_config_static_selectorELNS0_4arch9wavefront6targetE1EEEvT1_
                                        ; -- End function
	.section	.AMDGPU.csdata,"",@progbits
; Kernel info:
; codeLenInByte = 0
; NumSgprs: 6
; NumVgprs: 0
; NumAgprs: 0
; TotalNumVgprs: 0
; ScratchSize: 0
; MemoryBound: 0
; FloatMode: 240
; IeeeMode: 1
; LDSByteSize: 0 bytes/workgroup (compile time only)
; SGPRBlocks: 0
; VGPRBlocks: 0
; NumSGPRsForWavesPerEU: 6
; NumVGPRsForWavesPerEU: 1
; AccumOffset: 4
; Occupancy: 8
; WaveLimiterHint : 0
; COMPUTE_PGM_RSRC2:SCRATCH_EN: 0
; COMPUTE_PGM_RSRC2:USER_SGPR: 2
; COMPUTE_PGM_RSRC2:TRAP_HANDLER: 0
; COMPUTE_PGM_RSRC2:TGID_X_EN: 1
; COMPUTE_PGM_RSRC2:TGID_Y_EN: 0
; COMPUTE_PGM_RSRC2:TGID_Z_EN: 0
; COMPUTE_PGM_RSRC2:TIDIG_COMP_CNT: 0
; COMPUTE_PGM_RSRC3_GFX90A:ACCUM_OFFSET: 0
; COMPUTE_PGM_RSRC3_GFX90A:TG_SPLIT: 0
	.section	.text._ZN7rocprim17ROCPRIM_400000_NS6detail17trampoline_kernelINS0_14default_configENS1_25transform_config_selectorIaLb0EEEZNS1_14transform_implILb0ES3_S5_NS0_18transform_iteratorINS0_17counting_iteratorImlEEZNS1_24adjacent_difference_implIS3_Lb1ELb0EPaSB_N6thrust23THRUST_200600_302600_NS4plusIaEEEE10hipError_tPvRmT2_T3_mT4_P12ihipStream_tbEUlmE_aEESB_NS0_8identityIvEEEESG_SJ_SK_mSL_SN_bEUlT_E_NS1_11comp_targetILNS1_3genE0ELNS1_11target_archE4294967295ELNS1_3gpuE0ELNS1_3repE0EEENS1_30default_config_static_selectorELNS0_4arch9wavefront6targetE1EEEvT1_,"axG",@progbits,_ZN7rocprim17ROCPRIM_400000_NS6detail17trampoline_kernelINS0_14default_configENS1_25transform_config_selectorIaLb0EEEZNS1_14transform_implILb0ES3_S5_NS0_18transform_iteratorINS0_17counting_iteratorImlEEZNS1_24adjacent_difference_implIS3_Lb1ELb0EPaSB_N6thrust23THRUST_200600_302600_NS4plusIaEEEE10hipError_tPvRmT2_T3_mT4_P12ihipStream_tbEUlmE_aEESB_NS0_8identityIvEEEESG_SJ_SK_mSL_SN_bEUlT_E_NS1_11comp_targetILNS1_3genE0ELNS1_11target_archE4294967295ELNS1_3gpuE0ELNS1_3repE0EEENS1_30default_config_static_selectorELNS0_4arch9wavefront6targetE1EEEvT1_,comdat
	.protected	_ZN7rocprim17ROCPRIM_400000_NS6detail17trampoline_kernelINS0_14default_configENS1_25transform_config_selectorIaLb0EEEZNS1_14transform_implILb0ES3_S5_NS0_18transform_iteratorINS0_17counting_iteratorImlEEZNS1_24adjacent_difference_implIS3_Lb1ELb0EPaSB_N6thrust23THRUST_200600_302600_NS4plusIaEEEE10hipError_tPvRmT2_T3_mT4_P12ihipStream_tbEUlmE_aEESB_NS0_8identityIvEEEESG_SJ_SK_mSL_SN_bEUlT_E_NS1_11comp_targetILNS1_3genE0ELNS1_11target_archE4294967295ELNS1_3gpuE0ELNS1_3repE0EEENS1_30default_config_static_selectorELNS0_4arch9wavefront6targetE1EEEvT1_ ; -- Begin function _ZN7rocprim17ROCPRIM_400000_NS6detail17trampoline_kernelINS0_14default_configENS1_25transform_config_selectorIaLb0EEEZNS1_14transform_implILb0ES3_S5_NS0_18transform_iteratorINS0_17counting_iteratorImlEEZNS1_24adjacent_difference_implIS3_Lb1ELb0EPaSB_N6thrust23THRUST_200600_302600_NS4plusIaEEEE10hipError_tPvRmT2_T3_mT4_P12ihipStream_tbEUlmE_aEESB_NS0_8identityIvEEEESG_SJ_SK_mSL_SN_bEUlT_E_NS1_11comp_targetILNS1_3genE0ELNS1_11target_archE4294967295ELNS1_3gpuE0ELNS1_3repE0EEENS1_30default_config_static_selectorELNS0_4arch9wavefront6targetE1EEEvT1_
	.globl	_ZN7rocprim17ROCPRIM_400000_NS6detail17trampoline_kernelINS0_14default_configENS1_25transform_config_selectorIaLb0EEEZNS1_14transform_implILb0ES3_S5_NS0_18transform_iteratorINS0_17counting_iteratorImlEEZNS1_24adjacent_difference_implIS3_Lb1ELb0EPaSB_N6thrust23THRUST_200600_302600_NS4plusIaEEEE10hipError_tPvRmT2_T3_mT4_P12ihipStream_tbEUlmE_aEESB_NS0_8identityIvEEEESG_SJ_SK_mSL_SN_bEUlT_E_NS1_11comp_targetILNS1_3genE0ELNS1_11target_archE4294967295ELNS1_3gpuE0ELNS1_3repE0EEENS1_30default_config_static_selectorELNS0_4arch9wavefront6targetE1EEEvT1_
	.p2align	8
	.type	_ZN7rocprim17ROCPRIM_400000_NS6detail17trampoline_kernelINS0_14default_configENS1_25transform_config_selectorIaLb0EEEZNS1_14transform_implILb0ES3_S5_NS0_18transform_iteratorINS0_17counting_iteratorImlEEZNS1_24adjacent_difference_implIS3_Lb1ELb0EPaSB_N6thrust23THRUST_200600_302600_NS4plusIaEEEE10hipError_tPvRmT2_T3_mT4_P12ihipStream_tbEUlmE_aEESB_NS0_8identityIvEEEESG_SJ_SK_mSL_SN_bEUlT_E_NS1_11comp_targetILNS1_3genE0ELNS1_11target_archE4294967295ELNS1_3gpuE0ELNS1_3repE0EEENS1_30default_config_static_selectorELNS0_4arch9wavefront6targetE1EEEvT1_,@function
_ZN7rocprim17ROCPRIM_400000_NS6detail17trampoline_kernelINS0_14default_configENS1_25transform_config_selectorIaLb0EEEZNS1_14transform_implILb0ES3_S5_NS0_18transform_iteratorINS0_17counting_iteratorImlEEZNS1_24adjacent_difference_implIS3_Lb1ELb0EPaSB_N6thrust23THRUST_200600_302600_NS4plusIaEEEE10hipError_tPvRmT2_T3_mT4_P12ihipStream_tbEUlmE_aEESB_NS0_8identityIvEEEESG_SJ_SK_mSL_SN_bEUlT_E_NS1_11comp_targetILNS1_3genE0ELNS1_11target_archE4294967295ELNS1_3gpuE0ELNS1_3repE0EEENS1_30default_config_static_selectorELNS0_4arch9wavefront6targetE1EEEvT1_: ; @_ZN7rocprim17ROCPRIM_400000_NS6detail17trampoline_kernelINS0_14default_configENS1_25transform_config_selectorIaLb0EEEZNS1_14transform_implILb0ES3_S5_NS0_18transform_iteratorINS0_17counting_iteratorImlEEZNS1_24adjacent_difference_implIS3_Lb1ELb0EPaSB_N6thrust23THRUST_200600_302600_NS4plusIaEEEE10hipError_tPvRmT2_T3_mT4_P12ihipStream_tbEUlmE_aEESB_NS0_8identityIvEEEESG_SJ_SK_mSL_SN_bEUlT_E_NS1_11comp_targetILNS1_3genE0ELNS1_11target_archE4294967295ELNS1_3gpuE0ELNS1_3repE0EEENS1_30default_config_static_selectorELNS0_4arch9wavefront6targetE1EEEvT1_
; %bb.0:
	.section	.rodata,"a",@progbits
	.p2align	6, 0x0
	.amdhsa_kernel _ZN7rocprim17ROCPRIM_400000_NS6detail17trampoline_kernelINS0_14default_configENS1_25transform_config_selectorIaLb0EEEZNS1_14transform_implILb0ES3_S5_NS0_18transform_iteratorINS0_17counting_iteratorImlEEZNS1_24adjacent_difference_implIS3_Lb1ELb0EPaSB_N6thrust23THRUST_200600_302600_NS4plusIaEEEE10hipError_tPvRmT2_T3_mT4_P12ihipStream_tbEUlmE_aEESB_NS0_8identityIvEEEESG_SJ_SK_mSL_SN_bEUlT_E_NS1_11comp_targetILNS1_3genE0ELNS1_11target_archE4294967295ELNS1_3gpuE0ELNS1_3repE0EEENS1_30default_config_static_selectorELNS0_4arch9wavefront6targetE1EEEvT1_
		.amdhsa_group_segment_fixed_size 0
		.amdhsa_private_segment_fixed_size 0
		.amdhsa_kernarg_size 56
		.amdhsa_user_sgpr_count 2
		.amdhsa_user_sgpr_dispatch_ptr 0
		.amdhsa_user_sgpr_queue_ptr 0
		.amdhsa_user_sgpr_kernarg_segment_ptr 1
		.amdhsa_user_sgpr_dispatch_id 0
		.amdhsa_user_sgpr_kernarg_preload_length 0
		.amdhsa_user_sgpr_kernarg_preload_offset 0
		.amdhsa_user_sgpr_private_segment_size 0
		.amdhsa_uses_dynamic_stack 0
		.amdhsa_enable_private_segment 0
		.amdhsa_system_sgpr_workgroup_id_x 1
		.amdhsa_system_sgpr_workgroup_id_y 0
		.amdhsa_system_sgpr_workgroup_id_z 0
		.amdhsa_system_sgpr_workgroup_info 0
		.amdhsa_system_vgpr_workitem_id 0
		.amdhsa_next_free_vgpr 1
		.amdhsa_next_free_sgpr 0
		.amdhsa_accum_offset 4
		.amdhsa_reserve_vcc 0
		.amdhsa_float_round_mode_32 0
		.amdhsa_float_round_mode_16_64 0
		.amdhsa_float_denorm_mode_32 3
		.amdhsa_float_denorm_mode_16_64 3
		.amdhsa_dx10_clamp 1
		.amdhsa_ieee_mode 1
		.amdhsa_fp16_overflow 0
		.amdhsa_tg_split 0
		.amdhsa_exception_fp_ieee_invalid_op 0
		.amdhsa_exception_fp_denorm_src 0
		.amdhsa_exception_fp_ieee_div_zero 0
		.amdhsa_exception_fp_ieee_overflow 0
		.amdhsa_exception_fp_ieee_underflow 0
		.amdhsa_exception_fp_ieee_inexact 0
		.amdhsa_exception_int_div_zero 0
	.end_amdhsa_kernel
	.section	.text._ZN7rocprim17ROCPRIM_400000_NS6detail17trampoline_kernelINS0_14default_configENS1_25transform_config_selectorIaLb0EEEZNS1_14transform_implILb0ES3_S5_NS0_18transform_iteratorINS0_17counting_iteratorImlEEZNS1_24adjacent_difference_implIS3_Lb1ELb0EPaSB_N6thrust23THRUST_200600_302600_NS4plusIaEEEE10hipError_tPvRmT2_T3_mT4_P12ihipStream_tbEUlmE_aEESB_NS0_8identityIvEEEESG_SJ_SK_mSL_SN_bEUlT_E_NS1_11comp_targetILNS1_3genE0ELNS1_11target_archE4294967295ELNS1_3gpuE0ELNS1_3repE0EEENS1_30default_config_static_selectorELNS0_4arch9wavefront6targetE1EEEvT1_,"axG",@progbits,_ZN7rocprim17ROCPRIM_400000_NS6detail17trampoline_kernelINS0_14default_configENS1_25transform_config_selectorIaLb0EEEZNS1_14transform_implILb0ES3_S5_NS0_18transform_iteratorINS0_17counting_iteratorImlEEZNS1_24adjacent_difference_implIS3_Lb1ELb0EPaSB_N6thrust23THRUST_200600_302600_NS4plusIaEEEE10hipError_tPvRmT2_T3_mT4_P12ihipStream_tbEUlmE_aEESB_NS0_8identityIvEEEESG_SJ_SK_mSL_SN_bEUlT_E_NS1_11comp_targetILNS1_3genE0ELNS1_11target_archE4294967295ELNS1_3gpuE0ELNS1_3repE0EEENS1_30default_config_static_selectorELNS0_4arch9wavefront6targetE1EEEvT1_,comdat
.Lfunc_end34:
	.size	_ZN7rocprim17ROCPRIM_400000_NS6detail17trampoline_kernelINS0_14default_configENS1_25transform_config_selectorIaLb0EEEZNS1_14transform_implILb0ES3_S5_NS0_18transform_iteratorINS0_17counting_iteratorImlEEZNS1_24adjacent_difference_implIS3_Lb1ELb0EPaSB_N6thrust23THRUST_200600_302600_NS4plusIaEEEE10hipError_tPvRmT2_T3_mT4_P12ihipStream_tbEUlmE_aEESB_NS0_8identityIvEEEESG_SJ_SK_mSL_SN_bEUlT_E_NS1_11comp_targetILNS1_3genE0ELNS1_11target_archE4294967295ELNS1_3gpuE0ELNS1_3repE0EEENS1_30default_config_static_selectorELNS0_4arch9wavefront6targetE1EEEvT1_, .Lfunc_end34-_ZN7rocprim17ROCPRIM_400000_NS6detail17trampoline_kernelINS0_14default_configENS1_25transform_config_selectorIaLb0EEEZNS1_14transform_implILb0ES3_S5_NS0_18transform_iteratorINS0_17counting_iteratorImlEEZNS1_24adjacent_difference_implIS3_Lb1ELb0EPaSB_N6thrust23THRUST_200600_302600_NS4plusIaEEEE10hipError_tPvRmT2_T3_mT4_P12ihipStream_tbEUlmE_aEESB_NS0_8identityIvEEEESG_SJ_SK_mSL_SN_bEUlT_E_NS1_11comp_targetILNS1_3genE0ELNS1_11target_archE4294967295ELNS1_3gpuE0ELNS1_3repE0EEENS1_30default_config_static_selectorELNS0_4arch9wavefront6targetE1EEEvT1_
                                        ; -- End function
	.section	.AMDGPU.csdata,"",@progbits
; Kernel info:
; codeLenInByte = 0
; NumSgprs: 6
; NumVgprs: 0
; NumAgprs: 0
; TotalNumVgprs: 0
; ScratchSize: 0
; MemoryBound: 0
; FloatMode: 240
; IeeeMode: 1
; LDSByteSize: 0 bytes/workgroup (compile time only)
; SGPRBlocks: 0
; VGPRBlocks: 0
; NumSGPRsForWavesPerEU: 6
; NumVGPRsForWavesPerEU: 1
; AccumOffset: 4
; Occupancy: 8
; WaveLimiterHint : 0
; COMPUTE_PGM_RSRC2:SCRATCH_EN: 0
; COMPUTE_PGM_RSRC2:USER_SGPR: 2
; COMPUTE_PGM_RSRC2:TRAP_HANDLER: 0
; COMPUTE_PGM_RSRC2:TGID_X_EN: 1
; COMPUTE_PGM_RSRC2:TGID_Y_EN: 0
; COMPUTE_PGM_RSRC2:TGID_Z_EN: 0
; COMPUTE_PGM_RSRC2:TIDIG_COMP_CNT: 0
; COMPUTE_PGM_RSRC3_GFX90A:ACCUM_OFFSET: 0
; COMPUTE_PGM_RSRC3_GFX90A:TG_SPLIT: 0
	.section	.text._ZN7rocprim17ROCPRIM_400000_NS6detail17trampoline_kernelINS0_14default_configENS1_25transform_config_selectorIaLb0EEEZNS1_14transform_implILb0ES3_S5_NS0_18transform_iteratorINS0_17counting_iteratorImlEEZNS1_24adjacent_difference_implIS3_Lb1ELb0EPaSB_N6thrust23THRUST_200600_302600_NS4plusIaEEEE10hipError_tPvRmT2_T3_mT4_P12ihipStream_tbEUlmE_aEESB_NS0_8identityIvEEEESG_SJ_SK_mSL_SN_bEUlT_E_NS1_11comp_targetILNS1_3genE5ELNS1_11target_archE942ELNS1_3gpuE9ELNS1_3repE0EEENS1_30default_config_static_selectorELNS0_4arch9wavefront6targetE1EEEvT1_,"axG",@progbits,_ZN7rocprim17ROCPRIM_400000_NS6detail17trampoline_kernelINS0_14default_configENS1_25transform_config_selectorIaLb0EEEZNS1_14transform_implILb0ES3_S5_NS0_18transform_iteratorINS0_17counting_iteratorImlEEZNS1_24adjacent_difference_implIS3_Lb1ELb0EPaSB_N6thrust23THRUST_200600_302600_NS4plusIaEEEE10hipError_tPvRmT2_T3_mT4_P12ihipStream_tbEUlmE_aEESB_NS0_8identityIvEEEESG_SJ_SK_mSL_SN_bEUlT_E_NS1_11comp_targetILNS1_3genE5ELNS1_11target_archE942ELNS1_3gpuE9ELNS1_3repE0EEENS1_30default_config_static_selectorELNS0_4arch9wavefront6targetE1EEEvT1_,comdat
	.protected	_ZN7rocprim17ROCPRIM_400000_NS6detail17trampoline_kernelINS0_14default_configENS1_25transform_config_selectorIaLb0EEEZNS1_14transform_implILb0ES3_S5_NS0_18transform_iteratorINS0_17counting_iteratorImlEEZNS1_24adjacent_difference_implIS3_Lb1ELb0EPaSB_N6thrust23THRUST_200600_302600_NS4plusIaEEEE10hipError_tPvRmT2_T3_mT4_P12ihipStream_tbEUlmE_aEESB_NS0_8identityIvEEEESG_SJ_SK_mSL_SN_bEUlT_E_NS1_11comp_targetILNS1_3genE5ELNS1_11target_archE942ELNS1_3gpuE9ELNS1_3repE0EEENS1_30default_config_static_selectorELNS0_4arch9wavefront6targetE1EEEvT1_ ; -- Begin function _ZN7rocprim17ROCPRIM_400000_NS6detail17trampoline_kernelINS0_14default_configENS1_25transform_config_selectorIaLb0EEEZNS1_14transform_implILb0ES3_S5_NS0_18transform_iteratorINS0_17counting_iteratorImlEEZNS1_24adjacent_difference_implIS3_Lb1ELb0EPaSB_N6thrust23THRUST_200600_302600_NS4plusIaEEEE10hipError_tPvRmT2_T3_mT4_P12ihipStream_tbEUlmE_aEESB_NS0_8identityIvEEEESG_SJ_SK_mSL_SN_bEUlT_E_NS1_11comp_targetILNS1_3genE5ELNS1_11target_archE942ELNS1_3gpuE9ELNS1_3repE0EEENS1_30default_config_static_selectorELNS0_4arch9wavefront6targetE1EEEvT1_
	.globl	_ZN7rocprim17ROCPRIM_400000_NS6detail17trampoline_kernelINS0_14default_configENS1_25transform_config_selectorIaLb0EEEZNS1_14transform_implILb0ES3_S5_NS0_18transform_iteratorINS0_17counting_iteratorImlEEZNS1_24adjacent_difference_implIS3_Lb1ELb0EPaSB_N6thrust23THRUST_200600_302600_NS4plusIaEEEE10hipError_tPvRmT2_T3_mT4_P12ihipStream_tbEUlmE_aEESB_NS0_8identityIvEEEESG_SJ_SK_mSL_SN_bEUlT_E_NS1_11comp_targetILNS1_3genE5ELNS1_11target_archE942ELNS1_3gpuE9ELNS1_3repE0EEENS1_30default_config_static_selectorELNS0_4arch9wavefront6targetE1EEEvT1_
	.p2align	8
	.type	_ZN7rocprim17ROCPRIM_400000_NS6detail17trampoline_kernelINS0_14default_configENS1_25transform_config_selectorIaLb0EEEZNS1_14transform_implILb0ES3_S5_NS0_18transform_iteratorINS0_17counting_iteratorImlEEZNS1_24adjacent_difference_implIS3_Lb1ELb0EPaSB_N6thrust23THRUST_200600_302600_NS4plusIaEEEE10hipError_tPvRmT2_T3_mT4_P12ihipStream_tbEUlmE_aEESB_NS0_8identityIvEEEESG_SJ_SK_mSL_SN_bEUlT_E_NS1_11comp_targetILNS1_3genE5ELNS1_11target_archE942ELNS1_3gpuE9ELNS1_3repE0EEENS1_30default_config_static_selectorELNS0_4arch9wavefront6targetE1EEEvT1_,@function
_ZN7rocprim17ROCPRIM_400000_NS6detail17trampoline_kernelINS0_14default_configENS1_25transform_config_selectorIaLb0EEEZNS1_14transform_implILb0ES3_S5_NS0_18transform_iteratorINS0_17counting_iteratorImlEEZNS1_24adjacent_difference_implIS3_Lb1ELb0EPaSB_N6thrust23THRUST_200600_302600_NS4plusIaEEEE10hipError_tPvRmT2_T3_mT4_P12ihipStream_tbEUlmE_aEESB_NS0_8identityIvEEEESG_SJ_SK_mSL_SN_bEUlT_E_NS1_11comp_targetILNS1_3genE5ELNS1_11target_archE942ELNS1_3gpuE9ELNS1_3repE0EEENS1_30default_config_static_selectorELNS0_4arch9wavefront6targetE1EEEvT1_: ; @_ZN7rocprim17ROCPRIM_400000_NS6detail17trampoline_kernelINS0_14default_configENS1_25transform_config_selectorIaLb0EEEZNS1_14transform_implILb0ES3_S5_NS0_18transform_iteratorINS0_17counting_iteratorImlEEZNS1_24adjacent_difference_implIS3_Lb1ELb0EPaSB_N6thrust23THRUST_200600_302600_NS4plusIaEEEE10hipError_tPvRmT2_T3_mT4_P12ihipStream_tbEUlmE_aEESB_NS0_8identityIvEEEESG_SJ_SK_mSL_SN_bEUlT_E_NS1_11comp_targetILNS1_3genE5ELNS1_11target_archE942ELNS1_3gpuE9ELNS1_3repE0EEENS1_30default_config_static_selectorELNS0_4arch9wavefront6targetE1EEEvT1_
; %bb.0:
	s_load_dwordx4 s[4:7], s[0:1], 0x18
	s_load_dwordx2 s[8:9], s[0:1], 0x28
	s_load_dword s3, s[0:1], 0x38
	s_load_dwordx4 s[12:15], s[0:1], 0x0
	s_load_dword s18, s[0:1], 0x10
	s_mov_b32 s19, 0
	s_waitcnt lgkmcnt(0)
	s_add_u32 s24, s8, s4
	s_addc_u32 s25, s9, s5
	s_lshl_b32 s26, s2, 13
	s_add_i32 s3, s3, -1
	s_add_u32 s0, s12, s26
	s_addc_u32 s1, s13, 0
	s_add_u32 s20, s0, s4
	s_addc_u32 s21, s1, s5
	s_cmp_lg_u32 s2, s3
	s_cbranch_scc0 .LBB35_2
; %bb.1:
	v_mov_b32_e32 v1, 0
	v_lshl_add_u64 v[2:3], s[20:21], 0, v[0:1]
	v_mov_b64_e32 v[4:5], s[14:15]
	v_mad_u64_u32 v[4:5], s[0:1], v2, s18, v[4:5]
	v_mov_b32_e32 v2, v5
	v_mad_u64_u32 v[2:3], s[0:1], v3, s18, v[2:3]
	v_mov_b32_e32 v5, v2
	s_lshl_b64 s[0:1], s[18:19], 10
	v_lshl_add_u64 v[2:3], v[4:5], 0, s[0:1]
	global_load_ubyte v10, v[4:5], off
	v_lshl_add_u64 v[4:5], v[2:3], 0, s[0:1]
	v_lshl_add_u64 v[6:7], v[4:5], 0, s[0:1]
	;; [unrolled: 1-line block ×3, first 2 shown]
	global_load_ubyte v11, v[2:3], off
	global_load_ubyte v12, v[4:5], off
	;; [unrolled: 1-line block ×4, first 2 shown]
	v_lshl_add_u64 v[2:3], v[8:9], 0, s[0:1]
	global_load_ubyte v4, v[2:3], off
	v_lshl_add_u64 v[2:3], v[2:3], 0, s[0:1]
	global_load_ubyte v8, v[2:3], off
	v_lshl_add_u64 v[2:3], v[2:3], 0, s[0:1]
	global_load_ubyte v5, v[2:3], off
	s_add_u32 s2, s24, s26
	s_addc_u32 s3, s25, 0
	v_lshl_add_u64 v[2:3], s[2:3], 0, v[0:1]
	v_add_co_u32_e32 v6, vcc, 0x1000, v2
	s_nop 1
	v_addc_co_u32_e32 v7, vcc, 0, v3, vcc
	s_mov_b64 s[16:17], -1
	s_waitcnt vmcnt(7)
	global_store_byte v0, v10, s[2:3]
	s_waitcnt vmcnt(7)
	global_store_byte v0, v11, s[2:3] offset:1024
	s_waitcnt vmcnt(7)
	global_store_byte v0, v12, s[2:3] offset:2048
	;; [unrolled: 2-line block ×3, first 2 shown]
	s_waitcnt vmcnt(7)
	global_store_byte v[6:7], v14, off
	s_waitcnt vmcnt(7)
	global_store_byte v[6:7], v4, off offset:1024
	s_waitcnt vmcnt(7)
	global_store_byte v[6:7], v8, off offset:2048
	s_cbranch_execz .LBB35_3
	s_branch .LBB35_36
.LBB35_2:
	s_mov_b64 s[16:17], 0
                                        ; implicit-def: $vgpr5
                                        ; implicit-def: $vgpr2_vgpr3
.LBB35_3:
	s_sub_i32 s19, s6, s26
	v_cmp_gt_u32_e32 vcc, s19, v0
                                        ; implicit-def: $vgpr1
	s_and_saveexec_b64 s[0:1], vcc
	s_cbranch_execz .LBB35_5
; %bb.4:
	v_mov_b32_e32 v1, 0
	v_lshl_add_u64 v[2:3], s[20:21], 0, v[0:1]
	s_waitcnt vmcnt(7)
	v_mov_b64_e32 v[4:5], s[14:15]
	v_mad_u64_u32 v[4:5], s[2:3], v2, s18, v[4:5]
	v_mov_b32_e32 v2, v5
	v_mad_u64_u32 v[2:3], s[2:3], v3, s18, v[2:3]
	v_mov_b32_e32 v5, v2
	global_load_ubyte v1, v[4:5], off
.LBB35_5:
	s_or_b64 exec, exec, s[0:1]
	v_or_b32_e32 v2, 0x400, v0
	v_cmp_gt_u32_e64 s[0:1], s19, v2
                                        ; implicit-def: $vgpr4
	s_and_saveexec_b64 s[2:3], s[0:1]
	s_cbranch_execz .LBB35_7
; %bb.6:
	v_mov_b32_e32 v3, 0
	v_lshl_add_u64 v[2:3], s[20:21], 0, v[2:3]
	s_waitcnt vmcnt(7)
	v_mov_b64_e32 v[4:5], s[14:15]
	v_mad_u64_u32 v[4:5], s[4:5], v2, s18, v[4:5]
	v_mov_b32_e32 v2, v5
	v_mad_u64_u32 v[2:3], s[4:5], v3, s18, v[2:3]
	v_mov_b32_e32 v5, v2
	global_load_ubyte v4, v[4:5], off
.LBB35_7:
	s_or_b64 exec, exec, s[2:3]
	v_or_b32_e32 v2, 0x800, v0
	v_cmp_gt_u32_e64 s[2:3], s19, v2
                                        ; implicit-def: $vgpr5
	s_and_saveexec_b64 s[4:5], s[2:3]
	s_cbranch_execz .LBB35_9
; %bb.8:
	v_mov_b32_e32 v3, 0
	v_lshl_add_u64 v[2:3], s[20:21], 0, v[2:3]
	v_mov_b64_e32 v[6:7], s[14:15]
	v_mad_u64_u32 v[6:7], s[6:7], v2, s18, v[6:7]
	v_mov_b32_e32 v2, v7
	v_mad_u64_u32 v[2:3], s[6:7], v3, s18, v[2:3]
	v_mov_b32_e32 v7, v2
	global_load_ubyte v5, v[6:7], off
.LBB35_9:
	s_or_b64 exec, exec, s[4:5]
	v_or_b32_e32 v2, 0xc00, v0
	v_cmp_gt_u32_e64 s[4:5], s19, v2
                                        ; implicit-def: $vgpr6
	s_and_saveexec_b64 s[6:7], s[4:5]
	s_cbranch_execz .LBB35_11
; %bb.10:
	v_mov_b32_e32 v3, 0
	v_lshl_add_u64 v[2:3], s[20:21], 0, v[2:3]
	v_mov_b64_e32 v[6:7], s[14:15]
	v_mad_u64_u32 v[6:7], s[8:9], v2, s18, v[6:7]
	v_mov_b32_e32 v2, v7
	v_mad_u64_u32 v[2:3], s[8:9], v3, s18, v[2:3]
	v_mov_b32_e32 v7, v2
	global_load_ubyte v6, v[6:7], off
.LBB35_11:
	s_or_b64 exec, exec, s[6:7]
	v_or_b32_e32 v2, 0x1000, v0
	v_cmp_gt_u32_e64 s[6:7], s19, v2
                                        ; implicit-def: $vgpr7
	s_and_saveexec_b64 s[8:9], s[6:7]
	s_cbranch_execz .LBB35_13
; %bb.12:
	v_mov_b32_e32 v3, 0
	v_lshl_add_u64 v[2:3], s[20:21], 0, v[2:3]
	v_mov_b64_e32 v[8:9], s[14:15]
	v_mad_u64_u32 v[8:9], s[10:11], v2, s18, v[8:9]
	v_mov_b32_e32 v2, v9
	v_mad_u64_u32 v[2:3], s[10:11], v3, s18, v[2:3]
	v_mov_b32_e32 v9, v2
	global_load_ubyte v7, v[8:9], off
.LBB35_13:
	s_or_b64 exec, exec, s[8:9]
	v_or_b32_e32 v2, 0x1400, v0
	v_cmp_gt_u32_e64 s[8:9], s19, v2
                                        ; implicit-def: $vgpr8
	s_and_saveexec_b64 s[10:11], s[8:9]
	s_cbranch_execz .LBB35_15
; %bb.14:
	v_mov_b32_e32 v3, 0
	v_lshl_add_u64 v[2:3], s[20:21], 0, v[2:3]
	v_mov_b64_e32 v[8:9], s[14:15]
	v_mad_u64_u32 v[8:9], s[12:13], v2, s18, v[8:9]
	v_mov_b32_e32 v2, v9
	v_mad_u64_u32 v[2:3], s[12:13], v3, s18, v[2:3]
	v_mov_b32_e32 v9, v2
	global_load_ubyte v8, v[8:9], off
.LBB35_15:
	s_or_b64 exec, exec, s[10:11]
	v_or_b32_e32 v2, 0x1800, v0
	v_cmp_gt_u32_e64 s[10:11], s19, v2
                                        ; implicit-def: $vgpr9
	s_and_saveexec_b64 s[12:13], s[10:11]
	s_cbranch_execz .LBB35_17
; %bb.16:
	v_mov_b32_e32 v3, 0
	v_lshl_add_u64 v[2:3], s[20:21], 0, v[2:3]
	v_mov_b64_e32 v[10:11], s[14:15]
	v_mad_u64_u32 v[10:11], s[22:23], v2, s18, v[10:11]
	v_mov_b32_e32 v2, v11
	v_mad_u64_u32 v[2:3], s[22:23], v3, s18, v[2:3]
	v_mov_b32_e32 v11, v2
	global_load_ubyte v9, v[10:11], off
.LBB35_17:
	s_or_b64 exec, exec, s[12:13]
	v_or_b32_e32 v2, 0x1c00, v0
	v_cmp_gt_u32_e64 s[12:13], s19, v2
                                        ; implicit-def: $vgpr3
	s_and_saveexec_b64 s[22:23], s[12:13]
	s_cbranch_execz .LBB35_19
; %bb.18:
	v_mov_b32_e32 v3, 0
	v_lshl_add_u64 v[2:3], s[20:21], 0, v[2:3]
	v_mov_b64_e32 v[10:11], s[14:15]
	v_mad_u64_u32 v[10:11], s[14:15], v2, s18, v[10:11]
	v_mov_b32_e32 v2, v11
	v_mad_u64_u32 v[2:3], s[14:15], v3, s18, v[2:3]
	v_mov_b32_e32 v11, v2
	global_load_ubyte v3, v[10:11], off
.LBB35_19:
	s_or_b64 exec, exec, s[22:23]
	s_waitcnt vmcnt(0)
	v_lshlrev_b16_e32 v2, 8, v4
	v_or_b32_sdwa v1, v1, v2 dst_sel:DWORD dst_unused:UNUSED_PAD src0_sel:BYTE_0 src1_sel:DWORD
	v_lshlrev_b16_e32 v2, 8, v6
	v_or_b32_sdwa v2, v5, v2 dst_sel:WORD_1 dst_unused:UNUSED_PAD src0_sel:BYTE_0 src1_sel:DWORD
	s_add_u32 s14, s24, s26
	v_or_b32_sdwa v5, v1, v2 dst_sel:DWORD dst_unused:UNUSED_PAD src0_sel:WORD_0 src1_sel:DWORD
	v_lshlrev_b16_e32 v1, 8, v8
	v_lshlrev_b16_e32 v2, 8, v3
	v_or_b32_sdwa v1, v7, v1 dst_sel:DWORD dst_unused:UNUSED_PAD src0_sel:BYTE_0 src1_sel:DWORD
	v_or_b32_sdwa v2, v9, v2 dst_sel:WORD_1 dst_unused:UNUSED_PAD src0_sel:BYTE_0 src1_sel:DWORD
	s_addc_u32 s15, s25, 0
	v_or_b32_sdwa v4, v1, v2 dst_sel:DWORD dst_unused:UNUSED_PAD src0_sel:WORD_0 src1_sel:DWORD
	v_mov_b32_e32 v1, 0
	v_lshl_add_u64 v[2:3], s[14:15], 0, v[0:1]
	s_and_saveexec_b64 s[14:15], vcc
	s_cbranch_execz .LBB35_21
; %bb.20:
	global_store_byte v[2:3], v5, off
.LBB35_21:
	s_or_b64 exec, exec, s[14:15]
	s_and_saveexec_b64 s[14:15], s[0:1]
	s_cbranch_execz .LBB35_23
; %bb.22:
	v_lshrrev_b32_e32 v0, 8, v5
	global_store_byte v[2:3], v0, off offset:1024
.LBB35_23:
	s_or_b64 exec, exec, s[14:15]
	s_mov_b32 s0, 0x7060104
	v_perm_b32 v0, v5, v5, s0
	s_movk_i32 s15, 0xff
	s_mov_b32 s14, 0xffff
	v_cndmask_b32_e64 v1, v0, v5, s[2:3]
	s_and_saveexec_b64 s[0:1], s[2:3]
	s_cbranch_execz .LBB35_25
; %bb.24:
	global_store_byte_d16_hi v[2:3], v1, off offset:2048
.LBB35_25:
	s_or_b64 exec, exec, s[0:1]
	s_movk_i32 s0, 0xff00
	v_and_b32_sdwa v6, v0, s0 dst_sel:DWORD dst_unused:UNUSED_PAD src0_sel:WORD_1 src1_sel:DWORD
	v_and_b32_sdwa v1, v1, s15 dst_sel:DWORD dst_unused:UNUSED_PAD src0_sel:WORD_1 src1_sel:DWORD
	v_or_b32_sdwa v1, v1, v6 dst_sel:WORD_1 dst_unused:UNUSED_PAD src0_sel:DWORD src1_sel:DWORD
	s_nop 0
	v_and_or_b32 v0, v0, s14, v1
	v_cndmask_b32_e64 v0, v0, v5, s[4:5]
	s_and_saveexec_b64 s[0:1], s[4:5]
	s_cbranch_execz .LBB35_27
; %bb.26:
	v_lshrrev_b32_e32 v0, 24, v0
	global_store_byte v[2:3], v0, off offset:3072
.LBB35_27:
	s_or_b64 exec, exec, s[0:1]
	s_and_saveexec_b64 s[0:1], s[6:7]
	s_cbranch_execz .LBB35_29
; %bb.28:
	v_add_co_u32_e32 v0, vcc, 0x1000, v2
	s_nop 1
	v_addc_co_u32_e32 v1, vcc, 0, v3, vcc
	global_store_byte v[0:1], v4, off
.LBB35_29:
	s_or_b64 exec, exec, s[0:1]
	s_mov_b32 s0, 0x3020104
	v_perm_b32 v1, v4, v4, s0
	v_cndmask_b32_e64 v0, v1, v4, s[8:9]
	s_and_saveexec_b64 s[0:1], s[8:9]
	s_cbranch_execz .LBB35_31
; %bb.30:
	v_add_co_u32_e32 v6, vcc, 0x1000, v2
	v_lshrrev_b32_e32 v5, 8, v0
	s_nop 0
	v_addc_co_u32_e32 v7, vcc, 0, v3, vcc
	global_store_byte v[6:7], v5, off offset:1024
.LBB35_31:
	s_or_b64 exec, exec, s[0:1]
	s_mov_b32 s0, 0x7060104
	v_perm_b32 v0, v1, v0, s0
	s_and_saveexec_b64 s[0:1], s[10:11]
	s_cbranch_execz .LBB35_33
; %bb.32:
	v_add_co_u32_e32 v6, vcc, 0x1000, v2
	v_cndmask_b32_e64 v1, v0, v4, s[10:11]
	s_nop 0
	v_addc_co_u32_e32 v7, vcc, 0, v3, vcc
	global_store_byte_d16_hi v[6:7], v1, off offset:2048
.LBB35_33:
	s_or_b64 exec, exec, s[0:1]
                                        ; implicit-def: $vgpr5
	s_and_saveexec_b64 s[0:1], s[12:13]
; %bb.34:
	v_cndmask_b32_e64 v0, v0, v4, s[12:13]
	v_lshrrev_b32_e32 v5, 24, v0
	s_or_b64 s[16:17], s[16:17], exec
; %bb.35:
	s_or_b64 exec, exec, s[0:1]
.LBB35_36:
	s_and_saveexec_b64 s[0:1], s[16:17]
	s_cbranch_execnz .LBB35_38
; %bb.37:
	s_endpgm
.LBB35_38:
	v_add_co_u32_e32 v0, vcc, 0x1000, v2
	s_nop 1
	v_addc_co_u32_e32 v1, vcc, 0, v3, vcc
	s_waitcnt vmcnt(7)
	global_store_byte v[0:1], v5, off offset:3072
	s_endpgm
	.section	.rodata,"a",@progbits
	.p2align	6, 0x0
	.amdhsa_kernel _ZN7rocprim17ROCPRIM_400000_NS6detail17trampoline_kernelINS0_14default_configENS1_25transform_config_selectorIaLb0EEEZNS1_14transform_implILb0ES3_S5_NS0_18transform_iteratorINS0_17counting_iteratorImlEEZNS1_24adjacent_difference_implIS3_Lb1ELb0EPaSB_N6thrust23THRUST_200600_302600_NS4plusIaEEEE10hipError_tPvRmT2_T3_mT4_P12ihipStream_tbEUlmE_aEESB_NS0_8identityIvEEEESG_SJ_SK_mSL_SN_bEUlT_E_NS1_11comp_targetILNS1_3genE5ELNS1_11target_archE942ELNS1_3gpuE9ELNS1_3repE0EEENS1_30default_config_static_selectorELNS0_4arch9wavefront6targetE1EEEvT1_
		.amdhsa_group_segment_fixed_size 0
		.amdhsa_private_segment_fixed_size 0
		.amdhsa_kernarg_size 312
		.amdhsa_user_sgpr_count 2
		.amdhsa_user_sgpr_dispatch_ptr 0
		.amdhsa_user_sgpr_queue_ptr 0
		.amdhsa_user_sgpr_kernarg_segment_ptr 1
		.amdhsa_user_sgpr_dispatch_id 0
		.amdhsa_user_sgpr_kernarg_preload_length 0
		.amdhsa_user_sgpr_kernarg_preload_offset 0
		.amdhsa_user_sgpr_private_segment_size 0
		.amdhsa_uses_dynamic_stack 0
		.amdhsa_enable_private_segment 0
		.amdhsa_system_sgpr_workgroup_id_x 1
		.amdhsa_system_sgpr_workgroup_id_y 0
		.amdhsa_system_sgpr_workgroup_id_z 0
		.amdhsa_system_sgpr_workgroup_info 0
		.amdhsa_system_vgpr_workitem_id 0
		.amdhsa_next_free_vgpr 15
		.amdhsa_next_free_sgpr 27
		.amdhsa_accum_offset 16
		.amdhsa_reserve_vcc 1
		.amdhsa_float_round_mode_32 0
		.amdhsa_float_round_mode_16_64 0
		.amdhsa_float_denorm_mode_32 3
		.amdhsa_float_denorm_mode_16_64 3
		.amdhsa_dx10_clamp 1
		.amdhsa_ieee_mode 1
		.amdhsa_fp16_overflow 0
		.amdhsa_tg_split 0
		.amdhsa_exception_fp_ieee_invalid_op 0
		.amdhsa_exception_fp_denorm_src 0
		.amdhsa_exception_fp_ieee_div_zero 0
		.amdhsa_exception_fp_ieee_overflow 0
		.amdhsa_exception_fp_ieee_underflow 0
		.amdhsa_exception_fp_ieee_inexact 0
		.amdhsa_exception_int_div_zero 0
	.end_amdhsa_kernel
	.section	.text._ZN7rocprim17ROCPRIM_400000_NS6detail17trampoline_kernelINS0_14default_configENS1_25transform_config_selectorIaLb0EEEZNS1_14transform_implILb0ES3_S5_NS0_18transform_iteratorINS0_17counting_iteratorImlEEZNS1_24adjacent_difference_implIS3_Lb1ELb0EPaSB_N6thrust23THRUST_200600_302600_NS4plusIaEEEE10hipError_tPvRmT2_T3_mT4_P12ihipStream_tbEUlmE_aEESB_NS0_8identityIvEEEESG_SJ_SK_mSL_SN_bEUlT_E_NS1_11comp_targetILNS1_3genE5ELNS1_11target_archE942ELNS1_3gpuE9ELNS1_3repE0EEENS1_30default_config_static_selectorELNS0_4arch9wavefront6targetE1EEEvT1_,"axG",@progbits,_ZN7rocprim17ROCPRIM_400000_NS6detail17trampoline_kernelINS0_14default_configENS1_25transform_config_selectorIaLb0EEEZNS1_14transform_implILb0ES3_S5_NS0_18transform_iteratorINS0_17counting_iteratorImlEEZNS1_24adjacent_difference_implIS3_Lb1ELb0EPaSB_N6thrust23THRUST_200600_302600_NS4plusIaEEEE10hipError_tPvRmT2_T3_mT4_P12ihipStream_tbEUlmE_aEESB_NS0_8identityIvEEEESG_SJ_SK_mSL_SN_bEUlT_E_NS1_11comp_targetILNS1_3genE5ELNS1_11target_archE942ELNS1_3gpuE9ELNS1_3repE0EEENS1_30default_config_static_selectorELNS0_4arch9wavefront6targetE1EEEvT1_,comdat
.Lfunc_end35:
	.size	_ZN7rocprim17ROCPRIM_400000_NS6detail17trampoline_kernelINS0_14default_configENS1_25transform_config_selectorIaLb0EEEZNS1_14transform_implILb0ES3_S5_NS0_18transform_iteratorINS0_17counting_iteratorImlEEZNS1_24adjacent_difference_implIS3_Lb1ELb0EPaSB_N6thrust23THRUST_200600_302600_NS4plusIaEEEE10hipError_tPvRmT2_T3_mT4_P12ihipStream_tbEUlmE_aEESB_NS0_8identityIvEEEESG_SJ_SK_mSL_SN_bEUlT_E_NS1_11comp_targetILNS1_3genE5ELNS1_11target_archE942ELNS1_3gpuE9ELNS1_3repE0EEENS1_30default_config_static_selectorELNS0_4arch9wavefront6targetE1EEEvT1_, .Lfunc_end35-_ZN7rocprim17ROCPRIM_400000_NS6detail17trampoline_kernelINS0_14default_configENS1_25transform_config_selectorIaLb0EEEZNS1_14transform_implILb0ES3_S5_NS0_18transform_iteratorINS0_17counting_iteratorImlEEZNS1_24adjacent_difference_implIS3_Lb1ELb0EPaSB_N6thrust23THRUST_200600_302600_NS4plusIaEEEE10hipError_tPvRmT2_T3_mT4_P12ihipStream_tbEUlmE_aEESB_NS0_8identityIvEEEESG_SJ_SK_mSL_SN_bEUlT_E_NS1_11comp_targetILNS1_3genE5ELNS1_11target_archE942ELNS1_3gpuE9ELNS1_3repE0EEENS1_30default_config_static_selectorELNS0_4arch9wavefront6targetE1EEEvT1_
                                        ; -- End function
	.section	.AMDGPU.csdata,"",@progbits
; Kernel info:
; codeLenInByte = 1480
; NumSgprs: 33
; NumVgprs: 15
; NumAgprs: 0
; TotalNumVgprs: 15
; ScratchSize: 0
; MemoryBound: 0
; FloatMode: 240
; IeeeMode: 1
; LDSByteSize: 0 bytes/workgroup (compile time only)
; SGPRBlocks: 4
; VGPRBlocks: 1
; NumSGPRsForWavesPerEU: 33
; NumVGPRsForWavesPerEU: 15
; AccumOffset: 16
; Occupancy: 8
; WaveLimiterHint : 1
; COMPUTE_PGM_RSRC2:SCRATCH_EN: 0
; COMPUTE_PGM_RSRC2:USER_SGPR: 2
; COMPUTE_PGM_RSRC2:TRAP_HANDLER: 0
; COMPUTE_PGM_RSRC2:TGID_X_EN: 1
; COMPUTE_PGM_RSRC2:TGID_Y_EN: 0
; COMPUTE_PGM_RSRC2:TGID_Z_EN: 0
; COMPUTE_PGM_RSRC2:TIDIG_COMP_CNT: 0
; COMPUTE_PGM_RSRC3_GFX90A:ACCUM_OFFSET: 3
; COMPUTE_PGM_RSRC3_GFX90A:TG_SPLIT: 0
	.section	.text._ZN7rocprim17ROCPRIM_400000_NS6detail17trampoline_kernelINS0_14default_configENS1_25transform_config_selectorIaLb0EEEZNS1_14transform_implILb0ES3_S5_NS0_18transform_iteratorINS0_17counting_iteratorImlEEZNS1_24adjacent_difference_implIS3_Lb1ELb0EPaSB_N6thrust23THRUST_200600_302600_NS4plusIaEEEE10hipError_tPvRmT2_T3_mT4_P12ihipStream_tbEUlmE_aEESB_NS0_8identityIvEEEESG_SJ_SK_mSL_SN_bEUlT_E_NS1_11comp_targetILNS1_3genE4ELNS1_11target_archE910ELNS1_3gpuE8ELNS1_3repE0EEENS1_30default_config_static_selectorELNS0_4arch9wavefront6targetE1EEEvT1_,"axG",@progbits,_ZN7rocprim17ROCPRIM_400000_NS6detail17trampoline_kernelINS0_14default_configENS1_25transform_config_selectorIaLb0EEEZNS1_14transform_implILb0ES3_S5_NS0_18transform_iteratorINS0_17counting_iteratorImlEEZNS1_24adjacent_difference_implIS3_Lb1ELb0EPaSB_N6thrust23THRUST_200600_302600_NS4plusIaEEEE10hipError_tPvRmT2_T3_mT4_P12ihipStream_tbEUlmE_aEESB_NS0_8identityIvEEEESG_SJ_SK_mSL_SN_bEUlT_E_NS1_11comp_targetILNS1_3genE4ELNS1_11target_archE910ELNS1_3gpuE8ELNS1_3repE0EEENS1_30default_config_static_selectorELNS0_4arch9wavefront6targetE1EEEvT1_,comdat
	.protected	_ZN7rocprim17ROCPRIM_400000_NS6detail17trampoline_kernelINS0_14default_configENS1_25transform_config_selectorIaLb0EEEZNS1_14transform_implILb0ES3_S5_NS0_18transform_iteratorINS0_17counting_iteratorImlEEZNS1_24adjacent_difference_implIS3_Lb1ELb0EPaSB_N6thrust23THRUST_200600_302600_NS4plusIaEEEE10hipError_tPvRmT2_T3_mT4_P12ihipStream_tbEUlmE_aEESB_NS0_8identityIvEEEESG_SJ_SK_mSL_SN_bEUlT_E_NS1_11comp_targetILNS1_3genE4ELNS1_11target_archE910ELNS1_3gpuE8ELNS1_3repE0EEENS1_30default_config_static_selectorELNS0_4arch9wavefront6targetE1EEEvT1_ ; -- Begin function _ZN7rocprim17ROCPRIM_400000_NS6detail17trampoline_kernelINS0_14default_configENS1_25transform_config_selectorIaLb0EEEZNS1_14transform_implILb0ES3_S5_NS0_18transform_iteratorINS0_17counting_iteratorImlEEZNS1_24adjacent_difference_implIS3_Lb1ELb0EPaSB_N6thrust23THRUST_200600_302600_NS4plusIaEEEE10hipError_tPvRmT2_T3_mT4_P12ihipStream_tbEUlmE_aEESB_NS0_8identityIvEEEESG_SJ_SK_mSL_SN_bEUlT_E_NS1_11comp_targetILNS1_3genE4ELNS1_11target_archE910ELNS1_3gpuE8ELNS1_3repE0EEENS1_30default_config_static_selectorELNS0_4arch9wavefront6targetE1EEEvT1_
	.globl	_ZN7rocprim17ROCPRIM_400000_NS6detail17trampoline_kernelINS0_14default_configENS1_25transform_config_selectorIaLb0EEEZNS1_14transform_implILb0ES3_S5_NS0_18transform_iteratorINS0_17counting_iteratorImlEEZNS1_24adjacent_difference_implIS3_Lb1ELb0EPaSB_N6thrust23THRUST_200600_302600_NS4plusIaEEEE10hipError_tPvRmT2_T3_mT4_P12ihipStream_tbEUlmE_aEESB_NS0_8identityIvEEEESG_SJ_SK_mSL_SN_bEUlT_E_NS1_11comp_targetILNS1_3genE4ELNS1_11target_archE910ELNS1_3gpuE8ELNS1_3repE0EEENS1_30default_config_static_selectorELNS0_4arch9wavefront6targetE1EEEvT1_
	.p2align	8
	.type	_ZN7rocprim17ROCPRIM_400000_NS6detail17trampoline_kernelINS0_14default_configENS1_25transform_config_selectorIaLb0EEEZNS1_14transform_implILb0ES3_S5_NS0_18transform_iteratorINS0_17counting_iteratorImlEEZNS1_24adjacent_difference_implIS3_Lb1ELb0EPaSB_N6thrust23THRUST_200600_302600_NS4plusIaEEEE10hipError_tPvRmT2_T3_mT4_P12ihipStream_tbEUlmE_aEESB_NS0_8identityIvEEEESG_SJ_SK_mSL_SN_bEUlT_E_NS1_11comp_targetILNS1_3genE4ELNS1_11target_archE910ELNS1_3gpuE8ELNS1_3repE0EEENS1_30default_config_static_selectorELNS0_4arch9wavefront6targetE1EEEvT1_,@function
_ZN7rocprim17ROCPRIM_400000_NS6detail17trampoline_kernelINS0_14default_configENS1_25transform_config_selectorIaLb0EEEZNS1_14transform_implILb0ES3_S5_NS0_18transform_iteratorINS0_17counting_iteratorImlEEZNS1_24adjacent_difference_implIS3_Lb1ELb0EPaSB_N6thrust23THRUST_200600_302600_NS4plusIaEEEE10hipError_tPvRmT2_T3_mT4_P12ihipStream_tbEUlmE_aEESB_NS0_8identityIvEEEESG_SJ_SK_mSL_SN_bEUlT_E_NS1_11comp_targetILNS1_3genE4ELNS1_11target_archE910ELNS1_3gpuE8ELNS1_3repE0EEENS1_30default_config_static_selectorELNS0_4arch9wavefront6targetE1EEEvT1_: ; @_ZN7rocprim17ROCPRIM_400000_NS6detail17trampoline_kernelINS0_14default_configENS1_25transform_config_selectorIaLb0EEEZNS1_14transform_implILb0ES3_S5_NS0_18transform_iteratorINS0_17counting_iteratorImlEEZNS1_24adjacent_difference_implIS3_Lb1ELb0EPaSB_N6thrust23THRUST_200600_302600_NS4plusIaEEEE10hipError_tPvRmT2_T3_mT4_P12ihipStream_tbEUlmE_aEESB_NS0_8identityIvEEEESG_SJ_SK_mSL_SN_bEUlT_E_NS1_11comp_targetILNS1_3genE4ELNS1_11target_archE910ELNS1_3gpuE8ELNS1_3repE0EEENS1_30default_config_static_selectorELNS0_4arch9wavefront6targetE1EEEvT1_
; %bb.0:
	.section	.rodata,"a",@progbits
	.p2align	6, 0x0
	.amdhsa_kernel _ZN7rocprim17ROCPRIM_400000_NS6detail17trampoline_kernelINS0_14default_configENS1_25transform_config_selectorIaLb0EEEZNS1_14transform_implILb0ES3_S5_NS0_18transform_iteratorINS0_17counting_iteratorImlEEZNS1_24adjacent_difference_implIS3_Lb1ELb0EPaSB_N6thrust23THRUST_200600_302600_NS4plusIaEEEE10hipError_tPvRmT2_T3_mT4_P12ihipStream_tbEUlmE_aEESB_NS0_8identityIvEEEESG_SJ_SK_mSL_SN_bEUlT_E_NS1_11comp_targetILNS1_3genE4ELNS1_11target_archE910ELNS1_3gpuE8ELNS1_3repE0EEENS1_30default_config_static_selectorELNS0_4arch9wavefront6targetE1EEEvT1_
		.amdhsa_group_segment_fixed_size 0
		.amdhsa_private_segment_fixed_size 0
		.amdhsa_kernarg_size 56
		.amdhsa_user_sgpr_count 2
		.amdhsa_user_sgpr_dispatch_ptr 0
		.amdhsa_user_sgpr_queue_ptr 0
		.amdhsa_user_sgpr_kernarg_segment_ptr 1
		.amdhsa_user_sgpr_dispatch_id 0
		.amdhsa_user_sgpr_kernarg_preload_length 0
		.amdhsa_user_sgpr_kernarg_preload_offset 0
		.amdhsa_user_sgpr_private_segment_size 0
		.amdhsa_uses_dynamic_stack 0
		.amdhsa_enable_private_segment 0
		.amdhsa_system_sgpr_workgroup_id_x 1
		.amdhsa_system_sgpr_workgroup_id_y 0
		.amdhsa_system_sgpr_workgroup_id_z 0
		.amdhsa_system_sgpr_workgroup_info 0
		.amdhsa_system_vgpr_workitem_id 0
		.amdhsa_next_free_vgpr 1
		.amdhsa_next_free_sgpr 0
		.amdhsa_accum_offset 4
		.amdhsa_reserve_vcc 0
		.amdhsa_float_round_mode_32 0
		.amdhsa_float_round_mode_16_64 0
		.amdhsa_float_denorm_mode_32 3
		.amdhsa_float_denorm_mode_16_64 3
		.amdhsa_dx10_clamp 1
		.amdhsa_ieee_mode 1
		.amdhsa_fp16_overflow 0
		.amdhsa_tg_split 0
		.amdhsa_exception_fp_ieee_invalid_op 0
		.amdhsa_exception_fp_denorm_src 0
		.amdhsa_exception_fp_ieee_div_zero 0
		.amdhsa_exception_fp_ieee_overflow 0
		.amdhsa_exception_fp_ieee_underflow 0
		.amdhsa_exception_fp_ieee_inexact 0
		.amdhsa_exception_int_div_zero 0
	.end_amdhsa_kernel
	.section	.text._ZN7rocprim17ROCPRIM_400000_NS6detail17trampoline_kernelINS0_14default_configENS1_25transform_config_selectorIaLb0EEEZNS1_14transform_implILb0ES3_S5_NS0_18transform_iteratorINS0_17counting_iteratorImlEEZNS1_24adjacent_difference_implIS3_Lb1ELb0EPaSB_N6thrust23THRUST_200600_302600_NS4plusIaEEEE10hipError_tPvRmT2_T3_mT4_P12ihipStream_tbEUlmE_aEESB_NS0_8identityIvEEEESG_SJ_SK_mSL_SN_bEUlT_E_NS1_11comp_targetILNS1_3genE4ELNS1_11target_archE910ELNS1_3gpuE8ELNS1_3repE0EEENS1_30default_config_static_selectorELNS0_4arch9wavefront6targetE1EEEvT1_,"axG",@progbits,_ZN7rocprim17ROCPRIM_400000_NS6detail17trampoline_kernelINS0_14default_configENS1_25transform_config_selectorIaLb0EEEZNS1_14transform_implILb0ES3_S5_NS0_18transform_iteratorINS0_17counting_iteratorImlEEZNS1_24adjacent_difference_implIS3_Lb1ELb0EPaSB_N6thrust23THRUST_200600_302600_NS4plusIaEEEE10hipError_tPvRmT2_T3_mT4_P12ihipStream_tbEUlmE_aEESB_NS0_8identityIvEEEESG_SJ_SK_mSL_SN_bEUlT_E_NS1_11comp_targetILNS1_3genE4ELNS1_11target_archE910ELNS1_3gpuE8ELNS1_3repE0EEENS1_30default_config_static_selectorELNS0_4arch9wavefront6targetE1EEEvT1_,comdat
.Lfunc_end36:
	.size	_ZN7rocprim17ROCPRIM_400000_NS6detail17trampoline_kernelINS0_14default_configENS1_25transform_config_selectorIaLb0EEEZNS1_14transform_implILb0ES3_S5_NS0_18transform_iteratorINS0_17counting_iteratorImlEEZNS1_24adjacent_difference_implIS3_Lb1ELb0EPaSB_N6thrust23THRUST_200600_302600_NS4plusIaEEEE10hipError_tPvRmT2_T3_mT4_P12ihipStream_tbEUlmE_aEESB_NS0_8identityIvEEEESG_SJ_SK_mSL_SN_bEUlT_E_NS1_11comp_targetILNS1_3genE4ELNS1_11target_archE910ELNS1_3gpuE8ELNS1_3repE0EEENS1_30default_config_static_selectorELNS0_4arch9wavefront6targetE1EEEvT1_, .Lfunc_end36-_ZN7rocprim17ROCPRIM_400000_NS6detail17trampoline_kernelINS0_14default_configENS1_25transform_config_selectorIaLb0EEEZNS1_14transform_implILb0ES3_S5_NS0_18transform_iteratorINS0_17counting_iteratorImlEEZNS1_24adjacent_difference_implIS3_Lb1ELb0EPaSB_N6thrust23THRUST_200600_302600_NS4plusIaEEEE10hipError_tPvRmT2_T3_mT4_P12ihipStream_tbEUlmE_aEESB_NS0_8identityIvEEEESG_SJ_SK_mSL_SN_bEUlT_E_NS1_11comp_targetILNS1_3genE4ELNS1_11target_archE910ELNS1_3gpuE8ELNS1_3repE0EEENS1_30default_config_static_selectorELNS0_4arch9wavefront6targetE1EEEvT1_
                                        ; -- End function
	.section	.AMDGPU.csdata,"",@progbits
; Kernel info:
; codeLenInByte = 0
; NumSgprs: 6
; NumVgprs: 0
; NumAgprs: 0
; TotalNumVgprs: 0
; ScratchSize: 0
; MemoryBound: 0
; FloatMode: 240
; IeeeMode: 1
; LDSByteSize: 0 bytes/workgroup (compile time only)
; SGPRBlocks: 0
; VGPRBlocks: 0
; NumSGPRsForWavesPerEU: 6
; NumVGPRsForWavesPerEU: 1
; AccumOffset: 4
; Occupancy: 8
; WaveLimiterHint : 0
; COMPUTE_PGM_RSRC2:SCRATCH_EN: 0
; COMPUTE_PGM_RSRC2:USER_SGPR: 2
; COMPUTE_PGM_RSRC2:TRAP_HANDLER: 0
; COMPUTE_PGM_RSRC2:TGID_X_EN: 1
; COMPUTE_PGM_RSRC2:TGID_Y_EN: 0
; COMPUTE_PGM_RSRC2:TGID_Z_EN: 0
; COMPUTE_PGM_RSRC2:TIDIG_COMP_CNT: 0
; COMPUTE_PGM_RSRC3_GFX90A:ACCUM_OFFSET: 0
; COMPUTE_PGM_RSRC3_GFX90A:TG_SPLIT: 0
	.section	.text._ZN7rocprim17ROCPRIM_400000_NS6detail17trampoline_kernelINS0_14default_configENS1_25transform_config_selectorIaLb0EEEZNS1_14transform_implILb0ES3_S5_NS0_18transform_iteratorINS0_17counting_iteratorImlEEZNS1_24adjacent_difference_implIS3_Lb1ELb0EPaSB_N6thrust23THRUST_200600_302600_NS4plusIaEEEE10hipError_tPvRmT2_T3_mT4_P12ihipStream_tbEUlmE_aEESB_NS0_8identityIvEEEESG_SJ_SK_mSL_SN_bEUlT_E_NS1_11comp_targetILNS1_3genE3ELNS1_11target_archE908ELNS1_3gpuE7ELNS1_3repE0EEENS1_30default_config_static_selectorELNS0_4arch9wavefront6targetE1EEEvT1_,"axG",@progbits,_ZN7rocprim17ROCPRIM_400000_NS6detail17trampoline_kernelINS0_14default_configENS1_25transform_config_selectorIaLb0EEEZNS1_14transform_implILb0ES3_S5_NS0_18transform_iteratorINS0_17counting_iteratorImlEEZNS1_24adjacent_difference_implIS3_Lb1ELb0EPaSB_N6thrust23THRUST_200600_302600_NS4plusIaEEEE10hipError_tPvRmT2_T3_mT4_P12ihipStream_tbEUlmE_aEESB_NS0_8identityIvEEEESG_SJ_SK_mSL_SN_bEUlT_E_NS1_11comp_targetILNS1_3genE3ELNS1_11target_archE908ELNS1_3gpuE7ELNS1_3repE0EEENS1_30default_config_static_selectorELNS0_4arch9wavefront6targetE1EEEvT1_,comdat
	.protected	_ZN7rocprim17ROCPRIM_400000_NS6detail17trampoline_kernelINS0_14default_configENS1_25transform_config_selectorIaLb0EEEZNS1_14transform_implILb0ES3_S5_NS0_18transform_iteratorINS0_17counting_iteratorImlEEZNS1_24adjacent_difference_implIS3_Lb1ELb0EPaSB_N6thrust23THRUST_200600_302600_NS4plusIaEEEE10hipError_tPvRmT2_T3_mT4_P12ihipStream_tbEUlmE_aEESB_NS0_8identityIvEEEESG_SJ_SK_mSL_SN_bEUlT_E_NS1_11comp_targetILNS1_3genE3ELNS1_11target_archE908ELNS1_3gpuE7ELNS1_3repE0EEENS1_30default_config_static_selectorELNS0_4arch9wavefront6targetE1EEEvT1_ ; -- Begin function _ZN7rocprim17ROCPRIM_400000_NS6detail17trampoline_kernelINS0_14default_configENS1_25transform_config_selectorIaLb0EEEZNS1_14transform_implILb0ES3_S5_NS0_18transform_iteratorINS0_17counting_iteratorImlEEZNS1_24adjacent_difference_implIS3_Lb1ELb0EPaSB_N6thrust23THRUST_200600_302600_NS4plusIaEEEE10hipError_tPvRmT2_T3_mT4_P12ihipStream_tbEUlmE_aEESB_NS0_8identityIvEEEESG_SJ_SK_mSL_SN_bEUlT_E_NS1_11comp_targetILNS1_3genE3ELNS1_11target_archE908ELNS1_3gpuE7ELNS1_3repE0EEENS1_30default_config_static_selectorELNS0_4arch9wavefront6targetE1EEEvT1_
	.globl	_ZN7rocprim17ROCPRIM_400000_NS6detail17trampoline_kernelINS0_14default_configENS1_25transform_config_selectorIaLb0EEEZNS1_14transform_implILb0ES3_S5_NS0_18transform_iteratorINS0_17counting_iteratorImlEEZNS1_24adjacent_difference_implIS3_Lb1ELb0EPaSB_N6thrust23THRUST_200600_302600_NS4plusIaEEEE10hipError_tPvRmT2_T3_mT4_P12ihipStream_tbEUlmE_aEESB_NS0_8identityIvEEEESG_SJ_SK_mSL_SN_bEUlT_E_NS1_11comp_targetILNS1_3genE3ELNS1_11target_archE908ELNS1_3gpuE7ELNS1_3repE0EEENS1_30default_config_static_selectorELNS0_4arch9wavefront6targetE1EEEvT1_
	.p2align	8
	.type	_ZN7rocprim17ROCPRIM_400000_NS6detail17trampoline_kernelINS0_14default_configENS1_25transform_config_selectorIaLb0EEEZNS1_14transform_implILb0ES3_S5_NS0_18transform_iteratorINS0_17counting_iteratorImlEEZNS1_24adjacent_difference_implIS3_Lb1ELb0EPaSB_N6thrust23THRUST_200600_302600_NS4plusIaEEEE10hipError_tPvRmT2_T3_mT4_P12ihipStream_tbEUlmE_aEESB_NS0_8identityIvEEEESG_SJ_SK_mSL_SN_bEUlT_E_NS1_11comp_targetILNS1_3genE3ELNS1_11target_archE908ELNS1_3gpuE7ELNS1_3repE0EEENS1_30default_config_static_selectorELNS0_4arch9wavefront6targetE1EEEvT1_,@function
_ZN7rocprim17ROCPRIM_400000_NS6detail17trampoline_kernelINS0_14default_configENS1_25transform_config_selectorIaLb0EEEZNS1_14transform_implILb0ES3_S5_NS0_18transform_iteratorINS0_17counting_iteratorImlEEZNS1_24adjacent_difference_implIS3_Lb1ELb0EPaSB_N6thrust23THRUST_200600_302600_NS4plusIaEEEE10hipError_tPvRmT2_T3_mT4_P12ihipStream_tbEUlmE_aEESB_NS0_8identityIvEEEESG_SJ_SK_mSL_SN_bEUlT_E_NS1_11comp_targetILNS1_3genE3ELNS1_11target_archE908ELNS1_3gpuE7ELNS1_3repE0EEENS1_30default_config_static_selectorELNS0_4arch9wavefront6targetE1EEEvT1_: ; @_ZN7rocprim17ROCPRIM_400000_NS6detail17trampoline_kernelINS0_14default_configENS1_25transform_config_selectorIaLb0EEEZNS1_14transform_implILb0ES3_S5_NS0_18transform_iteratorINS0_17counting_iteratorImlEEZNS1_24adjacent_difference_implIS3_Lb1ELb0EPaSB_N6thrust23THRUST_200600_302600_NS4plusIaEEEE10hipError_tPvRmT2_T3_mT4_P12ihipStream_tbEUlmE_aEESB_NS0_8identityIvEEEESG_SJ_SK_mSL_SN_bEUlT_E_NS1_11comp_targetILNS1_3genE3ELNS1_11target_archE908ELNS1_3gpuE7ELNS1_3repE0EEENS1_30default_config_static_selectorELNS0_4arch9wavefront6targetE1EEEvT1_
; %bb.0:
	.section	.rodata,"a",@progbits
	.p2align	6, 0x0
	.amdhsa_kernel _ZN7rocprim17ROCPRIM_400000_NS6detail17trampoline_kernelINS0_14default_configENS1_25transform_config_selectorIaLb0EEEZNS1_14transform_implILb0ES3_S5_NS0_18transform_iteratorINS0_17counting_iteratorImlEEZNS1_24adjacent_difference_implIS3_Lb1ELb0EPaSB_N6thrust23THRUST_200600_302600_NS4plusIaEEEE10hipError_tPvRmT2_T3_mT4_P12ihipStream_tbEUlmE_aEESB_NS0_8identityIvEEEESG_SJ_SK_mSL_SN_bEUlT_E_NS1_11comp_targetILNS1_3genE3ELNS1_11target_archE908ELNS1_3gpuE7ELNS1_3repE0EEENS1_30default_config_static_selectorELNS0_4arch9wavefront6targetE1EEEvT1_
		.amdhsa_group_segment_fixed_size 0
		.amdhsa_private_segment_fixed_size 0
		.amdhsa_kernarg_size 56
		.amdhsa_user_sgpr_count 2
		.amdhsa_user_sgpr_dispatch_ptr 0
		.amdhsa_user_sgpr_queue_ptr 0
		.amdhsa_user_sgpr_kernarg_segment_ptr 1
		.amdhsa_user_sgpr_dispatch_id 0
		.amdhsa_user_sgpr_kernarg_preload_length 0
		.amdhsa_user_sgpr_kernarg_preload_offset 0
		.amdhsa_user_sgpr_private_segment_size 0
		.amdhsa_uses_dynamic_stack 0
		.amdhsa_enable_private_segment 0
		.amdhsa_system_sgpr_workgroup_id_x 1
		.amdhsa_system_sgpr_workgroup_id_y 0
		.amdhsa_system_sgpr_workgroup_id_z 0
		.amdhsa_system_sgpr_workgroup_info 0
		.amdhsa_system_vgpr_workitem_id 0
		.amdhsa_next_free_vgpr 1
		.amdhsa_next_free_sgpr 0
		.amdhsa_accum_offset 4
		.amdhsa_reserve_vcc 0
		.amdhsa_float_round_mode_32 0
		.amdhsa_float_round_mode_16_64 0
		.amdhsa_float_denorm_mode_32 3
		.amdhsa_float_denorm_mode_16_64 3
		.amdhsa_dx10_clamp 1
		.amdhsa_ieee_mode 1
		.amdhsa_fp16_overflow 0
		.amdhsa_tg_split 0
		.amdhsa_exception_fp_ieee_invalid_op 0
		.amdhsa_exception_fp_denorm_src 0
		.amdhsa_exception_fp_ieee_div_zero 0
		.amdhsa_exception_fp_ieee_overflow 0
		.amdhsa_exception_fp_ieee_underflow 0
		.amdhsa_exception_fp_ieee_inexact 0
		.amdhsa_exception_int_div_zero 0
	.end_amdhsa_kernel
	.section	.text._ZN7rocprim17ROCPRIM_400000_NS6detail17trampoline_kernelINS0_14default_configENS1_25transform_config_selectorIaLb0EEEZNS1_14transform_implILb0ES3_S5_NS0_18transform_iteratorINS0_17counting_iteratorImlEEZNS1_24adjacent_difference_implIS3_Lb1ELb0EPaSB_N6thrust23THRUST_200600_302600_NS4plusIaEEEE10hipError_tPvRmT2_T3_mT4_P12ihipStream_tbEUlmE_aEESB_NS0_8identityIvEEEESG_SJ_SK_mSL_SN_bEUlT_E_NS1_11comp_targetILNS1_3genE3ELNS1_11target_archE908ELNS1_3gpuE7ELNS1_3repE0EEENS1_30default_config_static_selectorELNS0_4arch9wavefront6targetE1EEEvT1_,"axG",@progbits,_ZN7rocprim17ROCPRIM_400000_NS6detail17trampoline_kernelINS0_14default_configENS1_25transform_config_selectorIaLb0EEEZNS1_14transform_implILb0ES3_S5_NS0_18transform_iteratorINS0_17counting_iteratorImlEEZNS1_24adjacent_difference_implIS3_Lb1ELb0EPaSB_N6thrust23THRUST_200600_302600_NS4plusIaEEEE10hipError_tPvRmT2_T3_mT4_P12ihipStream_tbEUlmE_aEESB_NS0_8identityIvEEEESG_SJ_SK_mSL_SN_bEUlT_E_NS1_11comp_targetILNS1_3genE3ELNS1_11target_archE908ELNS1_3gpuE7ELNS1_3repE0EEENS1_30default_config_static_selectorELNS0_4arch9wavefront6targetE1EEEvT1_,comdat
.Lfunc_end37:
	.size	_ZN7rocprim17ROCPRIM_400000_NS6detail17trampoline_kernelINS0_14default_configENS1_25transform_config_selectorIaLb0EEEZNS1_14transform_implILb0ES3_S5_NS0_18transform_iteratorINS0_17counting_iteratorImlEEZNS1_24adjacent_difference_implIS3_Lb1ELb0EPaSB_N6thrust23THRUST_200600_302600_NS4plusIaEEEE10hipError_tPvRmT2_T3_mT4_P12ihipStream_tbEUlmE_aEESB_NS0_8identityIvEEEESG_SJ_SK_mSL_SN_bEUlT_E_NS1_11comp_targetILNS1_3genE3ELNS1_11target_archE908ELNS1_3gpuE7ELNS1_3repE0EEENS1_30default_config_static_selectorELNS0_4arch9wavefront6targetE1EEEvT1_, .Lfunc_end37-_ZN7rocprim17ROCPRIM_400000_NS6detail17trampoline_kernelINS0_14default_configENS1_25transform_config_selectorIaLb0EEEZNS1_14transform_implILb0ES3_S5_NS0_18transform_iteratorINS0_17counting_iteratorImlEEZNS1_24adjacent_difference_implIS3_Lb1ELb0EPaSB_N6thrust23THRUST_200600_302600_NS4plusIaEEEE10hipError_tPvRmT2_T3_mT4_P12ihipStream_tbEUlmE_aEESB_NS0_8identityIvEEEESG_SJ_SK_mSL_SN_bEUlT_E_NS1_11comp_targetILNS1_3genE3ELNS1_11target_archE908ELNS1_3gpuE7ELNS1_3repE0EEENS1_30default_config_static_selectorELNS0_4arch9wavefront6targetE1EEEvT1_
                                        ; -- End function
	.section	.AMDGPU.csdata,"",@progbits
; Kernel info:
; codeLenInByte = 0
; NumSgprs: 6
; NumVgprs: 0
; NumAgprs: 0
; TotalNumVgprs: 0
; ScratchSize: 0
; MemoryBound: 0
; FloatMode: 240
; IeeeMode: 1
; LDSByteSize: 0 bytes/workgroup (compile time only)
; SGPRBlocks: 0
; VGPRBlocks: 0
; NumSGPRsForWavesPerEU: 6
; NumVGPRsForWavesPerEU: 1
; AccumOffset: 4
; Occupancy: 8
; WaveLimiterHint : 0
; COMPUTE_PGM_RSRC2:SCRATCH_EN: 0
; COMPUTE_PGM_RSRC2:USER_SGPR: 2
; COMPUTE_PGM_RSRC2:TRAP_HANDLER: 0
; COMPUTE_PGM_RSRC2:TGID_X_EN: 1
; COMPUTE_PGM_RSRC2:TGID_Y_EN: 0
; COMPUTE_PGM_RSRC2:TGID_Z_EN: 0
; COMPUTE_PGM_RSRC2:TIDIG_COMP_CNT: 0
; COMPUTE_PGM_RSRC3_GFX90A:ACCUM_OFFSET: 0
; COMPUTE_PGM_RSRC3_GFX90A:TG_SPLIT: 0
	.section	.text._ZN7rocprim17ROCPRIM_400000_NS6detail17trampoline_kernelINS0_14default_configENS1_25transform_config_selectorIaLb0EEEZNS1_14transform_implILb0ES3_S5_NS0_18transform_iteratorINS0_17counting_iteratorImlEEZNS1_24adjacent_difference_implIS3_Lb1ELb0EPaSB_N6thrust23THRUST_200600_302600_NS4plusIaEEEE10hipError_tPvRmT2_T3_mT4_P12ihipStream_tbEUlmE_aEESB_NS0_8identityIvEEEESG_SJ_SK_mSL_SN_bEUlT_E_NS1_11comp_targetILNS1_3genE2ELNS1_11target_archE906ELNS1_3gpuE6ELNS1_3repE0EEENS1_30default_config_static_selectorELNS0_4arch9wavefront6targetE1EEEvT1_,"axG",@progbits,_ZN7rocprim17ROCPRIM_400000_NS6detail17trampoline_kernelINS0_14default_configENS1_25transform_config_selectorIaLb0EEEZNS1_14transform_implILb0ES3_S5_NS0_18transform_iteratorINS0_17counting_iteratorImlEEZNS1_24adjacent_difference_implIS3_Lb1ELb0EPaSB_N6thrust23THRUST_200600_302600_NS4plusIaEEEE10hipError_tPvRmT2_T3_mT4_P12ihipStream_tbEUlmE_aEESB_NS0_8identityIvEEEESG_SJ_SK_mSL_SN_bEUlT_E_NS1_11comp_targetILNS1_3genE2ELNS1_11target_archE906ELNS1_3gpuE6ELNS1_3repE0EEENS1_30default_config_static_selectorELNS0_4arch9wavefront6targetE1EEEvT1_,comdat
	.protected	_ZN7rocprim17ROCPRIM_400000_NS6detail17trampoline_kernelINS0_14default_configENS1_25transform_config_selectorIaLb0EEEZNS1_14transform_implILb0ES3_S5_NS0_18transform_iteratorINS0_17counting_iteratorImlEEZNS1_24adjacent_difference_implIS3_Lb1ELb0EPaSB_N6thrust23THRUST_200600_302600_NS4plusIaEEEE10hipError_tPvRmT2_T3_mT4_P12ihipStream_tbEUlmE_aEESB_NS0_8identityIvEEEESG_SJ_SK_mSL_SN_bEUlT_E_NS1_11comp_targetILNS1_3genE2ELNS1_11target_archE906ELNS1_3gpuE6ELNS1_3repE0EEENS1_30default_config_static_selectorELNS0_4arch9wavefront6targetE1EEEvT1_ ; -- Begin function _ZN7rocprim17ROCPRIM_400000_NS6detail17trampoline_kernelINS0_14default_configENS1_25transform_config_selectorIaLb0EEEZNS1_14transform_implILb0ES3_S5_NS0_18transform_iteratorINS0_17counting_iteratorImlEEZNS1_24adjacent_difference_implIS3_Lb1ELb0EPaSB_N6thrust23THRUST_200600_302600_NS4plusIaEEEE10hipError_tPvRmT2_T3_mT4_P12ihipStream_tbEUlmE_aEESB_NS0_8identityIvEEEESG_SJ_SK_mSL_SN_bEUlT_E_NS1_11comp_targetILNS1_3genE2ELNS1_11target_archE906ELNS1_3gpuE6ELNS1_3repE0EEENS1_30default_config_static_selectorELNS0_4arch9wavefront6targetE1EEEvT1_
	.globl	_ZN7rocprim17ROCPRIM_400000_NS6detail17trampoline_kernelINS0_14default_configENS1_25transform_config_selectorIaLb0EEEZNS1_14transform_implILb0ES3_S5_NS0_18transform_iteratorINS0_17counting_iteratorImlEEZNS1_24adjacent_difference_implIS3_Lb1ELb0EPaSB_N6thrust23THRUST_200600_302600_NS4plusIaEEEE10hipError_tPvRmT2_T3_mT4_P12ihipStream_tbEUlmE_aEESB_NS0_8identityIvEEEESG_SJ_SK_mSL_SN_bEUlT_E_NS1_11comp_targetILNS1_3genE2ELNS1_11target_archE906ELNS1_3gpuE6ELNS1_3repE0EEENS1_30default_config_static_selectorELNS0_4arch9wavefront6targetE1EEEvT1_
	.p2align	8
	.type	_ZN7rocprim17ROCPRIM_400000_NS6detail17trampoline_kernelINS0_14default_configENS1_25transform_config_selectorIaLb0EEEZNS1_14transform_implILb0ES3_S5_NS0_18transform_iteratorINS0_17counting_iteratorImlEEZNS1_24adjacent_difference_implIS3_Lb1ELb0EPaSB_N6thrust23THRUST_200600_302600_NS4plusIaEEEE10hipError_tPvRmT2_T3_mT4_P12ihipStream_tbEUlmE_aEESB_NS0_8identityIvEEEESG_SJ_SK_mSL_SN_bEUlT_E_NS1_11comp_targetILNS1_3genE2ELNS1_11target_archE906ELNS1_3gpuE6ELNS1_3repE0EEENS1_30default_config_static_selectorELNS0_4arch9wavefront6targetE1EEEvT1_,@function
_ZN7rocprim17ROCPRIM_400000_NS6detail17trampoline_kernelINS0_14default_configENS1_25transform_config_selectorIaLb0EEEZNS1_14transform_implILb0ES3_S5_NS0_18transform_iteratorINS0_17counting_iteratorImlEEZNS1_24adjacent_difference_implIS3_Lb1ELb0EPaSB_N6thrust23THRUST_200600_302600_NS4plusIaEEEE10hipError_tPvRmT2_T3_mT4_P12ihipStream_tbEUlmE_aEESB_NS0_8identityIvEEEESG_SJ_SK_mSL_SN_bEUlT_E_NS1_11comp_targetILNS1_3genE2ELNS1_11target_archE906ELNS1_3gpuE6ELNS1_3repE0EEENS1_30default_config_static_selectorELNS0_4arch9wavefront6targetE1EEEvT1_: ; @_ZN7rocprim17ROCPRIM_400000_NS6detail17trampoline_kernelINS0_14default_configENS1_25transform_config_selectorIaLb0EEEZNS1_14transform_implILb0ES3_S5_NS0_18transform_iteratorINS0_17counting_iteratorImlEEZNS1_24adjacent_difference_implIS3_Lb1ELb0EPaSB_N6thrust23THRUST_200600_302600_NS4plusIaEEEE10hipError_tPvRmT2_T3_mT4_P12ihipStream_tbEUlmE_aEESB_NS0_8identityIvEEEESG_SJ_SK_mSL_SN_bEUlT_E_NS1_11comp_targetILNS1_3genE2ELNS1_11target_archE906ELNS1_3gpuE6ELNS1_3repE0EEENS1_30default_config_static_selectorELNS0_4arch9wavefront6targetE1EEEvT1_
; %bb.0:
	.section	.rodata,"a",@progbits
	.p2align	6, 0x0
	.amdhsa_kernel _ZN7rocprim17ROCPRIM_400000_NS6detail17trampoline_kernelINS0_14default_configENS1_25transform_config_selectorIaLb0EEEZNS1_14transform_implILb0ES3_S5_NS0_18transform_iteratorINS0_17counting_iteratorImlEEZNS1_24adjacent_difference_implIS3_Lb1ELb0EPaSB_N6thrust23THRUST_200600_302600_NS4plusIaEEEE10hipError_tPvRmT2_T3_mT4_P12ihipStream_tbEUlmE_aEESB_NS0_8identityIvEEEESG_SJ_SK_mSL_SN_bEUlT_E_NS1_11comp_targetILNS1_3genE2ELNS1_11target_archE906ELNS1_3gpuE6ELNS1_3repE0EEENS1_30default_config_static_selectorELNS0_4arch9wavefront6targetE1EEEvT1_
		.amdhsa_group_segment_fixed_size 0
		.amdhsa_private_segment_fixed_size 0
		.amdhsa_kernarg_size 56
		.amdhsa_user_sgpr_count 2
		.amdhsa_user_sgpr_dispatch_ptr 0
		.amdhsa_user_sgpr_queue_ptr 0
		.amdhsa_user_sgpr_kernarg_segment_ptr 1
		.amdhsa_user_sgpr_dispatch_id 0
		.amdhsa_user_sgpr_kernarg_preload_length 0
		.amdhsa_user_sgpr_kernarg_preload_offset 0
		.amdhsa_user_sgpr_private_segment_size 0
		.amdhsa_uses_dynamic_stack 0
		.amdhsa_enable_private_segment 0
		.amdhsa_system_sgpr_workgroup_id_x 1
		.amdhsa_system_sgpr_workgroup_id_y 0
		.amdhsa_system_sgpr_workgroup_id_z 0
		.amdhsa_system_sgpr_workgroup_info 0
		.amdhsa_system_vgpr_workitem_id 0
		.amdhsa_next_free_vgpr 1
		.amdhsa_next_free_sgpr 0
		.amdhsa_accum_offset 4
		.amdhsa_reserve_vcc 0
		.amdhsa_float_round_mode_32 0
		.amdhsa_float_round_mode_16_64 0
		.amdhsa_float_denorm_mode_32 3
		.amdhsa_float_denorm_mode_16_64 3
		.amdhsa_dx10_clamp 1
		.amdhsa_ieee_mode 1
		.amdhsa_fp16_overflow 0
		.amdhsa_tg_split 0
		.amdhsa_exception_fp_ieee_invalid_op 0
		.amdhsa_exception_fp_denorm_src 0
		.amdhsa_exception_fp_ieee_div_zero 0
		.amdhsa_exception_fp_ieee_overflow 0
		.amdhsa_exception_fp_ieee_underflow 0
		.amdhsa_exception_fp_ieee_inexact 0
		.amdhsa_exception_int_div_zero 0
	.end_amdhsa_kernel
	.section	.text._ZN7rocprim17ROCPRIM_400000_NS6detail17trampoline_kernelINS0_14default_configENS1_25transform_config_selectorIaLb0EEEZNS1_14transform_implILb0ES3_S5_NS0_18transform_iteratorINS0_17counting_iteratorImlEEZNS1_24adjacent_difference_implIS3_Lb1ELb0EPaSB_N6thrust23THRUST_200600_302600_NS4plusIaEEEE10hipError_tPvRmT2_T3_mT4_P12ihipStream_tbEUlmE_aEESB_NS0_8identityIvEEEESG_SJ_SK_mSL_SN_bEUlT_E_NS1_11comp_targetILNS1_3genE2ELNS1_11target_archE906ELNS1_3gpuE6ELNS1_3repE0EEENS1_30default_config_static_selectorELNS0_4arch9wavefront6targetE1EEEvT1_,"axG",@progbits,_ZN7rocprim17ROCPRIM_400000_NS6detail17trampoline_kernelINS0_14default_configENS1_25transform_config_selectorIaLb0EEEZNS1_14transform_implILb0ES3_S5_NS0_18transform_iteratorINS0_17counting_iteratorImlEEZNS1_24adjacent_difference_implIS3_Lb1ELb0EPaSB_N6thrust23THRUST_200600_302600_NS4plusIaEEEE10hipError_tPvRmT2_T3_mT4_P12ihipStream_tbEUlmE_aEESB_NS0_8identityIvEEEESG_SJ_SK_mSL_SN_bEUlT_E_NS1_11comp_targetILNS1_3genE2ELNS1_11target_archE906ELNS1_3gpuE6ELNS1_3repE0EEENS1_30default_config_static_selectorELNS0_4arch9wavefront6targetE1EEEvT1_,comdat
.Lfunc_end38:
	.size	_ZN7rocprim17ROCPRIM_400000_NS6detail17trampoline_kernelINS0_14default_configENS1_25transform_config_selectorIaLb0EEEZNS1_14transform_implILb0ES3_S5_NS0_18transform_iteratorINS0_17counting_iteratorImlEEZNS1_24adjacent_difference_implIS3_Lb1ELb0EPaSB_N6thrust23THRUST_200600_302600_NS4plusIaEEEE10hipError_tPvRmT2_T3_mT4_P12ihipStream_tbEUlmE_aEESB_NS0_8identityIvEEEESG_SJ_SK_mSL_SN_bEUlT_E_NS1_11comp_targetILNS1_3genE2ELNS1_11target_archE906ELNS1_3gpuE6ELNS1_3repE0EEENS1_30default_config_static_selectorELNS0_4arch9wavefront6targetE1EEEvT1_, .Lfunc_end38-_ZN7rocprim17ROCPRIM_400000_NS6detail17trampoline_kernelINS0_14default_configENS1_25transform_config_selectorIaLb0EEEZNS1_14transform_implILb0ES3_S5_NS0_18transform_iteratorINS0_17counting_iteratorImlEEZNS1_24adjacent_difference_implIS3_Lb1ELb0EPaSB_N6thrust23THRUST_200600_302600_NS4plusIaEEEE10hipError_tPvRmT2_T3_mT4_P12ihipStream_tbEUlmE_aEESB_NS0_8identityIvEEEESG_SJ_SK_mSL_SN_bEUlT_E_NS1_11comp_targetILNS1_3genE2ELNS1_11target_archE906ELNS1_3gpuE6ELNS1_3repE0EEENS1_30default_config_static_selectorELNS0_4arch9wavefront6targetE1EEEvT1_
                                        ; -- End function
	.section	.AMDGPU.csdata,"",@progbits
; Kernel info:
; codeLenInByte = 0
; NumSgprs: 6
; NumVgprs: 0
; NumAgprs: 0
; TotalNumVgprs: 0
; ScratchSize: 0
; MemoryBound: 0
; FloatMode: 240
; IeeeMode: 1
; LDSByteSize: 0 bytes/workgroup (compile time only)
; SGPRBlocks: 0
; VGPRBlocks: 0
; NumSGPRsForWavesPerEU: 6
; NumVGPRsForWavesPerEU: 1
; AccumOffset: 4
; Occupancy: 8
; WaveLimiterHint : 0
; COMPUTE_PGM_RSRC2:SCRATCH_EN: 0
; COMPUTE_PGM_RSRC2:USER_SGPR: 2
; COMPUTE_PGM_RSRC2:TRAP_HANDLER: 0
; COMPUTE_PGM_RSRC2:TGID_X_EN: 1
; COMPUTE_PGM_RSRC2:TGID_Y_EN: 0
; COMPUTE_PGM_RSRC2:TGID_Z_EN: 0
; COMPUTE_PGM_RSRC2:TIDIG_COMP_CNT: 0
; COMPUTE_PGM_RSRC3_GFX90A:ACCUM_OFFSET: 0
; COMPUTE_PGM_RSRC3_GFX90A:TG_SPLIT: 0
	.section	.text._ZN7rocprim17ROCPRIM_400000_NS6detail17trampoline_kernelINS0_14default_configENS1_25transform_config_selectorIaLb0EEEZNS1_14transform_implILb0ES3_S5_NS0_18transform_iteratorINS0_17counting_iteratorImlEEZNS1_24adjacent_difference_implIS3_Lb1ELb0EPaSB_N6thrust23THRUST_200600_302600_NS4plusIaEEEE10hipError_tPvRmT2_T3_mT4_P12ihipStream_tbEUlmE_aEESB_NS0_8identityIvEEEESG_SJ_SK_mSL_SN_bEUlT_E_NS1_11comp_targetILNS1_3genE10ELNS1_11target_archE1201ELNS1_3gpuE5ELNS1_3repE0EEENS1_30default_config_static_selectorELNS0_4arch9wavefront6targetE1EEEvT1_,"axG",@progbits,_ZN7rocprim17ROCPRIM_400000_NS6detail17trampoline_kernelINS0_14default_configENS1_25transform_config_selectorIaLb0EEEZNS1_14transform_implILb0ES3_S5_NS0_18transform_iteratorINS0_17counting_iteratorImlEEZNS1_24adjacent_difference_implIS3_Lb1ELb0EPaSB_N6thrust23THRUST_200600_302600_NS4plusIaEEEE10hipError_tPvRmT2_T3_mT4_P12ihipStream_tbEUlmE_aEESB_NS0_8identityIvEEEESG_SJ_SK_mSL_SN_bEUlT_E_NS1_11comp_targetILNS1_3genE10ELNS1_11target_archE1201ELNS1_3gpuE5ELNS1_3repE0EEENS1_30default_config_static_selectorELNS0_4arch9wavefront6targetE1EEEvT1_,comdat
	.protected	_ZN7rocprim17ROCPRIM_400000_NS6detail17trampoline_kernelINS0_14default_configENS1_25transform_config_selectorIaLb0EEEZNS1_14transform_implILb0ES3_S5_NS0_18transform_iteratorINS0_17counting_iteratorImlEEZNS1_24adjacent_difference_implIS3_Lb1ELb0EPaSB_N6thrust23THRUST_200600_302600_NS4plusIaEEEE10hipError_tPvRmT2_T3_mT4_P12ihipStream_tbEUlmE_aEESB_NS0_8identityIvEEEESG_SJ_SK_mSL_SN_bEUlT_E_NS1_11comp_targetILNS1_3genE10ELNS1_11target_archE1201ELNS1_3gpuE5ELNS1_3repE0EEENS1_30default_config_static_selectorELNS0_4arch9wavefront6targetE1EEEvT1_ ; -- Begin function _ZN7rocprim17ROCPRIM_400000_NS6detail17trampoline_kernelINS0_14default_configENS1_25transform_config_selectorIaLb0EEEZNS1_14transform_implILb0ES3_S5_NS0_18transform_iteratorINS0_17counting_iteratorImlEEZNS1_24adjacent_difference_implIS3_Lb1ELb0EPaSB_N6thrust23THRUST_200600_302600_NS4plusIaEEEE10hipError_tPvRmT2_T3_mT4_P12ihipStream_tbEUlmE_aEESB_NS0_8identityIvEEEESG_SJ_SK_mSL_SN_bEUlT_E_NS1_11comp_targetILNS1_3genE10ELNS1_11target_archE1201ELNS1_3gpuE5ELNS1_3repE0EEENS1_30default_config_static_selectorELNS0_4arch9wavefront6targetE1EEEvT1_
	.globl	_ZN7rocprim17ROCPRIM_400000_NS6detail17trampoline_kernelINS0_14default_configENS1_25transform_config_selectorIaLb0EEEZNS1_14transform_implILb0ES3_S5_NS0_18transform_iteratorINS0_17counting_iteratorImlEEZNS1_24adjacent_difference_implIS3_Lb1ELb0EPaSB_N6thrust23THRUST_200600_302600_NS4plusIaEEEE10hipError_tPvRmT2_T3_mT4_P12ihipStream_tbEUlmE_aEESB_NS0_8identityIvEEEESG_SJ_SK_mSL_SN_bEUlT_E_NS1_11comp_targetILNS1_3genE10ELNS1_11target_archE1201ELNS1_3gpuE5ELNS1_3repE0EEENS1_30default_config_static_selectorELNS0_4arch9wavefront6targetE1EEEvT1_
	.p2align	8
	.type	_ZN7rocprim17ROCPRIM_400000_NS6detail17trampoline_kernelINS0_14default_configENS1_25transform_config_selectorIaLb0EEEZNS1_14transform_implILb0ES3_S5_NS0_18transform_iteratorINS0_17counting_iteratorImlEEZNS1_24adjacent_difference_implIS3_Lb1ELb0EPaSB_N6thrust23THRUST_200600_302600_NS4plusIaEEEE10hipError_tPvRmT2_T3_mT4_P12ihipStream_tbEUlmE_aEESB_NS0_8identityIvEEEESG_SJ_SK_mSL_SN_bEUlT_E_NS1_11comp_targetILNS1_3genE10ELNS1_11target_archE1201ELNS1_3gpuE5ELNS1_3repE0EEENS1_30default_config_static_selectorELNS0_4arch9wavefront6targetE1EEEvT1_,@function
_ZN7rocprim17ROCPRIM_400000_NS6detail17trampoline_kernelINS0_14default_configENS1_25transform_config_selectorIaLb0EEEZNS1_14transform_implILb0ES3_S5_NS0_18transform_iteratorINS0_17counting_iteratorImlEEZNS1_24adjacent_difference_implIS3_Lb1ELb0EPaSB_N6thrust23THRUST_200600_302600_NS4plusIaEEEE10hipError_tPvRmT2_T3_mT4_P12ihipStream_tbEUlmE_aEESB_NS0_8identityIvEEEESG_SJ_SK_mSL_SN_bEUlT_E_NS1_11comp_targetILNS1_3genE10ELNS1_11target_archE1201ELNS1_3gpuE5ELNS1_3repE0EEENS1_30default_config_static_selectorELNS0_4arch9wavefront6targetE1EEEvT1_: ; @_ZN7rocprim17ROCPRIM_400000_NS6detail17trampoline_kernelINS0_14default_configENS1_25transform_config_selectorIaLb0EEEZNS1_14transform_implILb0ES3_S5_NS0_18transform_iteratorINS0_17counting_iteratorImlEEZNS1_24adjacent_difference_implIS3_Lb1ELb0EPaSB_N6thrust23THRUST_200600_302600_NS4plusIaEEEE10hipError_tPvRmT2_T3_mT4_P12ihipStream_tbEUlmE_aEESB_NS0_8identityIvEEEESG_SJ_SK_mSL_SN_bEUlT_E_NS1_11comp_targetILNS1_3genE10ELNS1_11target_archE1201ELNS1_3gpuE5ELNS1_3repE0EEENS1_30default_config_static_selectorELNS0_4arch9wavefront6targetE1EEEvT1_
; %bb.0:
	.section	.rodata,"a",@progbits
	.p2align	6, 0x0
	.amdhsa_kernel _ZN7rocprim17ROCPRIM_400000_NS6detail17trampoline_kernelINS0_14default_configENS1_25transform_config_selectorIaLb0EEEZNS1_14transform_implILb0ES3_S5_NS0_18transform_iteratorINS0_17counting_iteratorImlEEZNS1_24adjacent_difference_implIS3_Lb1ELb0EPaSB_N6thrust23THRUST_200600_302600_NS4plusIaEEEE10hipError_tPvRmT2_T3_mT4_P12ihipStream_tbEUlmE_aEESB_NS0_8identityIvEEEESG_SJ_SK_mSL_SN_bEUlT_E_NS1_11comp_targetILNS1_3genE10ELNS1_11target_archE1201ELNS1_3gpuE5ELNS1_3repE0EEENS1_30default_config_static_selectorELNS0_4arch9wavefront6targetE1EEEvT1_
		.amdhsa_group_segment_fixed_size 0
		.amdhsa_private_segment_fixed_size 0
		.amdhsa_kernarg_size 56
		.amdhsa_user_sgpr_count 2
		.amdhsa_user_sgpr_dispatch_ptr 0
		.amdhsa_user_sgpr_queue_ptr 0
		.amdhsa_user_sgpr_kernarg_segment_ptr 1
		.amdhsa_user_sgpr_dispatch_id 0
		.amdhsa_user_sgpr_kernarg_preload_length 0
		.amdhsa_user_sgpr_kernarg_preload_offset 0
		.amdhsa_user_sgpr_private_segment_size 0
		.amdhsa_uses_dynamic_stack 0
		.amdhsa_enable_private_segment 0
		.amdhsa_system_sgpr_workgroup_id_x 1
		.amdhsa_system_sgpr_workgroup_id_y 0
		.amdhsa_system_sgpr_workgroup_id_z 0
		.amdhsa_system_sgpr_workgroup_info 0
		.amdhsa_system_vgpr_workitem_id 0
		.amdhsa_next_free_vgpr 1
		.amdhsa_next_free_sgpr 0
		.amdhsa_accum_offset 4
		.amdhsa_reserve_vcc 0
		.amdhsa_float_round_mode_32 0
		.amdhsa_float_round_mode_16_64 0
		.amdhsa_float_denorm_mode_32 3
		.amdhsa_float_denorm_mode_16_64 3
		.amdhsa_dx10_clamp 1
		.amdhsa_ieee_mode 1
		.amdhsa_fp16_overflow 0
		.amdhsa_tg_split 0
		.amdhsa_exception_fp_ieee_invalid_op 0
		.amdhsa_exception_fp_denorm_src 0
		.amdhsa_exception_fp_ieee_div_zero 0
		.amdhsa_exception_fp_ieee_overflow 0
		.amdhsa_exception_fp_ieee_underflow 0
		.amdhsa_exception_fp_ieee_inexact 0
		.amdhsa_exception_int_div_zero 0
	.end_amdhsa_kernel
	.section	.text._ZN7rocprim17ROCPRIM_400000_NS6detail17trampoline_kernelINS0_14default_configENS1_25transform_config_selectorIaLb0EEEZNS1_14transform_implILb0ES3_S5_NS0_18transform_iteratorINS0_17counting_iteratorImlEEZNS1_24adjacent_difference_implIS3_Lb1ELb0EPaSB_N6thrust23THRUST_200600_302600_NS4plusIaEEEE10hipError_tPvRmT2_T3_mT4_P12ihipStream_tbEUlmE_aEESB_NS0_8identityIvEEEESG_SJ_SK_mSL_SN_bEUlT_E_NS1_11comp_targetILNS1_3genE10ELNS1_11target_archE1201ELNS1_3gpuE5ELNS1_3repE0EEENS1_30default_config_static_selectorELNS0_4arch9wavefront6targetE1EEEvT1_,"axG",@progbits,_ZN7rocprim17ROCPRIM_400000_NS6detail17trampoline_kernelINS0_14default_configENS1_25transform_config_selectorIaLb0EEEZNS1_14transform_implILb0ES3_S5_NS0_18transform_iteratorINS0_17counting_iteratorImlEEZNS1_24adjacent_difference_implIS3_Lb1ELb0EPaSB_N6thrust23THRUST_200600_302600_NS4plusIaEEEE10hipError_tPvRmT2_T3_mT4_P12ihipStream_tbEUlmE_aEESB_NS0_8identityIvEEEESG_SJ_SK_mSL_SN_bEUlT_E_NS1_11comp_targetILNS1_3genE10ELNS1_11target_archE1201ELNS1_3gpuE5ELNS1_3repE0EEENS1_30default_config_static_selectorELNS0_4arch9wavefront6targetE1EEEvT1_,comdat
.Lfunc_end39:
	.size	_ZN7rocprim17ROCPRIM_400000_NS6detail17trampoline_kernelINS0_14default_configENS1_25transform_config_selectorIaLb0EEEZNS1_14transform_implILb0ES3_S5_NS0_18transform_iteratorINS0_17counting_iteratorImlEEZNS1_24adjacent_difference_implIS3_Lb1ELb0EPaSB_N6thrust23THRUST_200600_302600_NS4plusIaEEEE10hipError_tPvRmT2_T3_mT4_P12ihipStream_tbEUlmE_aEESB_NS0_8identityIvEEEESG_SJ_SK_mSL_SN_bEUlT_E_NS1_11comp_targetILNS1_3genE10ELNS1_11target_archE1201ELNS1_3gpuE5ELNS1_3repE0EEENS1_30default_config_static_selectorELNS0_4arch9wavefront6targetE1EEEvT1_, .Lfunc_end39-_ZN7rocprim17ROCPRIM_400000_NS6detail17trampoline_kernelINS0_14default_configENS1_25transform_config_selectorIaLb0EEEZNS1_14transform_implILb0ES3_S5_NS0_18transform_iteratorINS0_17counting_iteratorImlEEZNS1_24adjacent_difference_implIS3_Lb1ELb0EPaSB_N6thrust23THRUST_200600_302600_NS4plusIaEEEE10hipError_tPvRmT2_T3_mT4_P12ihipStream_tbEUlmE_aEESB_NS0_8identityIvEEEESG_SJ_SK_mSL_SN_bEUlT_E_NS1_11comp_targetILNS1_3genE10ELNS1_11target_archE1201ELNS1_3gpuE5ELNS1_3repE0EEENS1_30default_config_static_selectorELNS0_4arch9wavefront6targetE1EEEvT1_
                                        ; -- End function
	.section	.AMDGPU.csdata,"",@progbits
; Kernel info:
; codeLenInByte = 0
; NumSgprs: 6
; NumVgprs: 0
; NumAgprs: 0
; TotalNumVgprs: 0
; ScratchSize: 0
; MemoryBound: 0
; FloatMode: 240
; IeeeMode: 1
; LDSByteSize: 0 bytes/workgroup (compile time only)
; SGPRBlocks: 0
; VGPRBlocks: 0
; NumSGPRsForWavesPerEU: 6
; NumVGPRsForWavesPerEU: 1
; AccumOffset: 4
; Occupancy: 8
; WaveLimiterHint : 0
; COMPUTE_PGM_RSRC2:SCRATCH_EN: 0
; COMPUTE_PGM_RSRC2:USER_SGPR: 2
; COMPUTE_PGM_RSRC2:TRAP_HANDLER: 0
; COMPUTE_PGM_RSRC2:TGID_X_EN: 1
; COMPUTE_PGM_RSRC2:TGID_Y_EN: 0
; COMPUTE_PGM_RSRC2:TGID_Z_EN: 0
; COMPUTE_PGM_RSRC2:TIDIG_COMP_CNT: 0
; COMPUTE_PGM_RSRC3_GFX90A:ACCUM_OFFSET: 0
; COMPUTE_PGM_RSRC3_GFX90A:TG_SPLIT: 0
	.section	.text._ZN7rocprim17ROCPRIM_400000_NS6detail17trampoline_kernelINS0_14default_configENS1_25transform_config_selectorIaLb0EEEZNS1_14transform_implILb0ES3_S5_NS0_18transform_iteratorINS0_17counting_iteratorImlEEZNS1_24adjacent_difference_implIS3_Lb1ELb0EPaSB_N6thrust23THRUST_200600_302600_NS4plusIaEEEE10hipError_tPvRmT2_T3_mT4_P12ihipStream_tbEUlmE_aEESB_NS0_8identityIvEEEESG_SJ_SK_mSL_SN_bEUlT_E_NS1_11comp_targetILNS1_3genE10ELNS1_11target_archE1200ELNS1_3gpuE4ELNS1_3repE0EEENS1_30default_config_static_selectorELNS0_4arch9wavefront6targetE1EEEvT1_,"axG",@progbits,_ZN7rocprim17ROCPRIM_400000_NS6detail17trampoline_kernelINS0_14default_configENS1_25transform_config_selectorIaLb0EEEZNS1_14transform_implILb0ES3_S5_NS0_18transform_iteratorINS0_17counting_iteratorImlEEZNS1_24adjacent_difference_implIS3_Lb1ELb0EPaSB_N6thrust23THRUST_200600_302600_NS4plusIaEEEE10hipError_tPvRmT2_T3_mT4_P12ihipStream_tbEUlmE_aEESB_NS0_8identityIvEEEESG_SJ_SK_mSL_SN_bEUlT_E_NS1_11comp_targetILNS1_3genE10ELNS1_11target_archE1200ELNS1_3gpuE4ELNS1_3repE0EEENS1_30default_config_static_selectorELNS0_4arch9wavefront6targetE1EEEvT1_,comdat
	.protected	_ZN7rocprim17ROCPRIM_400000_NS6detail17trampoline_kernelINS0_14default_configENS1_25transform_config_selectorIaLb0EEEZNS1_14transform_implILb0ES3_S5_NS0_18transform_iteratorINS0_17counting_iteratorImlEEZNS1_24adjacent_difference_implIS3_Lb1ELb0EPaSB_N6thrust23THRUST_200600_302600_NS4plusIaEEEE10hipError_tPvRmT2_T3_mT4_P12ihipStream_tbEUlmE_aEESB_NS0_8identityIvEEEESG_SJ_SK_mSL_SN_bEUlT_E_NS1_11comp_targetILNS1_3genE10ELNS1_11target_archE1200ELNS1_3gpuE4ELNS1_3repE0EEENS1_30default_config_static_selectorELNS0_4arch9wavefront6targetE1EEEvT1_ ; -- Begin function _ZN7rocprim17ROCPRIM_400000_NS6detail17trampoline_kernelINS0_14default_configENS1_25transform_config_selectorIaLb0EEEZNS1_14transform_implILb0ES3_S5_NS0_18transform_iteratorINS0_17counting_iteratorImlEEZNS1_24adjacent_difference_implIS3_Lb1ELb0EPaSB_N6thrust23THRUST_200600_302600_NS4plusIaEEEE10hipError_tPvRmT2_T3_mT4_P12ihipStream_tbEUlmE_aEESB_NS0_8identityIvEEEESG_SJ_SK_mSL_SN_bEUlT_E_NS1_11comp_targetILNS1_3genE10ELNS1_11target_archE1200ELNS1_3gpuE4ELNS1_3repE0EEENS1_30default_config_static_selectorELNS0_4arch9wavefront6targetE1EEEvT1_
	.globl	_ZN7rocprim17ROCPRIM_400000_NS6detail17trampoline_kernelINS0_14default_configENS1_25transform_config_selectorIaLb0EEEZNS1_14transform_implILb0ES3_S5_NS0_18transform_iteratorINS0_17counting_iteratorImlEEZNS1_24adjacent_difference_implIS3_Lb1ELb0EPaSB_N6thrust23THRUST_200600_302600_NS4plusIaEEEE10hipError_tPvRmT2_T3_mT4_P12ihipStream_tbEUlmE_aEESB_NS0_8identityIvEEEESG_SJ_SK_mSL_SN_bEUlT_E_NS1_11comp_targetILNS1_3genE10ELNS1_11target_archE1200ELNS1_3gpuE4ELNS1_3repE0EEENS1_30default_config_static_selectorELNS0_4arch9wavefront6targetE1EEEvT1_
	.p2align	8
	.type	_ZN7rocprim17ROCPRIM_400000_NS6detail17trampoline_kernelINS0_14default_configENS1_25transform_config_selectorIaLb0EEEZNS1_14transform_implILb0ES3_S5_NS0_18transform_iteratorINS0_17counting_iteratorImlEEZNS1_24adjacent_difference_implIS3_Lb1ELb0EPaSB_N6thrust23THRUST_200600_302600_NS4plusIaEEEE10hipError_tPvRmT2_T3_mT4_P12ihipStream_tbEUlmE_aEESB_NS0_8identityIvEEEESG_SJ_SK_mSL_SN_bEUlT_E_NS1_11comp_targetILNS1_3genE10ELNS1_11target_archE1200ELNS1_3gpuE4ELNS1_3repE0EEENS1_30default_config_static_selectorELNS0_4arch9wavefront6targetE1EEEvT1_,@function
_ZN7rocprim17ROCPRIM_400000_NS6detail17trampoline_kernelINS0_14default_configENS1_25transform_config_selectorIaLb0EEEZNS1_14transform_implILb0ES3_S5_NS0_18transform_iteratorINS0_17counting_iteratorImlEEZNS1_24adjacent_difference_implIS3_Lb1ELb0EPaSB_N6thrust23THRUST_200600_302600_NS4plusIaEEEE10hipError_tPvRmT2_T3_mT4_P12ihipStream_tbEUlmE_aEESB_NS0_8identityIvEEEESG_SJ_SK_mSL_SN_bEUlT_E_NS1_11comp_targetILNS1_3genE10ELNS1_11target_archE1200ELNS1_3gpuE4ELNS1_3repE0EEENS1_30default_config_static_selectorELNS0_4arch9wavefront6targetE1EEEvT1_: ; @_ZN7rocprim17ROCPRIM_400000_NS6detail17trampoline_kernelINS0_14default_configENS1_25transform_config_selectorIaLb0EEEZNS1_14transform_implILb0ES3_S5_NS0_18transform_iteratorINS0_17counting_iteratorImlEEZNS1_24adjacent_difference_implIS3_Lb1ELb0EPaSB_N6thrust23THRUST_200600_302600_NS4plusIaEEEE10hipError_tPvRmT2_T3_mT4_P12ihipStream_tbEUlmE_aEESB_NS0_8identityIvEEEESG_SJ_SK_mSL_SN_bEUlT_E_NS1_11comp_targetILNS1_3genE10ELNS1_11target_archE1200ELNS1_3gpuE4ELNS1_3repE0EEENS1_30default_config_static_selectorELNS0_4arch9wavefront6targetE1EEEvT1_
; %bb.0:
	.section	.rodata,"a",@progbits
	.p2align	6, 0x0
	.amdhsa_kernel _ZN7rocprim17ROCPRIM_400000_NS6detail17trampoline_kernelINS0_14default_configENS1_25transform_config_selectorIaLb0EEEZNS1_14transform_implILb0ES3_S5_NS0_18transform_iteratorINS0_17counting_iteratorImlEEZNS1_24adjacent_difference_implIS3_Lb1ELb0EPaSB_N6thrust23THRUST_200600_302600_NS4plusIaEEEE10hipError_tPvRmT2_T3_mT4_P12ihipStream_tbEUlmE_aEESB_NS0_8identityIvEEEESG_SJ_SK_mSL_SN_bEUlT_E_NS1_11comp_targetILNS1_3genE10ELNS1_11target_archE1200ELNS1_3gpuE4ELNS1_3repE0EEENS1_30default_config_static_selectorELNS0_4arch9wavefront6targetE1EEEvT1_
		.amdhsa_group_segment_fixed_size 0
		.amdhsa_private_segment_fixed_size 0
		.amdhsa_kernarg_size 56
		.amdhsa_user_sgpr_count 2
		.amdhsa_user_sgpr_dispatch_ptr 0
		.amdhsa_user_sgpr_queue_ptr 0
		.amdhsa_user_sgpr_kernarg_segment_ptr 1
		.amdhsa_user_sgpr_dispatch_id 0
		.amdhsa_user_sgpr_kernarg_preload_length 0
		.amdhsa_user_sgpr_kernarg_preload_offset 0
		.amdhsa_user_sgpr_private_segment_size 0
		.amdhsa_uses_dynamic_stack 0
		.amdhsa_enable_private_segment 0
		.amdhsa_system_sgpr_workgroup_id_x 1
		.amdhsa_system_sgpr_workgroup_id_y 0
		.amdhsa_system_sgpr_workgroup_id_z 0
		.amdhsa_system_sgpr_workgroup_info 0
		.amdhsa_system_vgpr_workitem_id 0
		.amdhsa_next_free_vgpr 1
		.amdhsa_next_free_sgpr 0
		.amdhsa_accum_offset 4
		.amdhsa_reserve_vcc 0
		.amdhsa_float_round_mode_32 0
		.amdhsa_float_round_mode_16_64 0
		.amdhsa_float_denorm_mode_32 3
		.amdhsa_float_denorm_mode_16_64 3
		.amdhsa_dx10_clamp 1
		.amdhsa_ieee_mode 1
		.amdhsa_fp16_overflow 0
		.amdhsa_tg_split 0
		.amdhsa_exception_fp_ieee_invalid_op 0
		.amdhsa_exception_fp_denorm_src 0
		.amdhsa_exception_fp_ieee_div_zero 0
		.amdhsa_exception_fp_ieee_overflow 0
		.amdhsa_exception_fp_ieee_underflow 0
		.amdhsa_exception_fp_ieee_inexact 0
		.amdhsa_exception_int_div_zero 0
	.end_amdhsa_kernel
	.section	.text._ZN7rocprim17ROCPRIM_400000_NS6detail17trampoline_kernelINS0_14default_configENS1_25transform_config_selectorIaLb0EEEZNS1_14transform_implILb0ES3_S5_NS0_18transform_iteratorINS0_17counting_iteratorImlEEZNS1_24adjacent_difference_implIS3_Lb1ELb0EPaSB_N6thrust23THRUST_200600_302600_NS4plusIaEEEE10hipError_tPvRmT2_T3_mT4_P12ihipStream_tbEUlmE_aEESB_NS0_8identityIvEEEESG_SJ_SK_mSL_SN_bEUlT_E_NS1_11comp_targetILNS1_3genE10ELNS1_11target_archE1200ELNS1_3gpuE4ELNS1_3repE0EEENS1_30default_config_static_selectorELNS0_4arch9wavefront6targetE1EEEvT1_,"axG",@progbits,_ZN7rocprim17ROCPRIM_400000_NS6detail17trampoline_kernelINS0_14default_configENS1_25transform_config_selectorIaLb0EEEZNS1_14transform_implILb0ES3_S5_NS0_18transform_iteratorINS0_17counting_iteratorImlEEZNS1_24adjacent_difference_implIS3_Lb1ELb0EPaSB_N6thrust23THRUST_200600_302600_NS4plusIaEEEE10hipError_tPvRmT2_T3_mT4_P12ihipStream_tbEUlmE_aEESB_NS0_8identityIvEEEESG_SJ_SK_mSL_SN_bEUlT_E_NS1_11comp_targetILNS1_3genE10ELNS1_11target_archE1200ELNS1_3gpuE4ELNS1_3repE0EEENS1_30default_config_static_selectorELNS0_4arch9wavefront6targetE1EEEvT1_,comdat
.Lfunc_end40:
	.size	_ZN7rocprim17ROCPRIM_400000_NS6detail17trampoline_kernelINS0_14default_configENS1_25transform_config_selectorIaLb0EEEZNS1_14transform_implILb0ES3_S5_NS0_18transform_iteratorINS0_17counting_iteratorImlEEZNS1_24adjacent_difference_implIS3_Lb1ELb0EPaSB_N6thrust23THRUST_200600_302600_NS4plusIaEEEE10hipError_tPvRmT2_T3_mT4_P12ihipStream_tbEUlmE_aEESB_NS0_8identityIvEEEESG_SJ_SK_mSL_SN_bEUlT_E_NS1_11comp_targetILNS1_3genE10ELNS1_11target_archE1200ELNS1_3gpuE4ELNS1_3repE0EEENS1_30default_config_static_selectorELNS0_4arch9wavefront6targetE1EEEvT1_, .Lfunc_end40-_ZN7rocprim17ROCPRIM_400000_NS6detail17trampoline_kernelINS0_14default_configENS1_25transform_config_selectorIaLb0EEEZNS1_14transform_implILb0ES3_S5_NS0_18transform_iteratorINS0_17counting_iteratorImlEEZNS1_24adjacent_difference_implIS3_Lb1ELb0EPaSB_N6thrust23THRUST_200600_302600_NS4plusIaEEEE10hipError_tPvRmT2_T3_mT4_P12ihipStream_tbEUlmE_aEESB_NS0_8identityIvEEEESG_SJ_SK_mSL_SN_bEUlT_E_NS1_11comp_targetILNS1_3genE10ELNS1_11target_archE1200ELNS1_3gpuE4ELNS1_3repE0EEENS1_30default_config_static_selectorELNS0_4arch9wavefront6targetE1EEEvT1_
                                        ; -- End function
	.section	.AMDGPU.csdata,"",@progbits
; Kernel info:
; codeLenInByte = 0
; NumSgprs: 6
; NumVgprs: 0
; NumAgprs: 0
; TotalNumVgprs: 0
; ScratchSize: 0
; MemoryBound: 0
; FloatMode: 240
; IeeeMode: 1
; LDSByteSize: 0 bytes/workgroup (compile time only)
; SGPRBlocks: 0
; VGPRBlocks: 0
; NumSGPRsForWavesPerEU: 6
; NumVGPRsForWavesPerEU: 1
; AccumOffset: 4
; Occupancy: 8
; WaveLimiterHint : 0
; COMPUTE_PGM_RSRC2:SCRATCH_EN: 0
; COMPUTE_PGM_RSRC2:USER_SGPR: 2
; COMPUTE_PGM_RSRC2:TRAP_HANDLER: 0
; COMPUTE_PGM_RSRC2:TGID_X_EN: 1
; COMPUTE_PGM_RSRC2:TGID_Y_EN: 0
; COMPUTE_PGM_RSRC2:TGID_Z_EN: 0
; COMPUTE_PGM_RSRC2:TIDIG_COMP_CNT: 0
; COMPUTE_PGM_RSRC3_GFX90A:ACCUM_OFFSET: 0
; COMPUTE_PGM_RSRC3_GFX90A:TG_SPLIT: 0
	.section	.text._ZN7rocprim17ROCPRIM_400000_NS6detail17trampoline_kernelINS0_14default_configENS1_25transform_config_selectorIaLb0EEEZNS1_14transform_implILb0ES3_S5_NS0_18transform_iteratorINS0_17counting_iteratorImlEEZNS1_24adjacent_difference_implIS3_Lb1ELb0EPaSB_N6thrust23THRUST_200600_302600_NS4plusIaEEEE10hipError_tPvRmT2_T3_mT4_P12ihipStream_tbEUlmE_aEESB_NS0_8identityIvEEEESG_SJ_SK_mSL_SN_bEUlT_E_NS1_11comp_targetILNS1_3genE9ELNS1_11target_archE1100ELNS1_3gpuE3ELNS1_3repE0EEENS1_30default_config_static_selectorELNS0_4arch9wavefront6targetE1EEEvT1_,"axG",@progbits,_ZN7rocprim17ROCPRIM_400000_NS6detail17trampoline_kernelINS0_14default_configENS1_25transform_config_selectorIaLb0EEEZNS1_14transform_implILb0ES3_S5_NS0_18transform_iteratorINS0_17counting_iteratorImlEEZNS1_24adjacent_difference_implIS3_Lb1ELb0EPaSB_N6thrust23THRUST_200600_302600_NS4plusIaEEEE10hipError_tPvRmT2_T3_mT4_P12ihipStream_tbEUlmE_aEESB_NS0_8identityIvEEEESG_SJ_SK_mSL_SN_bEUlT_E_NS1_11comp_targetILNS1_3genE9ELNS1_11target_archE1100ELNS1_3gpuE3ELNS1_3repE0EEENS1_30default_config_static_selectorELNS0_4arch9wavefront6targetE1EEEvT1_,comdat
	.protected	_ZN7rocprim17ROCPRIM_400000_NS6detail17trampoline_kernelINS0_14default_configENS1_25transform_config_selectorIaLb0EEEZNS1_14transform_implILb0ES3_S5_NS0_18transform_iteratorINS0_17counting_iteratorImlEEZNS1_24adjacent_difference_implIS3_Lb1ELb0EPaSB_N6thrust23THRUST_200600_302600_NS4plusIaEEEE10hipError_tPvRmT2_T3_mT4_P12ihipStream_tbEUlmE_aEESB_NS0_8identityIvEEEESG_SJ_SK_mSL_SN_bEUlT_E_NS1_11comp_targetILNS1_3genE9ELNS1_11target_archE1100ELNS1_3gpuE3ELNS1_3repE0EEENS1_30default_config_static_selectorELNS0_4arch9wavefront6targetE1EEEvT1_ ; -- Begin function _ZN7rocprim17ROCPRIM_400000_NS6detail17trampoline_kernelINS0_14default_configENS1_25transform_config_selectorIaLb0EEEZNS1_14transform_implILb0ES3_S5_NS0_18transform_iteratorINS0_17counting_iteratorImlEEZNS1_24adjacent_difference_implIS3_Lb1ELb0EPaSB_N6thrust23THRUST_200600_302600_NS4plusIaEEEE10hipError_tPvRmT2_T3_mT4_P12ihipStream_tbEUlmE_aEESB_NS0_8identityIvEEEESG_SJ_SK_mSL_SN_bEUlT_E_NS1_11comp_targetILNS1_3genE9ELNS1_11target_archE1100ELNS1_3gpuE3ELNS1_3repE0EEENS1_30default_config_static_selectorELNS0_4arch9wavefront6targetE1EEEvT1_
	.globl	_ZN7rocprim17ROCPRIM_400000_NS6detail17trampoline_kernelINS0_14default_configENS1_25transform_config_selectorIaLb0EEEZNS1_14transform_implILb0ES3_S5_NS0_18transform_iteratorINS0_17counting_iteratorImlEEZNS1_24adjacent_difference_implIS3_Lb1ELb0EPaSB_N6thrust23THRUST_200600_302600_NS4plusIaEEEE10hipError_tPvRmT2_T3_mT4_P12ihipStream_tbEUlmE_aEESB_NS0_8identityIvEEEESG_SJ_SK_mSL_SN_bEUlT_E_NS1_11comp_targetILNS1_3genE9ELNS1_11target_archE1100ELNS1_3gpuE3ELNS1_3repE0EEENS1_30default_config_static_selectorELNS0_4arch9wavefront6targetE1EEEvT1_
	.p2align	8
	.type	_ZN7rocprim17ROCPRIM_400000_NS6detail17trampoline_kernelINS0_14default_configENS1_25transform_config_selectorIaLb0EEEZNS1_14transform_implILb0ES3_S5_NS0_18transform_iteratorINS0_17counting_iteratorImlEEZNS1_24adjacent_difference_implIS3_Lb1ELb0EPaSB_N6thrust23THRUST_200600_302600_NS4plusIaEEEE10hipError_tPvRmT2_T3_mT4_P12ihipStream_tbEUlmE_aEESB_NS0_8identityIvEEEESG_SJ_SK_mSL_SN_bEUlT_E_NS1_11comp_targetILNS1_3genE9ELNS1_11target_archE1100ELNS1_3gpuE3ELNS1_3repE0EEENS1_30default_config_static_selectorELNS0_4arch9wavefront6targetE1EEEvT1_,@function
_ZN7rocprim17ROCPRIM_400000_NS6detail17trampoline_kernelINS0_14default_configENS1_25transform_config_selectorIaLb0EEEZNS1_14transform_implILb0ES3_S5_NS0_18transform_iteratorINS0_17counting_iteratorImlEEZNS1_24adjacent_difference_implIS3_Lb1ELb0EPaSB_N6thrust23THRUST_200600_302600_NS4plusIaEEEE10hipError_tPvRmT2_T3_mT4_P12ihipStream_tbEUlmE_aEESB_NS0_8identityIvEEEESG_SJ_SK_mSL_SN_bEUlT_E_NS1_11comp_targetILNS1_3genE9ELNS1_11target_archE1100ELNS1_3gpuE3ELNS1_3repE0EEENS1_30default_config_static_selectorELNS0_4arch9wavefront6targetE1EEEvT1_: ; @_ZN7rocprim17ROCPRIM_400000_NS6detail17trampoline_kernelINS0_14default_configENS1_25transform_config_selectorIaLb0EEEZNS1_14transform_implILb0ES3_S5_NS0_18transform_iteratorINS0_17counting_iteratorImlEEZNS1_24adjacent_difference_implIS3_Lb1ELb0EPaSB_N6thrust23THRUST_200600_302600_NS4plusIaEEEE10hipError_tPvRmT2_T3_mT4_P12ihipStream_tbEUlmE_aEESB_NS0_8identityIvEEEESG_SJ_SK_mSL_SN_bEUlT_E_NS1_11comp_targetILNS1_3genE9ELNS1_11target_archE1100ELNS1_3gpuE3ELNS1_3repE0EEENS1_30default_config_static_selectorELNS0_4arch9wavefront6targetE1EEEvT1_
; %bb.0:
	.section	.rodata,"a",@progbits
	.p2align	6, 0x0
	.amdhsa_kernel _ZN7rocprim17ROCPRIM_400000_NS6detail17trampoline_kernelINS0_14default_configENS1_25transform_config_selectorIaLb0EEEZNS1_14transform_implILb0ES3_S5_NS0_18transform_iteratorINS0_17counting_iteratorImlEEZNS1_24adjacent_difference_implIS3_Lb1ELb0EPaSB_N6thrust23THRUST_200600_302600_NS4plusIaEEEE10hipError_tPvRmT2_T3_mT4_P12ihipStream_tbEUlmE_aEESB_NS0_8identityIvEEEESG_SJ_SK_mSL_SN_bEUlT_E_NS1_11comp_targetILNS1_3genE9ELNS1_11target_archE1100ELNS1_3gpuE3ELNS1_3repE0EEENS1_30default_config_static_selectorELNS0_4arch9wavefront6targetE1EEEvT1_
		.amdhsa_group_segment_fixed_size 0
		.amdhsa_private_segment_fixed_size 0
		.amdhsa_kernarg_size 56
		.amdhsa_user_sgpr_count 2
		.amdhsa_user_sgpr_dispatch_ptr 0
		.amdhsa_user_sgpr_queue_ptr 0
		.amdhsa_user_sgpr_kernarg_segment_ptr 1
		.amdhsa_user_sgpr_dispatch_id 0
		.amdhsa_user_sgpr_kernarg_preload_length 0
		.amdhsa_user_sgpr_kernarg_preload_offset 0
		.amdhsa_user_sgpr_private_segment_size 0
		.amdhsa_uses_dynamic_stack 0
		.amdhsa_enable_private_segment 0
		.amdhsa_system_sgpr_workgroup_id_x 1
		.amdhsa_system_sgpr_workgroup_id_y 0
		.amdhsa_system_sgpr_workgroup_id_z 0
		.amdhsa_system_sgpr_workgroup_info 0
		.amdhsa_system_vgpr_workitem_id 0
		.amdhsa_next_free_vgpr 1
		.amdhsa_next_free_sgpr 0
		.amdhsa_accum_offset 4
		.amdhsa_reserve_vcc 0
		.amdhsa_float_round_mode_32 0
		.amdhsa_float_round_mode_16_64 0
		.amdhsa_float_denorm_mode_32 3
		.amdhsa_float_denorm_mode_16_64 3
		.amdhsa_dx10_clamp 1
		.amdhsa_ieee_mode 1
		.amdhsa_fp16_overflow 0
		.amdhsa_tg_split 0
		.amdhsa_exception_fp_ieee_invalid_op 0
		.amdhsa_exception_fp_denorm_src 0
		.amdhsa_exception_fp_ieee_div_zero 0
		.amdhsa_exception_fp_ieee_overflow 0
		.amdhsa_exception_fp_ieee_underflow 0
		.amdhsa_exception_fp_ieee_inexact 0
		.amdhsa_exception_int_div_zero 0
	.end_amdhsa_kernel
	.section	.text._ZN7rocprim17ROCPRIM_400000_NS6detail17trampoline_kernelINS0_14default_configENS1_25transform_config_selectorIaLb0EEEZNS1_14transform_implILb0ES3_S5_NS0_18transform_iteratorINS0_17counting_iteratorImlEEZNS1_24adjacent_difference_implIS3_Lb1ELb0EPaSB_N6thrust23THRUST_200600_302600_NS4plusIaEEEE10hipError_tPvRmT2_T3_mT4_P12ihipStream_tbEUlmE_aEESB_NS0_8identityIvEEEESG_SJ_SK_mSL_SN_bEUlT_E_NS1_11comp_targetILNS1_3genE9ELNS1_11target_archE1100ELNS1_3gpuE3ELNS1_3repE0EEENS1_30default_config_static_selectorELNS0_4arch9wavefront6targetE1EEEvT1_,"axG",@progbits,_ZN7rocprim17ROCPRIM_400000_NS6detail17trampoline_kernelINS0_14default_configENS1_25transform_config_selectorIaLb0EEEZNS1_14transform_implILb0ES3_S5_NS0_18transform_iteratorINS0_17counting_iteratorImlEEZNS1_24adjacent_difference_implIS3_Lb1ELb0EPaSB_N6thrust23THRUST_200600_302600_NS4plusIaEEEE10hipError_tPvRmT2_T3_mT4_P12ihipStream_tbEUlmE_aEESB_NS0_8identityIvEEEESG_SJ_SK_mSL_SN_bEUlT_E_NS1_11comp_targetILNS1_3genE9ELNS1_11target_archE1100ELNS1_3gpuE3ELNS1_3repE0EEENS1_30default_config_static_selectorELNS0_4arch9wavefront6targetE1EEEvT1_,comdat
.Lfunc_end41:
	.size	_ZN7rocprim17ROCPRIM_400000_NS6detail17trampoline_kernelINS0_14default_configENS1_25transform_config_selectorIaLb0EEEZNS1_14transform_implILb0ES3_S5_NS0_18transform_iteratorINS0_17counting_iteratorImlEEZNS1_24adjacent_difference_implIS3_Lb1ELb0EPaSB_N6thrust23THRUST_200600_302600_NS4plusIaEEEE10hipError_tPvRmT2_T3_mT4_P12ihipStream_tbEUlmE_aEESB_NS0_8identityIvEEEESG_SJ_SK_mSL_SN_bEUlT_E_NS1_11comp_targetILNS1_3genE9ELNS1_11target_archE1100ELNS1_3gpuE3ELNS1_3repE0EEENS1_30default_config_static_selectorELNS0_4arch9wavefront6targetE1EEEvT1_, .Lfunc_end41-_ZN7rocprim17ROCPRIM_400000_NS6detail17trampoline_kernelINS0_14default_configENS1_25transform_config_selectorIaLb0EEEZNS1_14transform_implILb0ES3_S5_NS0_18transform_iteratorINS0_17counting_iteratorImlEEZNS1_24adjacent_difference_implIS3_Lb1ELb0EPaSB_N6thrust23THRUST_200600_302600_NS4plusIaEEEE10hipError_tPvRmT2_T3_mT4_P12ihipStream_tbEUlmE_aEESB_NS0_8identityIvEEEESG_SJ_SK_mSL_SN_bEUlT_E_NS1_11comp_targetILNS1_3genE9ELNS1_11target_archE1100ELNS1_3gpuE3ELNS1_3repE0EEENS1_30default_config_static_selectorELNS0_4arch9wavefront6targetE1EEEvT1_
                                        ; -- End function
	.section	.AMDGPU.csdata,"",@progbits
; Kernel info:
; codeLenInByte = 0
; NumSgprs: 6
; NumVgprs: 0
; NumAgprs: 0
; TotalNumVgprs: 0
; ScratchSize: 0
; MemoryBound: 0
; FloatMode: 240
; IeeeMode: 1
; LDSByteSize: 0 bytes/workgroup (compile time only)
; SGPRBlocks: 0
; VGPRBlocks: 0
; NumSGPRsForWavesPerEU: 6
; NumVGPRsForWavesPerEU: 1
; AccumOffset: 4
; Occupancy: 8
; WaveLimiterHint : 0
; COMPUTE_PGM_RSRC2:SCRATCH_EN: 0
; COMPUTE_PGM_RSRC2:USER_SGPR: 2
; COMPUTE_PGM_RSRC2:TRAP_HANDLER: 0
; COMPUTE_PGM_RSRC2:TGID_X_EN: 1
; COMPUTE_PGM_RSRC2:TGID_Y_EN: 0
; COMPUTE_PGM_RSRC2:TGID_Z_EN: 0
; COMPUTE_PGM_RSRC2:TIDIG_COMP_CNT: 0
; COMPUTE_PGM_RSRC3_GFX90A:ACCUM_OFFSET: 0
; COMPUTE_PGM_RSRC3_GFX90A:TG_SPLIT: 0
	.section	.text._ZN7rocprim17ROCPRIM_400000_NS6detail17trampoline_kernelINS0_14default_configENS1_25transform_config_selectorIaLb0EEEZNS1_14transform_implILb0ES3_S5_NS0_18transform_iteratorINS0_17counting_iteratorImlEEZNS1_24adjacent_difference_implIS3_Lb1ELb0EPaSB_N6thrust23THRUST_200600_302600_NS4plusIaEEEE10hipError_tPvRmT2_T3_mT4_P12ihipStream_tbEUlmE_aEESB_NS0_8identityIvEEEESG_SJ_SK_mSL_SN_bEUlT_E_NS1_11comp_targetILNS1_3genE8ELNS1_11target_archE1030ELNS1_3gpuE2ELNS1_3repE0EEENS1_30default_config_static_selectorELNS0_4arch9wavefront6targetE1EEEvT1_,"axG",@progbits,_ZN7rocprim17ROCPRIM_400000_NS6detail17trampoline_kernelINS0_14default_configENS1_25transform_config_selectorIaLb0EEEZNS1_14transform_implILb0ES3_S5_NS0_18transform_iteratorINS0_17counting_iteratorImlEEZNS1_24adjacent_difference_implIS3_Lb1ELb0EPaSB_N6thrust23THRUST_200600_302600_NS4plusIaEEEE10hipError_tPvRmT2_T3_mT4_P12ihipStream_tbEUlmE_aEESB_NS0_8identityIvEEEESG_SJ_SK_mSL_SN_bEUlT_E_NS1_11comp_targetILNS1_3genE8ELNS1_11target_archE1030ELNS1_3gpuE2ELNS1_3repE0EEENS1_30default_config_static_selectorELNS0_4arch9wavefront6targetE1EEEvT1_,comdat
	.protected	_ZN7rocprim17ROCPRIM_400000_NS6detail17trampoline_kernelINS0_14default_configENS1_25transform_config_selectorIaLb0EEEZNS1_14transform_implILb0ES3_S5_NS0_18transform_iteratorINS0_17counting_iteratorImlEEZNS1_24adjacent_difference_implIS3_Lb1ELb0EPaSB_N6thrust23THRUST_200600_302600_NS4plusIaEEEE10hipError_tPvRmT2_T3_mT4_P12ihipStream_tbEUlmE_aEESB_NS0_8identityIvEEEESG_SJ_SK_mSL_SN_bEUlT_E_NS1_11comp_targetILNS1_3genE8ELNS1_11target_archE1030ELNS1_3gpuE2ELNS1_3repE0EEENS1_30default_config_static_selectorELNS0_4arch9wavefront6targetE1EEEvT1_ ; -- Begin function _ZN7rocprim17ROCPRIM_400000_NS6detail17trampoline_kernelINS0_14default_configENS1_25transform_config_selectorIaLb0EEEZNS1_14transform_implILb0ES3_S5_NS0_18transform_iteratorINS0_17counting_iteratorImlEEZNS1_24adjacent_difference_implIS3_Lb1ELb0EPaSB_N6thrust23THRUST_200600_302600_NS4plusIaEEEE10hipError_tPvRmT2_T3_mT4_P12ihipStream_tbEUlmE_aEESB_NS0_8identityIvEEEESG_SJ_SK_mSL_SN_bEUlT_E_NS1_11comp_targetILNS1_3genE8ELNS1_11target_archE1030ELNS1_3gpuE2ELNS1_3repE0EEENS1_30default_config_static_selectorELNS0_4arch9wavefront6targetE1EEEvT1_
	.globl	_ZN7rocprim17ROCPRIM_400000_NS6detail17trampoline_kernelINS0_14default_configENS1_25transform_config_selectorIaLb0EEEZNS1_14transform_implILb0ES3_S5_NS0_18transform_iteratorINS0_17counting_iteratorImlEEZNS1_24adjacent_difference_implIS3_Lb1ELb0EPaSB_N6thrust23THRUST_200600_302600_NS4plusIaEEEE10hipError_tPvRmT2_T3_mT4_P12ihipStream_tbEUlmE_aEESB_NS0_8identityIvEEEESG_SJ_SK_mSL_SN_bEUlT_E_NS1_11comp_targetILNS1_3genE8ELNS1_11target_archE1030ELNS1_3gpuE2ELNS1_3repE0EEENS1_30default_config_static_selectorELNS0_4arch9wavefront6targetE1EEEvT1_
	.p2align	8
	.type	_ZN7rocprim17ROCPRIM_400000_NS6detail17trampoline_kernelINS0_14default_configENS1_25transform_config_selectorIaLb0EEEZNS1_14transform_implILb0ES3_S5_NS0_18transform_iteratorINS0_17counting_iteratorImlEEZNS1_24adjacent_difference_implIS3_Lb1ELb0EPaSB_N6thrust23THRUST_200600_302600_NS4plusIaEEEE10hipError_tPvRmT2_T3_mT4_P12ihipStream_tbEUlmE_aEESB_NS0_8identityIvEEEESG_SJ_SK_mSL_SN_bEUlT_E_NS1_11comp_targetILNS1_3genE8ELNS1_11target_archE1030ELNS1_3gpuE2ELNS1_3repE0EEENS1_30default_config_static_selectorELNS0_4arch9wavefront6targetE1EEEvT1_,@function
_ZN7rocprim17ROCPRIM_400000_NS6detail17trampoline_kernelINS0_14default_configENS1_25transform_config_selectorIaLb0EEEZNS1_14transform_implILb0ES3_S5_NS0_18transform_iteratorINS0_17counting_iteratorImlEEZNS1_24adjacent_difference_implIS3_Lb1ELb0EPaSB_N6thrust23THRUST_200600_302600_NS4plusIaEEEE10hipError_tPvRmT2_T3_mT4_P12ihipStream_tbEUlmE_aEESB_NS0_8identityIvEEEESG_SJ_SK_mSL_SN_bEUlT_E_NS1_11comp_targetILNS1_3genE8ELNS1_11target_archE1030ELNS1_3gpuE2ELNS1_3repE0EEENS1_30default_config_static_selectorELNS0_4arch9wavefront6targetE1EEEvT1_: ; @_ZN7rocprim17ROCPRIM_400000_NS6detail17trampoline_kernelINS0_14default_configENS1_25transform_config_selectorIaLb0EEEZNS1_14transform_implILb0ES3_S5_NS0_18transform_iteratorINS0_17counting_iteratorImlEEZNS1_24adjacent_difference_implIS3_Lb1ELb0EPaSB_N6thrust23THRUST_200600_302600_NS4plusIaEEEE10hipError_tPvRmT2_T3_mT4_P12ihipStream_tbEUlmE_aEESB_NS0_8identityIvEEEESG_SJ_SK_mSL_SN_bEUlT_E_NS1_11comp_targetILNS1_3genE8ELNS1_11target_archE1030ELNS1_3gpuE2ELNS1_3repE0EEENS1_30default_config_static_selectorELNS0_4arch9wavefront6targetE1EEEvT1_
; %bb.0:
	.section	.rodata,"a",@progbits
	.p2align	6, 0x0
	.amdhsa_kernel _ZN7rocprim17ROCPRIM_400000_NS6detail17trampoline_kernelINS0_14default_configENS1_25transform_config_selectorIaLb0EEEZNS1_14transform_implILb0ES3_S5_NS0_18transform_iteratorINS0_17counting_iteratorImlEEZNS1_24adjacent_difference_implIS3_Lb1ELb0EPaSB_N6thrust23THRUST_200600_302600_NS4plusIaEEEE10hipError_tPvRmT2_T3_mT4_P12ihipStream_tbEUlmE_aEESB_NS0_8identityIvEEEESG_SJ_SK_mSL_SN_bEUlT_E_NS1_11comp_targetILNS1_3genE8ELNS1_11target_archE1030ELNS1_3gpuE2ELNS1_3repE0EEENS1_30default_config_static_selectorELNS0_4arch9wavefront6targetE1EEEvT1_
		.amdhsa_group_segment_fixed_size 0
		.amdhsa_private_segment_fixed_size 0
		.amdhsa_kernarg_size 56
		.amdhsa_user_sgpr_count 2
		.amdhsa_user_sgpr_dispatch_ptr 0
		.amdhsa_user_sgpr_queue_ptr 0
		.amdhsa_user_sgpr_kernarg_segment_ptr 1
		.amdhsa_user_sgpr_dispatch_id 0
		.amdhsa_user_sgpr_kernarg_preload_length 0
		.amdhsa_user_sgpr_kernarg_preload_offset 0
		.amdhsa_user_sgpr_private_segment_size 0
		.amdhsa_uses_dynamic_stack 0
		.amdhsa_enable_private_segment 0
		.amdhsa_system_sgpr_workgroup_id_x 1
		.amdhsa_system_sgpr_workgroup_id_y 0
		.amdhsa_system_sgpr_workgroup_id_z 0
		.amdhsa_system_sgpr_workgroup_info 0
		.amdhsa_system_vgpr_workitem_id 0
		.amdhsa_next_free_vgpr 1
		.amdhsa_next_free_sgpr 0
		.amdhsa_accum_offset 4
		.amdhsa_reserve_vcc 0
		.amdhsa_float_round_mode_32 0
		.amdhsa_float_round_mode_16_64 0
		.amdhsa_float_denorm_mode_32 3
		.amdhsa_float_denorm_mode_16_64 3
		.amdhsa_dx10_clamp 1
		.amdhsa_ieee_mode 1
		.amdhsa_fp16_overflow 0
		.amdhsa_tg_split 0
		.amdhsa_exception_fp_ieee_invalid_op 0
		.amdhsa_exception_fp_denorm_src 0
		.amdhsa_exception_fp_ieee_div_zero 0
		.amdhsa_exception_fp_ieee_overflow 0
		.amdhsa_exception_fp_ieee_underflow 0
		.amdhsa_exception_fp_ieee_inexact 0
		.amdhsa_exception_int_div_zero 0
	.end_amdhsa_kernel
	.section	.text._ZN7rocprim17ROCPRIM_400000_NS6detail17trampoline_kernelINS0_14default_configENS1_25transform_config_selectorIaLb0EEEZNS1_14transform_implILb0ES3_S5_NS0_18transform_iteratorINS0_17counting_iteratorImlEEZNS1_24adjacent_difference_implIS3_Lb1ELb0EPaSB_N6thrust23THRUST_200600_302600_NS4plusIaEEEE10hipError_tPvRmT2_T3_mT4_P12ihipStream_tbEUlmE_aEESB_NS0_8identityIvEEEESG_SJ_SK_mSL_SN_bEUlT_E_NS1_11comp_targetILNS1_3genE8ELNS1_11target_archE1030ELNS1_3gpuE2ELNS1_3repE0EEENS1_30default_config_static_selectorELNS0_4arch9wavefront6targetE1EEEvT1_,"axG",@progbits,_ZN7rocprim17ROCPRIM_400000_NS6detail17trampoline_kernelINS0_14default_configENS1_25transform_config_selectorIaLb0EEEZNS1_14transform_implILb0ES3_S5_NS0_18transform_iteratorINS0_17counting_iteratorImlEEZNS1_24adjacent_difference_implIS3_Lb1ELb0EPaSB_N6thrust23THRUST_200600_302600_NS4plusIaEEEE10hipError_tPvRmT2_T3_mT4_P12ihipStream_tbEUlmE_aEESB_NS0_8identityIvEEEESG_SJ_SK_mSL_SN_bEUlT_E_NS1_11comp_targetILNS1_3genE8ELNS1_11target_archE1030ELNS1_3gpuE2ELNS1_3repE0EEENS1_30default_config_static_selectorELNS0_4arch9wavefront6targetE1EEEvT1_,comdat
.Lfunc_end42:
	.size	_ZN7rocprim17ROCPRIM_400000_NS6detail17trampoline_kernelINS0_14default_configENS1_25transform_config_selectorIaLb0EEEZNS1_14transform_implILb0ES3_S5_NS0_18transform_iteratorINS0_17counting_iteratorImlEEZNS1_24adjacent_difference_implIS3_Lb1ELb0EPaSB_N6thrust23THRUST_200600_302600_NS4plusIaEEEE10hipError_tPvRmT2_T3_mT4_P12ihipStream_tbEUlmE_aEESB_NS0_8identityIvEEEESG_SJ_SK_mSL_SN_bEUlT_E_NS1_11comp_targetILNS1_3genE8ELNS1_11target_archE1030ELNS1_3gpuE2ELNS1_3repE0EEENS1_30default_config_static_selectorELNS0_4arch9wavefront6targetE1EEEvT1_, .Lfunc_end42-_ZN7rocprim17ROCPRIM_400000_NS6detail17trampoline_kernelINS0_14default_configENS1_25transform_config_selectorIaLb0EEEZNS1_14transform_implILb0ES3_S5_NS0_18transform_iteratorINS0_17counting_iteratorImlEEZNS1_24adjacent_difference_implIS3_Lb1ELb0EPaSB_N6thrust23THRUST_200600_302600_NS4plusIaEEEE10hipError_tPvRmT2_T3_mT4_P12ihipStream_tbEUlmE_aEESB_NS0_8identityIvEEEESG_SJ_SK_mSL_SN_bEUlT_E_NS1_11comp_targetILNS1_3genE8ELNS1_11target_archE1030ELNS1_3gpuE2ELNS1_3repE0EEENS1_30default_config_static_selectorELNS0_4arch9wavefront6targetE1EEEvT1_
                                        ; -- End function
	.section	.AMDGPU.csdata,"",@progbits
; Kernel info:
; codeLenInByte = 0
; NumSgprs: 6
; NumVgprs: 0
; NumAgprs: 0
; TotalNumVgprs: 0
; ScratchSize: 0
; MemoryBound: 0
; FloatMode: 240
; IeeeMode: 1
; LDSByteSize: 0 bytes/workgroup (compile time only)
; SGPRBlocks: 0
; VGPRBlocks: 0
; NumSGPRsForWavesPerEU: 6
; NumVGPRsForWavesPerEU: 1
; AccumOffset: 4
; Occupancy: 8
; WaveLimiterHint : 0
; COMPUTE_PGM_RSRC2:SCRATCH_EN: 0
; COMPUTE_PGM_RSRC2:USER_SGPR: 2
; COMPUTE_PGM_RSRC2:TRAP_HANDLER: 0
; COMPUTE_PGM_RSRC2:TGID_X_EN: 1
; COMPUTE_PGM_RSRC2:TGID_Y_EN: 0
; COMPUTE_PGM_RSRC2:TGID_Z_EN: 0
; COMPUTE_PGM_RSRC2:TIDIG_COMP_CNT: 0
; COMPUTE_PGM_RSRC3_GFX90A:ACCUM_OFFSET: 0
; COMPUTE_PGM_RSRC3_GFX90A:TG_SPLIT: 0
	.section	.text._ZN7rocprim17ROCPRIM_400000_NS6detail17trampoline_kernelINS0_14default_configENS1_35adjacent_difference_config_selectorILb1EaEEZNS1_24adjacent_difference_implIS3_Lb1ELb0EPaS7_N6thrust23THRUST_200600_302600_NS4plusIaEEEE10hipError_tPvRmT2_T3_mT4_P12ihipStream_tbEUlT_E_NS1_11comp_targetILNS1_3genE0ELNS1_11target_archE4294967295ELNS1_3gpuE0ELNS1_3repE0EEENS1_30default_config_static_selectorELNS0_4arch9wavefront6targetE1EEEvT1_,"axG",@progbits,_ZN7rocprim17ROCPRIM_400000_NS6detail17trampoline_kernelINS0_14default_configENS1_35adjacent_difference_config_selectorILb1EaEEZNS1_24adjacent_difference_implIS3_Lb1ELb0EPaS7_N6thrust23THRUST_200600_302600_NS4plusIaEEEE10hipError_tPvRmT2_T3_mT4_P12ihipStream_tbEUlT_E_NS1_11comp_targetILNS1_3genE0ELNS1_11target_archE4294967295ELNS1_3gpuE0ELNS1_3repE0EEENS1_30default_config_static_selectorELNS0_4arch9wavefront6targetE1EEEvT1_,comdat
	.protected	_ZN7rocprim17ROCPRIM_400000_NS6detail17trampoline_kernelINS0_14default_configENS1_35adjacent_difference_config_selectorILb1EaEEZNS1_24adjacent_difference_implIS3_Lb1ELb0EPaS7_N6thrust23THRUST_200600_302600_NS4plusIaEEEE10hipError_tPvRmT2_T3_mT4_P12ihipStream_tbEUlT_E_NS1_11comp_targetILNS1_3genE0ELNS1_11target_archE4294967295ELNS1_3gpuE0ELNS1_3repE0EEENS1_30default_config_static_selectorELNS0_4arch9wavefront6targetE1EEEvT1_ ; -- Begin function _ZN7rocprim17ROCPRIM_400000_NS6detail17trampoline_kernelINS0_14default_configENS1_35adjacent_difference_config_selectorILb1EaEEZNS1_24adjacent_difference_implIS3_Lb1ELb0EPaS7_N6thrust23THRUST_200600_302600_NS4plusIaEEEE10hipError_tPvRmT2_T3_mT4_P12ihipStream_tbEUlT_E_NS1_11comp_targetILNS1_3genE0ELNS1_11target_archE4294967295ELNS1_3gpuE0ELNS1_3repE0EEENS1_30default_config_static_selectorELNS0_4arch9wavefront6targetE1EEEvT1_
	.globl	_ZN7rocprim17ROCPRIM_400000_NS6detail17trampoline_kernelINS0_14default_configENS1_35adjacent_difference_config_selectorILb1EaEEZNS1_24adjacent_difference_implIS3_Lb1ELb0EPaS7_N6thrust23THRUST_200600_302600_NS4plusIaEEEE10hipError_tPvRmT2_T3_mT4_P12ihipStream_tbEUlT_E_NS1_11comp_targetILNS1_3genE0ELNS1_11target_archE4294967295ELNS1_3gpuE0ELNS1_3repE0EEENS1_30default_config_static_selectorELNS0_4arch9wavefront6targetE1EEEvT1_
	.p2align	8
	.type	_ZN7rocprim17ROCPRIM_400000_NS6detail17trampoline_kernelINS0_14default_configENS1_35adjacent_difference_config_selectorILb1EaEEZNS1_24adjacent_difference_implIS3_Lb1ELb0EPaS7_N6thrust23THRUST_200600_302600_NS4plusIaEEEE10hipError_tPvRmT2_T3_mT4_P12ihipStream_tbEUlT_E_NS1_11comp_targetILNS1_3genE0ELNS1_11target_archE4294967295ELNS1_3gpuE0ELNS1_3repE0EEENS1_30default_config_static_selectorELNS0_4arch9wavefront6targetE1EEEvT1_,@function
_ZN7rocprim17ROCPRIM_400000_NS6detail17trampoline_kernelINS0_14default_configENS1_35adjacent_difference_config_selectorILb1EaEEZNS1_24adjacent_difference_implIS3_Lb1ELb0EPaS7_N6thrust23THRUST_200600_302600_NS4plusIaEEEE10hipError_tPvRmT2_T3_mT4_P12ihipStream_tbEUlT_E_NS1_11comp_targetILNS1_3genE0ELNS1_11target_archE4294967295ELNS1_3gpuE0ELNS1_3repE0EEENS1_30default_config_static_selectorELNS0_4arch9wavefront6targetE1EEEvT1_: ; @_ZN7rocprim17ROCPRIM_400000_NS6detail17trampoline_kernelINS0_14default_configENS1_35adjacent_difference_config_selectorILb1EaEEZNS1_24adjacent_difference_implIS3_Lb1ELb0EPaS7_N6thrust23THRUST_200600_302600_NS4plusIaEEEE10hipError_tPvRmT2_T3_mT4_P12ihipStream_tbEUlT_E_NS1_11comp_targetILNS1_3genE0ELNS1_11target_archE4294967295ELNS1_3gpuE0ELNS1_3repE0EEENS1_30default_config_static_selectorELNS0_4arch9wavefront6targetE1EEEvT1_
; %bb.0:
	.section	.rodata,"a",@progbits
	.p2align	6, 0x0
	.amdhsa_kernel _ZN7rocprim17ROCPRIM_400000_NS6detail17trampoline_kernelINS0_14default_configENS1_35adjacent_difference_config_selectorILb1EaEEZNS1_24adjacent_difference_implIS3_Lb1ELb0EPaS7_N6thrust23THRUST_200600_302600_NS4plusIaEEEE10hipError_tPvRmT2_T3_mT4_P12ihipStream_tbEUlT_E_NS1_11comp_targetILNS1_3genE0ELNS1_11target_archE4294967295ELNS1_3gpuE0ELNS1_3repE0EEENS1_30default_config_static_selectorELNS0_4arch9wavefront6targetE1EEEvT1_
		.amdhsa_group_segment_fixed_size 0
		.amdhsa_private_segment_fixed_size 0
		.amdhsa_kernarg_size 56
		.amdhsa_user_sgpr_count 2
		.amdhsa_user_sgpr_dispatch_ptr 0
		.amdhsa_user_sgpr_queue_ptr 0
		.amdhsa_user_sgpr_kernarg_segment_ptr 1
		.amdhsa_user_sgpr_dispatch_id 0
		.amdhsa_user_sgpr_kernarg_preload_length 0
		.amdhsa_user_sgpr_kernarg_preload_offset 0
		.amdhsa_user_sgpr_private_segment_size 0
		.amdhsa_uses_dynamic_stack 0
		.amdhsa_enable_private_segment 0
		.amdhsa_system_sgpr_workgroup_id_x 1
		.amdhsa_system_sgpr_workgroup_id_y 0
		.amdhsa_system_sgpr_workgroup_id_z 0
		.amdhsa_system_sgpr_workgroup_info 0
		.amdhsa_system_vgpr_workitem_id 0
		.amdhsa_next_free_vgpr 1
		.amdhsa_next_free_sgpr 0
		.amdhsa_accum_offset 4
		.amdhsa_reserve_vcc 0
		.amdhsa_float_round_mode_32 0
		.amdhsa_float_round_mode_16_64 0
		.amdhsa_float_denorm_mode_32 3
		.amdhsa_float_denorm_mode_16_64 3
		.amdhsa_dx10_clamp 1
		.amdhsa_ieee_mode 1
		.amdhsa_fp16_overflow 0
		.amdhsa_tg_split 0
		.amdhsa_exception_fp_ieee_invalid_op 0
		.amdhsa_exception_fp_denorm_src 0
		.amdhsa_exception_fp_ieee_div_zero 0
		.amdhsa_exception_fp_ieee_overflow 0
		.amdhsa_exception_fp_ieee_underflow 0
		.amdhsa_exception_fp_ieee_inexact 0
		.amdhsa_exception_int_div_zero 0
	.end_amdhsa_kernel
	.section	.text._ZN7rocprim17ROCPRIM_400000_NS6detail17trampoline_kernelINS0_14default_configENS1_35adjacent_difference_config_selectorILb1EaEEZNS1_24adjacent_difference_implIS3_Lb1ELb0EPaS7_N6thrust23THRUST_200600_302600_NS4plusIaEEEE10hipError_tPvRmT2_T3_mT4_P12ihipStream_tbEUlT_E_NS1_11comp_targetILNS1_3genE0ELNS1_11target_archE4294967295ELNS1_3gpuE0ELNS1_3repE0EEENS1_30default_config_static_selectorELNS0_4arch9wavefront6targetE1EEEvT1_,"axG",@progbits,_ZN7rocprim17ROCPRIM_400000_NS6detail17trampoline_kernelINS0_14default_configENS1_35adjacent_difference_config_selectorILb1EaEEZNS1_24adjacent_difference_implIS3_Lb1ELb0EPaS7_N6thrust23THRUST_200600_302600_NS4plusIaEEEE10hipError_tPvRmT2_T3_mT4_P12ihipStream_tbEUlT_E_NS1_11comp_targetILNS1_3genE0ELNS1_11target_archE4294967295ELNS1_3gpuE0ELNS1_3repE0EEENS1_30default_config_static_selectorELNS0_4arch9wavefront6targetE1EEEvT1_,comdat
.Lfunc_end43:
	.size	_ZN7rocprim17ROCPRIM_400000_NS6detail17trampoline_kernelINS0_14default_configENS1_35adjacent_difference_config_selectorILb1EaEEZNS1_24adjacent_difference_implIS3_Lb1ELb0EPaS7_N6thrust23THRUST_200600_302600_NS4plusIaEEEE10hipError_tPvRmT2_T3_mT4_P12ihipStream_tbEUlT_E_NS1_11comp_targetILNS1_3genE0ELNS1_11target_archE4294967295ELNS1_3gpuE0ELNS1_3repE0EEENS1_30default_config_static_selectorELNS0_4arch9wavefront6targetE1EEEvT1_, .Lfunc_end43-_ZN7rocprim17ROCPRIM_400000_NS6detail17trampoline_kernelINS0_14default_configENS1_35adjacent_difference_config_selectorILb1EaEEZNS1_24adjacent_difference_implIS3_Lb1ELb0EPaS7_N6thrust23THRUST_200600_302600_NS4plusIaEEEE10hipError_tPvRmT2_T3_mT4_P12ihipStream_tbEUlT_E_NS1_11comp_targetILNS1_3genE0ELNS1_11target_archE4294967295ELNS1_3gpuE0ELNS1_3repE0EEENS1_30default_config_static_selectorELNS0_4arch9wavefront6targetE1EEEvT1_
                                        ; -- End function
	.section	.AMDGPU.csdata,"",@progbits
; Kernel info:
; codeLenInByte = 0
; NumSgprs: 6
; NumVgprs: 0
; NumAgprs: 0
; TotalNumVgprs: 0
; ScratchSize: 0
; MemoryBound: 0
; FloatMode: 240
; IeeeMode: 1
; LDSByteSize: 0 bytes/workgroup (compile time only)
; SGPRBlocks: 0
; VGPRBlocks: 0
; NumSGPRsForWavesPerEU: 6
; NumVGPRsForWavesPerEU: 1
; AccumOffset: 4
; Occupancy: 8
; WaveLimiterHint : 0
; COMPUTE_PGM_RSRC2:SCRATCH_EN: 0
; COMPUTE_PGM_RSRC2:USER_SGPR: 2
; COMPUTE_PGM_RSRC2:TRAP_HANDLER: 0
; COMPUTE_PGM_RSRC2:TGID_X_EN: 1
; COMPUTE_PGM_RSRC2:TGID_Y_EN: 0
; COMPUTE_PGM_RSRC2:TGID_Z_EN: 0
; COMPUTE_PGM_RSRC2:TIDIG_COMP_CNT: 0
; COMPUTE_PGM_RSRC3_GFX90A:ACCUM_OFFSET: 0
; COMPUTE_PGM_RSRC3_GFX90A:TG_SPLIT: 0
	.section	.text._ZN7rocprim17ROCPRIM_400000_NS6detail17trampoline_kernelINS0_14default_configENS1_35adjacent_difference_config_selectorILb1EaEEZNS1_24adjacent_difference_implIS3_Lb1ELb0EPaS7_N6thrust23THRUST_200600_302600_NS4plusIaEEEE10hipError_tPvRmT2_T3_mT4_P12ihipStream_tbEUlT_E_NS1_11comp_targetILNS1_3genE10ELNS1_11target_archE1201ELNS1_3gpuE5ELNS1_3repE0EEENS1_30default_config_static_selectorELNS0_4arch9wavefront6targetE1EEEvT1_,"axG",@progbits,_ZN7rocprim17ROCPRIM_400000_NS6detail17trampoline_kernelINS0_14default_configENS1_35adjacent_difference_config_selectorILb1EaEEZNS1_24adjacent_difference_implIS3_Lb1ELb0EPaS7_N6thrust23THRUST_200600_302600_NS4plusIaEEEE10hipError_tPvRmT2_T3_mT4_P12ihipStream_tbEUlT_E_NS1_11comp_targetILNS1_3genE10ELNS1_11target_archE1201ELNS1_3gpuE5ELNS1_3repE0EEENS1_30default_config_static_selectorELNS0_4arch9wavefront6targetE1EEEvT1_,comdat
	.protected	_ZN7rocprim17ROCPRIM_400000_NS6detail17trampoline_kernelINS0_14default_configENS1_35adjacent_difference_config_selectorILb1EaEEZNS1_24adjacent_difference_implIS3_Lb1ELb0EPaS7_N6thrust23THRUST_200600_302600_NS4plusIaEEEE10hipError_tPvRmT2_T3_mT4_P12ihipStream_tbEUlT_E_NS1_11comp_targetILNS1_3genE10ELNS1_11target_archE1201ELNS1_3gpuE5ELNS1_3repE0EEENS1_30default_config_static_selectorELNS0_4arch9wavefront6targetE1EEEvT1_ ; -- Begin function _ZN7rocprim17ROCPRIM_400000_NS6detail17trampoline_kernelINS0_14default_configENS1_35adjacent_difference_config_selectorILb1EaEEZNS1_24adjacent_difference_implIS3_Lb1ELb0EPaS7_N6thrust23THRUST_200600_302600_NS4plusIaEEEE10hipError_tPvRmT2_T3_mT4_P12ihipStream_tbEUlT_E_NS1_11comp_targetILNS1_3genE10ELNS1_11target_archE1201ELNS1_3gpuE5ELNS1_3repE0EEENS1_30default_config_static_selectorELNS0_4arch9wavefront6targetE1EEEvT1_
	.globl	_ZN7rocprim17ROCPRIM_400000_NS6detail17trampoline_kernelINS0_14default_configENS1_35adjacent_difference_config_selectorILb1EaEEZNS1_24adjacent_difference_implIS3_Lb1ELb0EPaS7_N6thrust23THRUST_200600_302600_NS4plusIaEEEE10hipError_tPvRmT2_T3_mT4_P12ihipStream_tbEUlT_E_NS1_11comp_targetILNS1_3genE10ELNS1_11target_archE1201ELNS1_3gpuE5ELNS1_3repE0EEENS1_30default_config_static_selectorELNS0_4arch9wavefront6targetE1EEEvT1_
	.p2align	8
	.type	_ZN7rocprim17ROCPRIM_400000_NS6detail17trampoline_kernelINS0_14default_configENS1_35adjacent_difference_config_selectorILb1EaEEZNS1_24adjacent_difference_implIS3_Lb1ELb0EPaS7_N6thrust23THRUST_200600_302600_NS4plusIaEEEE10hipError_tPvRmT2_T3_mT4_P12ihipStream_tbEUlT_E_NS1_11comp_targetILNS1_3genE10ELNS1_11target_archE1201ELNS1_3gpuE5ELNS1_3repE0EEENS1_30default_config_static_selectorELNS0_4arch9wavefront6targetE1EEEvT1_,@function
_ZN7rocprim17ROCPRIM_400000_NS6detail17trampoline_kernelINS0_14default_configENS1_35adjacent_difference_config_selectorILb1EaEEZNS1_24adjacent_difference_implIS3_Lb1ELb0EPaS7_N6thrust23THRUST_200600_302600_NS4plusIaEEEE10hipError_tPvRmT2_T3_mT4_P12ihipStream_tbEUlT_E_NS1_11comp_targetILNS1_3genE10ELNS1_11target_archE1201ELNS1_3gpuE5ELNS1_3repE0EEENS1_30default_config_static_selectorELNS0_4arch9wavefront6targetE1EEEvT1_: ; @_ZN7rocprim17ROCPRIM_400000_NS6detail17trampoline_kernelINS0_14default_configENS1_35adjacent_difference_config_selectorILb1EaEEZNS1_24adjacent_difference_implIS3_Lb1ELb0EPaS7_N6thrust23THRUST_200600_302600_NS4plusIaEEEE10hipError_tPvRmT2_T3_mT4_P12ihipStream_tbEUlT_E_NS1_11comp_targetILNS1_3genE10ELNS1_11target_archE1201ELNS1_3gpuE5ELNS1_3repE0EEENS1_30default_config_static_selectorELNS0_4arch9wavefront6targetE1EEEvT1_
; %bb.0:
	.section	.rodata,"a",@progbits
	.p2align	6, 0x0
	.amdhsa_kernel _ZN7rocprim17ROCPRIM_400000_NS6detail17trampoline_kernelINS0_14default_configENS1_35adjacent_difference_config_selectorILb1EaEEZNS1_24adjacent_difference_implIS3_Lb1ELb0EPaS7_N6thrust23THRUST_200600_302600_NS4plusIaEEEE10hipError_tPvRmT2_T3_mT4_P12ihipStream_tbEUlT_E_NS1_11comp_targetILNS1_3genE10ELNS1_11target_archE1201ELNS1_3gpuE5ELNS1_3repE0EEENS1_30default_config_static_selectorELNS0_4arch9wavefront6targetE1EEEvT1_
		.amdhsa_group_segment_fixed_size 0
		.amdhsa_private_segment_fixed_size 0
		.amdhsa_kernarg_size 56
		.amdhsa_user_sgpr_count 2
		.amdhsa_user_sgpr_dispatch_ptr 0
		.amdhsa_user_sgpr_queue_ptr 0
		.amdhsa_user_sgpr_kernarg_segment_ptr 1
		.amdhsa_user_sgpr_dispatch_id 0
		.amdhsa_user_sgpr_kernarg_preload_length 0
		.amdhsa_user_sgpr_kernarg_preload_offset 0
		.amdhsa_user_sgpr_private_segment_size 0
		.amdhsa_uses_dynamic_stack 0
		.amdhsa_enable_private_segment 0
		.amdhsa_system_sgpr_workgroup_id_x 1
		.amdhsa_system_sgpr_workgroup_id_y 0
		.amdhsa_system_sgpr_workgroup_id_z 0
		.amdhsa_system_sgpr_workgroup_info 0
		.amdhsa_system_vgpr_workitem_id 0
		.amdhsa_next_free_vgpr 1
		.amdhsa_next_free_sgpr 0
		.amdhsa_accum_offset 4
		.amdhsa_reserve_vcc 0
		.amdhsa_float_round_mode_32 0
		.amdhsa_float_round_mode_16_64 0
		.amdhsa_float_denorm_mode_32 3
		.amdhsa_float_denorm_mode_16_64 3
		.amdhsa_dx10_clamp 1
		.amdhsa_ieee_mode 1
		.amdhsa_fp16_overflow 0
		.amdhsa_tg_split 0
		.amdhsa_exception_fp_ieee_invalid_op 0
		.amdhsa_exception_fp_denorm_src 0
		.amdhsa_exception_fp_ieee_div_zero 0
		.amdhsa_exception_fp_ieee_overflow 0
		.amdhsa_exception_fp_ieee_underflow 0
		.amdhsa_exception_fp_ieee_inexact 0
		.amdhsa_exception_int_div_zero 0
	.end_amdhsa_kernel
	.section	.text._ZN7rocprim17ROCPRIM_400000_NS6detail17trampoline_kernelINS0_14default_configENS1_35adjacent_difference_config_selectorILb1EaEEZNS1_24adjacent_difference_implIS3_Lb1ELb0EPaS7_N6thrust23THRUST_200600_302600_NS4plusIaEEEE10hipError_tPvRmT2_T3_mT4_P12ihipStream_tbEUlT_E_NS1_11comp_targetILNS1_3genE10ELNS1_11target_archE1201ELNS1_3gpuE5ELNS1_3repE0EEENS1_30default_config_static_selectorELNS0_4arch9wavefront6targetE1EEEvT1_,"axG",@progbits,_ZN7rocprim17ROCPRIM_400000_NS6detail17trampoline_kernelINS0_14default_configENS1_35adjacent_difference_config_selectorILb1EaEEZNS1_24adjacent_difference_implIS3_Lb1ELb0EPaS7_N6thrust23THRUST_200600_302600_NS4plusIaEEEE10hipError_tPvRmT2_T3_mT4_P12ihipStream_tbEUlT_E_NS1_11comp_targetILNS1_3genE10ELNS1_11target_archE1201ELNS1_3gpuE5ELNS1_3repE0EEENS1_30default_config_static_selectorELNS0_4arch9wavefront6targetE1EEEvT1_,comdat
.Lfunc_end44:
	.size	_ZN7rocprim17ROCPRIM_400000_NS6detail17trampoline_kernelINS0_14default_configENS1_35adjacent_difference_config_selectorILb1EaEEZNS1_24adjacent_difference_implIS3_Lb1ELb0EPaS7_N6thrust23THRUST_200600_302600_NS4plusIaEEEE10hipError_tPvRmT2_T3_mT4_P12ihipStream_tbEUlT_E_NS1_11comp_targetILNS1_3genE10ELNS1_11target_archE1201ELNS1_3gpuE5ELNS1_3repE0EEENS1_30default_config_static_selectorELNS0_4arch9wavefront6targetE1EEEvT1_, .Lfunc_end44-_ZN7rocprim17ROCPRIM_400000_NS6detail17trampoline_kernelINS0_14default_configENS1_35adjacent_difference_config_selectorILb1EaEEZNS1_24adjacent_difference_implIS3_Lb1ELb0EPaS7_N6thrust23THRUST_200600_302600_NS4plusIaEEEE10hipError_tPvRmT2_T3_mT4_P12ihipStream_tbEUlT_E_NS1_11comp_targetILNS1_3genE10ELNS1_11target_archE1201ELNS1_3gpuE5ELNS1_3repE0EEENS1_30default_config_static_selectorELNS0_4arch9wavefront6targetE1EEEvT1_
                                        ; -- End function
	.section	.AMDGPU.csdata,"",@progbits
; Kernel info:
; codeLenInByte = 0
; NumSgprs: 6
; NumVgprs: 0
; NumAgprs: 0
; TotalNumVgprs: 0
; ScratchSize: 0
; MemoryBound: 0
; FloatMode: 240
; IeeeMode: 1
; LDSByteSize: 0 bytes/workgroup (compile time only)
; SGPRBlocks: 0
; VGPRBlocks: 0
; NumSGPRsForWavesPerEU: 6
; NumVGPRsForWavesPerEU: 1
; AccumOffset: 4
; Occupancy: 8
; WaveLimiterHint : 0
; COMPUTE_PGM_RSRC2:SCRATCH_EN: 0
; COMPUTE_PGM_RSRC2:USER_SGPR: 2
; COMPUTE_PGM_RSRC2:TRAP_HANDLER: 0
; COMPUTE_PGM_RSRC2:TGID_X_EN: 1
; COMPUTE_PGM_RSRC2:TGID_Y_EN: 0
; COMPUTE_PGM_RSRC2:TGID_Z_EN: 0
; COMPUTE_PGM_RSRC2:TIDIG_COMP_CNT: 0
; COMPUTE_PGM_RSRC3_GFX90A:ACCUM_OFFSET: 0
; COMPUTE_PGM_RSRC3_GFX90A:TG_SPLIT: 0
	.section	.text._ZN7rocprim17ROCPRIM_400000_NS6detail17trampoline_kernelINS0_14default_configENS1_35adjacent_difference_config_selectorILb1EaEEZNS1_24adjacent_difference_implIS3_Lb1ELb0EPaS7_N6thrust23THRUST_200600_302600_NS4plusIaEEEE10hipError_tPvRmT2_T3_mT4_P12ihipStream_tbEUlT_E_NS1_11comp_targetILNS1_3genE5ELNS1_11target_archE942ELNS1_3gpuE9ELNS1_3repE0EEENS1_30default_config_static_selectorELNS0_4arch9wavefront6targetE1EEEvT1_,"axG",@progbits,_ZN7rocprim17ROCPRIM_400000_NS6detail17trampoline_kernelINS0_14default_configENS1_35adjacent_difference_config_selectorILb1EaEEZNS1_24adjacent_difference_implIS3_Lb1ELb0EPaS7_N6thrust23THRUST_200600_302600_NS4plusIaEEEE10hipError_tPvRmT2_T3_mT4_P12ihipStream_tbEUlT_E_NS1_11comp_targetILNS1_3genE5ELNS1_11target_archE942ELNS1_3gpuE9ELNS1_3repE0EEENS1_30default_config_static_selectorELNS0_4arch9wavefront6targetE1EEEvT1_,comdat
	.protected	_ZN7rocprim17ROCPRIM_400000_NS6detail17trampoline_kernelINS0_14default_configENS1_35adjacent_difference_config_selectorILb1EaEEZNS1_24adjacent_difference_implIS3_Lb1ELb0EPaS7_N6thrust23THRUST_200600_302600_NS4plusIaEEEE10hipError_tPvRmT2_T3_mT4_P12ihipStream_tbEUlT_E_NS1_11comp_targetILNS1_3genE5ELNS1_11target_archE942ELNS1_3gpuE9ELNS1_3repE0EEENS1_30default_config_static_selectorELNS0_4arch9wavefront6targetE1EEEvT1_ ; -- Begin function _ZN7rocprim17ROCPRIM_400000_NS6detail17trampoline_kernelINS0_14default_configENS1_35adjacent_difference_config_selectorILb1EaEEZNS1_24adjacent_difference_implIS3_Lb1ELb0EPaS7_N6thrust23THRUST_200600_302600_NS4plusIaEEEE10hipError_tPvRmT2_T3_mT4_P12ihipStream_tbEUlT_E_NS1_11comp_targetILNS1_3genE5ELNS1_11target_archE942ELNS1_3gpuE9ELNS1_3repE0EEENS1_30default_config_static_selectorELNS0_4arch9wavefront6targetE1EEEvT1_
	.globl	_ZN7rocprim17ROCPRIM_400000_NS6detail17trampoline_kernelINS0_14default_configENS1_35adjacent_difference_config_selectorILb1EaEEZNS1_24adjacent_difference_implIS3_Lb1ELb0EPaS7_N6thrust23THRUST_200600_302600_NS4plusIaEEEE10hipError_tPvRmT2_T3_mT4_P12ihipStream_tbEUlT_E_NS1_11comp_targetILNS1_3genE5ELNS1_11target_archE942ELNS1_3gpuE9ELNS1_3repE0EEENS1_30default_config_static_selectorELNS0_4arch9wavefront6targetE1EEEvT1_
	.p2align	8
	.type	_ZN7rocprim17ROCPRIM_400000_NS6detail17trampoline_kernelINS0_14default_configENS1_35adjacent_difference_config_selectorILb1EaEEZNS1_24adjacent_difference_implIS3_Lb1ELb0EPaS7_N6thrust23THRUST_200600_302600_NS4plusIaEEEE10hipError_tPvRmT2_T3_mT4_P12ihipStream_tbEUlT_E_NS1_11comp_targetILNS1_3genE5ELNS1_11target_archE942ELNS1_3gpuE9ELNS1_3repE0EEENS1_30default_config_static_selectorELNS0_4arch9wavefront6targetE1EEEvT1_,@function
_ZN7rocprim17ROCPRIM_400000_NS6detail17trampoline_kernelINS0_14default_configENS1_35adjacent_difference_config_selectorILb1EaEEZNS1_24adjacent_difference_implIS3_Lb1ELb0EPaS7_N6thrust23THRUST_200600_302600_NS4plusIaEEEE10hipError_tPvRmT2_T3_mT4_P12ihipStream_tbEUlT_E_NS1_11comp_targetILNS1_3genE5ELNS1_11target_archE942ELNS1_3gpuE9ELNS1_3repE0EEENS1_30default_config_static_selectorELNS0_4arch9wavefront6targetE1EEEvT1_: ; @_ZN7rocprim17ROCPRIM_400000_NS6detail17trampoline_kernelINS0_14default_configENS1_35adjacent_difference_config_selectorILb1EaEEZNS1_24adjacent_difference_implIS3_Lb1ELb0EPaS7_N6thrust23THRUST_200600_302600_NS4plusIaEEEE10hipError_tPvRmT2_T3_mT4_P12ihipStream_tbEUlT_E_NS1_11comp_targetILNS1_3genE5ELNS1_11target_archE942ELNS1_3gpuE9ELNS1_3repE0EEENS1_30default_config_static_selectorELNS0_4arch9wavefront6targetE1EEEvT1_
; %bb.0:
	s_load_dwordx8 s[48:55], s[0:1], 0x0
	s_load_dwordx4 s[4:7], s[0:1], 0x28
	s_movk_i32 s8, 0xb80
	s_mul_i32 s33, s2, 0xb80
	s_waitcnt lgkmcnt(0)
	s_add_u32 s3, s48, s50
	s_addc_u32 s18, s49, s51
	s_add_u32 s0, 0, 0x590b2000
	s_addc_u32 s1, 0, 0
	s_add_i32 s1, s1, 0x1642c8
	s_mul_hi_u32 s12, s0, 0xfffff480
	s_sub_i32 s12, s12, s0
	s_mul_i32 s13, s1, 0xfffff480
	s_mul_i32 s9, s0, 0xfffff480
	s_add_i32 s12, s12, s13
	s_mul_hi_u32 s10, s1, s9
	s_mul_i32 s11, s1, s9
	s_mul_i32 s14, s0, s12
	s_mul_hi_u32 s9, s0, s9
	s_mul_hi_u32 s13, s0, s12
	s_add_u32 s9, s9, s14
	s_addc_u32 s13, 0, s13
	s_add_u32 s9, s9, s11
	s_mul_hi_u32 s14, s1, s12
	s_addc_u32 s9, s13, s10
	s_addc_u32 s10, s14, 0
	s_mul_i32 s11, s1, s12
	s_add_u32 s9, s9, s11
	v_mov_b32_e32 v1, s9
	s_addc_u32 s10, 0, s10
	v_add_co_u32_e32 v1, vcc, s0, v1
	s_cmp_lg_u64 vcc, 0
	s_addc_u32 s0, s1, s10
	v_readfirstlane_b32 s10, v1
	s_mul_i32 s9, s54, s0
	s_mul_hi_u32 s11, s54, s10
	s_mul_hi_u32 s1, s54, s0
	s_add_u32 s9, s11, s9
	s_addc_u32 s1, 0, s1
	s_mul_hi_u32 s12, s55, s10
	s_mul_i32 s10, s55, s10
	s_add_u32 s9, s9, s10
	s_mul_hi_u32 s11, s55, s0
	s_addc_u32 s1, s1, s12
	s_addc_u32 s9, s11, 0
	s_mul_i32 s0, s55, s0
	s_add_u32 s0, s1, s0
	s_addc_u32 s1, 0, s9
	s_add_u32 s9, s0, 1
	s_addc_u32 s10, s1, 0
	s_add_u32 s11, s0, 2
	s_mul_i32 s13, s1, 0xb80
	s_mul_hi_u32 s14, s0, 0xb80
	s_addc_u32 s12, s1, 0
	s_add_i32 s14, s14, s13
	s_mul_i32 s13, s0, 0xb80
	v_mov_b32_e32 v1, s13
	v_sub_co_u32_e32 v1, vcc, s54, v1
	s_cmp_lg_u64 vcc, 0
	s_subb_u32 s13, s55, s14
	v_subrev_co_u32_e32 v2, vcc, s8, v1
	s_cmp_lg_u64 vcc, 0
	s_subb_u32 s8, s13, 0
	v_readfirstlane_b32 s14, v2
	s_cmpk_gt_u32 s14, 0xb7f
	s_cselect_b32 s14, -1, 0
	s_cmp_eq_u32 s8, 0
	s_cselect_b32 s8, s14, -1
	s_cmp_lg_u32 s8, 0
	s_cselect_b32 s8, s11, s9
	s_cselect_b32 s9, s12, s10
	v_readfirstlane_b32 s10, v1
	s_cmpk_gt_u32 s10, 0xb7f
	s_cselect_b32 s10, -1, 0
	s_cmp_eq_u32 s13, 0
	s_cselect_b32 s10, s10, -1
	s_cmp_lg_u32 s10, 0
	s_cselect_b32 s9, s9, s1
	s_cselect_b32 s8, s8, s0
	s_mul_i32 s0, s9, 0xb80
	s_mul_hi_u32 s1, s8, 0xb80
	s_add_i32 s1, s1, s0
	s_mul_i32 s0, s8, 0xb80
	s_sub_u32 s0, s54, s0
	s_subb_u32 s1, s55, s1
	s_cmp_lg_u64 s[0:1], 0
	s_cselect_b64 s[0:1], -1, 0
	v_cndmask_b32_e64 v1, 0, 1, s[0:1]
	s_mov_b64 s[14:15], -1
	v_readfirstlane_b32 s0, v1
	s_add_u32 s8, s8, s0
	s_addc_u32 s9, s9, 0
	s_add_u32 s10, s6, s2
	s_addc_u32 s11, s7, 0
	s_add_u32 s12, s8, -1
	s_addc_u32 s13, s9, -1
	v_mov_b64_e32 v[2:3], s[12:13]
	v_cmp_ge_u64_e64 s[0:1], s[10:11], v[2:3]
	s_and_b64 vcc, exec, s[0:1]
	s_mul_i32 s55, s12, 0xfffff480
	s_cbranch_vccz .LBB45_48
; %bb.1:
	s_add_i32 s19, s55, s54
	s_add_u32 s14, s3, s33
	s_addc_u32 s15, s18, 0
	v_cmp_gt_u32_e32 vcc, s19, v0
                                        ; implicit-def: $vgpr1
	s_and_saveexec_b64 s[16:17], vcc
	s_cbranch_execz .LBB45_3
; %bb.2:
	global_load_ubyte v1, v0, s[14:15]
.LBB45_3:
	s_or_b64 exec, exec, s[16:17]
	v_or_b32_e32 v2, 0x80, v0
	v_cmp_gt_u32_e32 vcc, s19, v2
                                        ; implicit-def: $vgpr2
	s_and_saveexec_b64 s[16:17], vcc
	s_cbranch_execz .LBB45_5
; %bb.4:
	global_load_ubyte v2, v0, s[14:15] offset:128
.LBB45_5:
	s_or_b64 exec, exec, s[16:17]
	v_or_b32_e32 v3, 0x100, v0
	v_cmp_gt_u32_e32 vcc, s19, v3
                                        ; implicit-def: $vgpr3
	s_and_saveexec_b64 s[16:17], vcc
	s_cbranch_execz .LBB45_7
; %bb.6:
	global_load_ubyte v3, v0, s[14:15] offset:256
.LBB45_7:
	s_or_b64 exec, exec, s[16:17]
	v_or_b32_e32 v4, 0x180, v0
	v_cmp_gt_u32_e32 vcc, s19, v4
                                        ; implicit-def: $vgpr4
	s_and_saveexec_b64 s[16:17], vcc
	s_cbranch_execz .LBB45_9
; %bb.8:
	global_load_ubyte v4, v0, s[14:15] offset:384
.LBB45_9:
	s_or_b64 exec, exec, s[16:17]
	v_or_b32_e32 v5, 0x200, v0
	v_cmp_gt_u32_e32 vcc, s19, v5
                                        ; implicit-def: $vgpr5
	s_and_saveexec_b64 s[16:17], vcc
	s_cbranch_execz .LBB45_11
; %bb.10:
	global_load_ubyte v5, v0, s[14:15] offset:512
.LBB45_11:
	s_or_b64 exec, exec, s[16:17]
	v_or_b32_e32 v6, 0x280, v0
	v_cmp_gt_u32_e32 vcc, s19, v6
                                        ; implicit-def: $vgpr6
	s_and_saveexec_b64 s[16:17], vcc
	s_cbranch_execz .LBB45_13
; %bb.12:
	global_load_ubyte v6, v0, s[14:15] offset:640
.LBB45_13:
	s_or_b64 exec, exec, s[16:17]
	v_or_b32_e32 v7, 0x300, v0
	v_cmp_gt_u32_e32 vcc, s19, v7
                                        ; implicit-def: $vgpr7
	s_and_saveexec_b64 s[16:17], vcc
	s_cbranch_execz .LBB45_15
; %bb.14:
	global_load_ubyte v7, v0, s[14:15] offset:768
.LBB45_15:
	s_or_b64 exec, exec, s[16:17]
	v_or_b32_e32 v8, 0x380, v0
	v_cmp_gt_u32_e32 vcc, s19, v8
                                        ; implicit-def: $vgpr8
	s_and_saveexec_b64 s[16:17], vcc
	s_cbranch_execz .LBB45_17
; %bb.16:
	global_load_ubyte v8, v0, s[14:15] offset:896
.LBB45_17:
	s_or_b64 exec, exec, s[16:17]
	v_or_b32_e32 v9, 0x400, v0
	v_cmp_gt_u32_e32 vcc, s19, v9
                                        ; implicit-def: $vgpr9
	s_and_saveexec_b64 s[16:17], vcc
	s_cbranch_execz .LBB45_19
; %bb.18:
	global_load_ubyte v9, v0, s[14:15] offset:1024
.LBB45_19:
	s_or_b64 exec, exec, s[16:17]
	v_or_b32_e32 v10, 0x480, v0
	v_cmp_gt_u32_e32 vcc, s19, v10
                                        ; implicit-def: $vgpr10
	s_and_saveexec_b64 s[16:17], vcc
	s_cbranch_execz .LBB45_21
; %bb.20:
	global_load_ubyte v10, v0, s[14:15] offset:1152
.LBB45_21:
	s_or_b64 exec, exec, s[16:17]
	v_or_b32_e32 v11, 0x500, v0
	v_cmp_gt_u32_e32 vcc, s19, v11
                                        ; implicit-def: $vgpr11
	s_and_saveexec_b64 s[16:17], vcc
	s_cbranch_execz .LBB45_23
; %bb.22:
	global_load_ubyte v11, v0, s[14:15] offset:1280
.LBB45_23:
	s_or_b64 exec, exec, s[16:17]
	v_or_b32_e32 v12, 0x580, v0
	v_cmp_gt_u32_e32 vcc, s19, v12
                                        ; implicit-def: $vgpr12
	s_and_saveexec_b64 s[16:17], vcc
	s_cbranch_execz .LBB45_25
; %bb.24:
	global_load_ubyte v12, v0, s[14:15] offset:1408
.LBB45_25:
	s_or_b64 exec, exec, s[16:17]
	v_or_b32_e32 v13, 0x600, v0
	v_cmp_gt_u32_e32 vcc, s19, v13
                                        ; implicit-def: $vgpr13
	s_and_saveexec_b64 s[16:17], vcc
	s_cbranch_execz .LBB45_27
; %bb.26:
	global_load_ubyte v13, v0, s[14:15] offset:1536
.LBB45_27:
	s_or_b64 exec, exec, s[16:17]
	v_or_b32_e32 v14, 0x680, v0
	v_cmp_gt_u32_e32 vcc, s19, v14
                                        ; implicit-def: $vgpr14
	s_and_saveexec_b64 s[16:17], vcc
	s_cbranch_execz .LBB45_29
; %bb.28:
	global_load_ubyte v14, v0, s[14:15] offset:1664
.LBB45_29:
	s_or_b64 exec, exec, s[16:17]
	v_or_b32_e32 v15, 0x700, v0
	v_cmp_gt_u32_e32 vcc, s19, v15
                                        ; implicit-def: $vgpr15
	s_and_saveexec_b64 s[16:17], vcc
	s_cbranch_execz .LBB45_31
; %bb.30:
	global_load_ubyte v15, v0, s[14:15] offset:1792
.LBB45_31:
	s_or_b64 exec, exec, s[16:17]
	v_or_b32_e32 v16, 0x780, v0
	v_cmp_gt_u32_e32 vcc, s19, v16
                                        ; implicit-def: $vgpr16
	s_and_saveexec_b64 s[16:17], vcc
	s_cbranch_execz .LBB45_33
; %bb.32:
	global_load_ubyte v16, v0, s[14:15] offset:1920
.LBB45_33:
	s_or_b64 exec, exec, s[16:17]
	v_or_b32_e32 v17, 0x800, v0
	v_cmp_gt_u32_e32 vcc, s19, v17
                                        ; implicit-def: $vgpr17
	s_and_saveexec_b64 s[16:17], vcc
	s_cbranch_execz .LBB45_35
; %bb.34:
	global_load_ubyte v17, v0, s[14:15] offset:2048
.LBB45_35:
	s_or_b64 exec, exec, s[16:17]
	v_or_b32_e32 v18, 0x880, v0
	v_cmp_gt_u32_e32 vcc, s19, v18
                                        ; implicit-def: $vgpr18
	s_and_saveexec_b64 s[16:17], vcc
	s_cbranch_execz .LBB45_37
; %bb.36:
	global_load_ubyte v18, v0, s[14:15] offset:2176
.LBB45_37:
	s_or_b64 exec, exec, s[16:17]
	v_or_b32_e32 v19, 0x900, v0
	v_cmp_gt_u32_e32 vcc, s19, v19
                                        ; implicit-def: $vgpr19
	s_and_saveexec_b64 s[16:17], vcc
	s_cbranch_execz .LBB45_39
; %bb.38:
	global_load_ubyte v19, v0, s[14:15] offset:2304
.LBB45_39:
	s_or_b64 exec, exec, s[16:17]
	v_or_b32_e32 v20, 0x980, v0
	v_cmp_gt_u32_e32 vcc, s19, v20
                                        ; implicit-def: $vgpr20
	s_and_saveexec_b64 s[16:17], vcc
	s_cbranch_execz .LBB45_41
; %bb.40:
	global_load_ubyte v20, v0, s[14:15] offset:2432
.LBB45_41:
	s_or_b64 exec, exec, s[16:17]
	v_or_b32_e32 v21, 0xa00, v0
	v_cmp_gt_u32_e32 vcc, s19, v21
                                        ; implicit-def: $vgpr21
	s_and_saveexec_b64 s[16:17], vcc
	s_cbranch_execz .LBB45_43
; %bb.42:
	global_load_ubyte v21, v0, s[14:15] offset:2560
.LBB45_43:
	s_or_b64 exec, exec, s[16:17]
	v_or_b32_e32 v22, 0xa80, v0
	v_cmp_gt_u32_e32 vcc, s19, v22
                                        ; implicit-def: $vgpr22
	s_and_saveexec_b64 s[16:17], vcc
	s_cbranch_execz .LBB45_45
; %bb.44:
	global_load_ubyte v22, v0, s[14:15] offset:2688
.LBB45_45:
	s_or_b64 exec, exec, s[16:17]
	v_or_b32_e32 v23, 0xb00, v0
	v_cmp_gt_u32_e32 vcc, s19, v23
                                        ; implicit-def: $vgpr23
	s_and_saveexec_b64 s[16:17], vcc
	s_cbranch_execz .LBB45_47
; %bb.46:
	global_load_ubyte v23, v0, s[14:15] offset:2816
.LBB45_47:
	s_or_b64 exec, exec, s[16:17]
	s_mov_b64 s[14:15], 0
	s_waitcnt vmcnt(0)
	ds_write_b8 v0, v1
	ds_write_b8 v0, v2 offset:128
	ds_write_b8 v0, v3 offset:256
	ds_write_b8 v0, v4 offset:384
	ds_write_b8 v0, v5 offset:512
	ds_write_b8 v0, v6 offset:640
	ds_write_b8 v0, v7 offset:768
	ds_write_b8 v0, v8 offset:896
	ds_write_b8 v0, v9 offset:1024
	ds_write_b8 v0, v10 offset:1152
	ds_write_b8 v0, v11 offset:1280
	ds_write_b8 v0, v12 offset:1408
	ds_write_b8 v0, v13 offset:1536
	ds_write_b8 v0, v14 offset:1664
	ds_write_b8 v0, v15 offset:1792
	ds_write_b8 v0, v16 offset:1920
	ds_write_b8 v0, v17 offset:2048
	ds_write_b8 v0, v18 offset:2176
	ds_write_b8 v0, v19 offset:2304
	ds_write_b8 v0, v20 offset:2432
	ds_write_b8 v0, v21 offset:2560
	ds_write_b8 v0, v22 offset:2688
	ds_write_b8 v0, v23 offset:2816
	s_waitcnt lgkmcnt(0)
	s_barrier
.LBB45_48:
	s_and_b64 vcc, exec, s[14:15]
	s_cbranch_vccz .LBB45_50
; %bb.49:
	s_add_u32 s14, s3, s33
	s_addc_u32 s15, s18, 0
	global_load_ubyte v1, v0, s[14:15]
	global_load_ubyte v2, v0, s[14:15] offset:128
	global_load_ubyte v3, v0, s[14:15] offset:256
	;; [unrolled: 1-line block ×22, first 2 shown]
	s_waitcnt vmcnt(22)
	ds_write_b8 v0, v1
	s_waitcnt vmcnt(21)
	ds_write_b8 v0, v2 offset:128
	s_waitcnt vmcnt(20)
	ds_write_b8 v0, v3 offset:256
	;; [unrolled: 2-line block ×22, first 2 shown]
	s_waitcnt lgkmcnt(0)
	s_barrier
.LBB45_50:
	v_mul_u32_u24_e32 v6, 23, v0
	ds_read_b128 v[2:5], v6
	ds_read_u8 v1, v6 offset:16
	ds_read_u8 v7, v6 offset:17
	;; [unrolled: 1-line block ×7, first 2 shown]
	s_waitcnt lgkmcnt(7)
	v_lshrrev_b32_e32 v13, 8, v2
	v_lshrrev_b32_e32 v14, 16, v2
	;; [unrolled: 1-line block ×12, first 2 shown]
	s_cmp_eq_u64 s[10:11], 0
	s_waitcnt lgkmcnt(0)
	s_barrier
	s_cbranch_scc1 .LBB45_55
; %bb.51:
	s_add_u32 s3, s4, s6
	s_addc_u32 s4, s5, s7
	s_add_u32 s2, s3, s2
	s_addc_u32 s3, s4, 0
	v_mov_b32_e32 v6, 0
	global_load_ubyte v46, v6, s[2:3] offset:-1
	s_cmp_eq_u64 s[10:11], s[12:13]
	s_cbranch_scc1 .LBB45_56
; %bb.52:
	v_cmp_ne_u32_e32 vcc, 0, v0
	s_waitcnt vmcnt(0)
	v_mov_b32_e32 v6, v46
	ds_write_b8 v0, v12
	s_waitcnt lgkmcnt(0)
	s_barrier
	s_and_saveexec_b64 s[2:3], vcc
	s_cbranch_execz .LBB45_54
; %bb.53:
	v_add_u32_e32 v6, -1, v0
	ds_read_u8 v6, v6
.LBB45_54:
	s_or_b64 exec, exec, s[2:3]
	s_waitcnt lgkmcnt(0)
	v_add_u16_e32 v6, v6, v2
	s_mov_b64 s[2:3], 0
	s_branch .LBB45_57
.LBB45_55:
                                        ; implicit-def: $vgpr6
                                        ; implicit-def: $vgpr47
                                        ; implicit-def: $vgpr45
                                        ; implicit-def: $vgpr44
                                        ; implicit-def: $vgpr43
                                        ; implicit-def: $vgpr42
                                        ; implicit-def: $vgpr41
                                        ; implicit-def: $vgpr40
                                        ; implicit-def: $vgpr39
                                        ; implicit-def: $vgpr38
                                        ; implicit-def: $vgpr37
                                        ; implicit-def: $vgpr36
                                        ; implicit-def: $vgpr34
                                        ; implicit-def: $vgpr33
                                        ; implicit-def: $vgpr32
                                        ; implicit-def: $vgpr31
                                        ; implicit-def: $vgpr30
                                        ; implicit-def: $vgpr29
                                        ; implicit-def: $vgpr28
                                        ; implicit-def: $vgpr27
                                        ; implicit-def: $vgpr26
                                        ; implicit-def: $vgpr25
                                        ; implicit-def: $vgpr35
	s_branch .LBB45_62
.LBB45_56:
	s_mov_b64 s[2:3], -1
                                        ; implicit-def: $vgpr6
.LBB45_57:
	s_and_b64 vcc, exec, s[2:3]
	v_mov_b32_e32 v47, v2
	v_mov_b32_e32 v45, v13
	;; [unrolled: 1-line block ×22, first 2 shown]
	s_cbranch_vccz .LBB45_61
; %bb.58:
	v_mul_u32_u24_e32 v6, 23, v0
	v_cmp_ne_u32_e32 vcc, 0, v0
	ds_write_b8 v0, v12
	s_waitcnt lgkmcnt(0)
	s_barrier
	s_and_saveexec_b64 s[2:3], vcc
	s_cbranch_execz .LBB45_60
; %bb.59:
	v_add_u32_e32 v25, -1, v0
	s_waitcnt vmcnt(0)
	ds_read_u8 v46, v25
.LBB45_60:
	s_or_b64 exec, exec, s[2:3]
	s_mul_i32 s2, s10, 0xfffff480
	s_add_i32 s2, s2, s54
	v_add_u32_e32 v25, 22, v6
	v_cmp_gt_u32_e32 vcc, s2, v25
	v_add_u32_e32 v25, 21, v6
	v_add_u32_e32 v26, 20, v6
	v_cndmask_b32_e32 v35, 0, v11, vcc
	v_cmp_gt_u32_e32 vcc, s2, v25
	v_add_u32_e32 v27, 19, v6
	v_add_u32_e32 v28, 18, v6
	v_cndmask_b32_e32 v25, 0, v10, vcc
	;; [unrolled: 4-line block ×10, first 2 shown]
	v_cmp_gt_u32_e32 vcc, s2, v34
	v_add_u32_e32 v47, 1, v6
	s_nop 0
	v_cndmask_b32_e32 v34, 0, v21, vcc
	v_cmp_gt_u32_e32 vcc, s2, v36
	s_nop 1
	v_cndmask_b32_e32 v36, 0, v20, vcc
	v_cmp_gt_u32_e32 vcc, s2, v37
	;; [unrolled: 3-line block ×12, first 2 shown]
	s_waitcnt vmcnt(0) lgkmcnt(0)
	s_nop 0
	v_cndmask_b32_e32 v6, 0, v46, vcc
	v_add_u16_e32 v6, v6, v2
.LBB45_61:
	s_cbranch_execnz .LBB45_72
.LBB45_62:
	s_cmp_eq_u64 s[8:9], 1
	v_cmp_ne_u32_e32 vcc, 0, v0
	s_cbranch_scc1 .LBB45_66
; %bb.63:
	v_mov_b32_e32 v6, v2
	ds_write_b8 v0, v12
	s_waitcnt lgkmcnt(0)
	s_barrier
	s_and_saveexec_b64 s[2:3], vcc
	s_cbranch_execz .LBB45_65
; %bb.64:
	v_add_u32_e32 v6, -1, v0
	ds_read_u8 v6, v6
	s_waitcnt lgkmcnt(0)
	v_add_u16_e32 v6, v6, v2
.LBB45_65:
	s_or_b64 exec, exec, s[2:3]
	s_mov_b64 s[2:3], 0
	s_branch .LBB45_67
.LBB45_66:
	s_mov_b64 s[2:3], -1
                                        ; implicit-def: $vgpr6
.LBB45_67:
	s_andn2_b64 vcc, exec, s[2:3]
	v_mov_b32_e32 v45, v13
	v_mov_b32_e32 v44, v14
	v_mov_b32_e32 v43, v15
	v_mov_b32_e32 v42, v3
	v_mov_b32_e32 v41, v16
	v_mov_b32_e32 v40, v17
	v_mov_b32_e32 v39, v18
	v_mov_b32_e32 v38, v4
	v_mov_b32_e32 v37, v19
	v_mov_b32_e32 v36, v20
	v_mov_b32_e32 v34, v21
	v_mov_b32_e32 v33, v5
	v_mov_b32_e32 v32, v22
	v_mov_b32_e32 v31, v23
	v_mov_b32_e32 v30, v24
	v_mov_b32_e32 v29, v1
	v_mov_b32_e32 v28, v7
	v_mov_b32_e32 v27, v8
	v_mov_b32_e32 v26, v9
	v_mov_b32_e32 v25, v10
	v_mov_b32_e32 v35, v11
	s_cbranch_vccnz .LBB45_71
; %bb.68:
	v_mad_u32_u24 v25, v0, 23, 22
	v_cmp_gt_u32_e32 vcc, s54, v25
	v_mad_u32_u24 v25, v0, 23, 21
	v_cmp_gt_u32_e64 s[2:3], s54, v25
	v_mad_u32_u24 v25, v0, 23, 20
	v_cmp_gt_u32_e64 s[4:5], s54, v25
	;; [unrolled: 2-line block ×18, first 2 shown]
	v_mad_u32_u24 v25, v0, 23, 3
	v_mul_u32_u24_e32 v6, 23, v0
	v_cmp_gt_u32_e64 s[40:41], s54, v25
	v_mad_u32_u24 v25, v0, 23, 2
	v_cmp_gt_u32_e64 s[42:43], s54, v25
	v_mad_u32_u24 v25, v0, 23, 1
	v_cmp_ne_u32_e64 s[46:47], 0, v0
	v_cmp_gt_u32_e64 s[48:49], s54, v6
	v_cmp_gt_u32_e64 s[44:45], s54, v25
	s_and_b64 s[48:49], s[46:47], s[48:49]
	v_mov_b32_e32 v6, v2
	ds_write_b8 v0, v12
	s_waitcnt lgkmcnt(0)
	s_barrier
	s_and_saveexec_b64 s[46:47], s[48:49]
	s_cbranch_execz .LBB45_70
; %bb.69:
	v_add_u32_e32 v6, -1, v0
	ds_read_u8 v6, v6
	s_waitcnt lgkmcnt(0)
	v_add_u16_e32 v6, v6, v2
.LBB45_70:
	s_or_b64 exec, exec, s[46:47]
	v_cndmask_b32_e32 v35, 0, v11, vcc
	v_cndmask_b32_e64 v25, 0, v10, s[2:3]
	v_cndmask_b32_e64 v26, 0, v9, s[4:5]
	;; [unrolled: 1-line block ×21, first 2 shown]
.LBB45_71:
	v_mov_b32_e32 v47, v2
.LBB45_72:
	s_add_u32 s4, s52, s50
	v_add_u16_e32 v12, v35, v12
	v_add_u16_e32 v2, v47, v13
	;; [unrolled: 1-line block ×13, first 2 shown]
	s_addc_u32 s5, s53, s51
	v_add_u16_e32 v16, v39, v4
	v_add_u16_e32 v18, v34, v5
	;; [unrolled: 1-line block ×9, first 2 shown]
	s_and_b64 vcc, exec, s[0:1]
	v_mul_u32_u24_e32 v11, 23, v0
	v_lshlrev_b16_e32 v26, 8, v21
	v_lshlrev_b16_e32 v27, 8, v22
	;; [unrolled: 1-line block ×8, first 2 shown]
	s_barrier
	s_cbranch_vccz .LBB45_118
; %bb.73:
	v_or_b32_sdwa v1, v18, v26 dst_sel:DWORD dst_unused:UNUSED_PAD src0_sel:BYTE_0 src1_sel:DWORD
	v_or_b32_sdwa v2, v19, v27 dst_sel:WORD_1 dst_unused:UNUSED_PAD src0_sel:BYTE_0 src1_sel:DWORD
	s_add_i32 s55, s55, s54
	v_or_b32_sdwa v31, v1, v2 dst_sel:DWORD dst_unused:UNUSED_PAD src0_sel:WORD_0 src1_sel:DWORD
	v_or_b32_sdwa v1, v16, v24 dst_sel:DWORD dst_unused:UNUSED_PAD src0_sel:BYTE_0 src1_sel:DWORD
	v_or_b32_sdwa v2, v17, v25 dst_sel:WORD_1 dst_unused:UNUSED_PAD src0_sel:BYTE_0 src1_sel:DWORD
	s_add_u32 s0, s4, s33
	v_or_b32_sdwa v30, v1, v2 dst_sel:DWORD dst_unused:UNUSED_PAD src0_sel:WORD_0 src1_sel:DWORD
	v_or_b32_sdwa v1, v14, v22 dst_sel:DWORD dst_unused:UNUSED_PAD src0_sel:BYTE_0 src1_sel:DWORD
	v_or_b32_sdwa v2, v15, v23 dst_sel:WORD_1 dst_unused:UNUSED_PAD src0_sel:BYTE_0 src1_sel:DWORD
	s_addc_u32 s1, s5, 0
	v_or_b32_sdwa v29, v1, v2 dst_sel:DWORD dst_unused:UNUSED_PAD src0_sel:WORD_0 src1_sel:DWORD
	v_or_b32_sdwa v1, v6, v20 dst_sel:DWORD dst_unused:UNUSED_PAD src0_sel:BYTE_0 src1_sel:DWORD
	v_or_b32_sdwa v2, v13, v21 dst_sel:WORD_1 dst_unused:UNUSED_PAD src0_sel:BYTE_0 src1_sel:DWORD
	v_cmp_gt_u32_e32 vcc, s55, v0
	v_or_b32_sdwa v28, v1, v2 dst_sel:DWORD dst_unused:UNUSED_PAD src0_sel:WORD_0 src1_sel:DWORD
	ds_write_b128 v11, v[28:31]
	ds_write_b8 v11, v4 offset:16
	ds_write_b8 v11, v5 offset:17
	ds_write_b8 v11, v7 offset:18
	ds_write_b8 v11, v8 offset:19
	ds_write_b8 v11, v9 offset:20
	ds_write_b8 v11, v10 offset:21
	ds_write_b8 v11, v12 offset:22
	s_waitcnt lgkmcnt(0)
	s_barrier
	ds_read_u8 v49, v0 offset:128
	ds_read_u8 v48, v0 offset:256
	;; [unrolled: 1-line block ×3, first 2 shown]
	s_waitcnt vmcnt(0)
	ds_read_u8 v46, v0 offset:512
	ds_read_u8 v45, v0 offset:640
	;; [unrolled: 1-line block ×19, first 2 shown]
	v_mov_b32_e32 v1, 0
	v_lshl_add_u64 v[2:3], s[0:1], 0, v[0:1]
	s_and_saveexec_b64 s[0:1], vcc
	s_cbranch_execz .LBB45_75
; %bb.74:
	ds_read_u8 v1, v0
	s_waitcnt lgkmcnt(0)
	global_store_byte v[2:3], v1, off
.LBB45_75:
	s_or_b64 exec, exec, s[0:1]
	v_or_b32_e32 v1, 0x80, v0
	v_cmp_gt_u32_e32 vcc, s55, v1
	s_and_saveexec_b64 s[0:1], vcc
	s_cbranch_execz .LBB45_77
; %bb.76:
	s_waitcnt lgkmcnt(14)
	global_store_byte v[2:3], v49, off offset:128
.LBB45_77:
	s_or_b64 exec, exec, s[0:1]
	v_or_b32_e32 v1, 0x100, v0
	v_cmp_gt_u32_e32 vcc, s55, v1
	s_and_saveexec_b64 s[0:1], vcc
	s_cbranch_execz .LBB45_79
; %bb.78:
	s_waitcnt lgkmcnt(14)
	global_store_byte v[2:3], v48, off offset:256
.LBB45_79:
	;; [unrolled: 9-line block ×21, first 2 shown]
	s_or_b64 exec, exec, s[0:1]
	v_or_b32_e32 v1, 0xb00, v0
	v_cmp_gt_u32_e64 s[0:1], s55, v1
	s_branch .LBB45_120
.LBB45_118:
	s_mov_b64 s[0:1], 0
                                        ; implicit-def: $vgpr28
                                        ; implicit-def: $vgpr2_vgpr3
	s_cbranch_execz .LBB45_120
; %bb.119:
	v_or_b32_sdwa v1, v18, v26 dst_sel:DWORD dst_unused:UNUSED_PAD src0_sel:BYTE_0 src1_sel:DWORD
	v_or_b32_sdwa v2, v19, v27 dst_sel:WORD_1 dst_unused:UNUSED_PAD src0_sel:BYTE_0 src1_sel:DWORD
	s_add_u32 s2, s4, s33
	v_or_b32_sdwa v19, v1, v2 dst_sel:DWORD dst_unused:UNUSED_PAD src0_sel:WORD_0 src1_sel:DWORD
	v_or_b32_sdwa v1, v16, v24 dst_sel:DWORD dst_unused:UNUSED_PAD src0_sel:BYTE_0 src1_sel:DWORD
	v_or_b32_sdwa v2, v17, v25 dst_sel:WORD_1 dst_unused:UNUSED_PAD src0_sel:BYTE_0 src1_sel:DWORD
	s_addc_u32 s3, s5, 0
	v_or_b32_sdwa v18, v1, v2 dst_sel:DWORD dst_unused:UNUSED_PAD src0_sel:WORD_0 src1_sel:DWORD
	v_or_b32_sdwa v1, v14, v22 dst_sel:DWORD dst_unused:UNUSED_PAD src0_sel:BYTE_0 src1_sel:DWORD
	v_or_b32_sdwa v2, v15, v23 dst_sel:WORD_1 dst_unused:UNUSED_PAD src0_sel:BYTE_0 src1_sel:DWORD
	s_or_b64 s[0:1], s[0:1], exec
	v_or_b32_sdwa v17, v1, v2 dst_sel:DWORD dst_unused:UNUSED_PAD src0_sel:WORD_0 src1_sel:DWORD
	v_or_b32_sdwa v1, v6, v20 dst_sel:DWORD dst_unused:UNUSED_PAD src0_sel:BYTE_0 src1_sel:DWORD
	v_or_b32_sdwa v2, v13, v21 dst_sel:WORD_1 dst_unused:UNUSED_PAD src0_sel:BYTE_0 src1_sel:DWORD
	s_nop 0
	v_or_b32_sdwa v16, v1, v2 dst_sel:DWORD dst_unused:UNUSED_PAD src0_sel:WORD_0 src1_sel:DWORD
	ds_write_b128 v11, v[16:19]
	ds_write_b8 v11, v4 offset:16
	ds_write_b8 v11, v5 offset:17
	;; [unrolled: 1-line block ×7, first 2 shown]
	s_waitcnt lgkmcnt(0)
	s_barrier
	ds_read_u8 v4, v0
	ds_read_u8 v5, v0 offset:128
	ds_read_u8 v6, v0 offset:256
	;; [unrolled: 1-line block ×22, first 2 shown]
	v_mov_b32_e32 v1, 0
	v_lshl_add_u64 v[2:3], s[2:3], 0, v[0:1]
	s_waitcnt lgkmcnt(14)
	global_store_byte v0, v4, s[2:3]
	global_store_byte v0, v5, s[2:3] offset:128
	global_store_byte v0, v6, s[2:3] offset:256
	;; [unrolled: 1-line block ×8, first 2 shown]
	s_waitcnt lgkmcnt(13)
	global_store_byte v0, v13, s[2:3] offset:1152
	s_waitcnt lgkmcnt(12)
	global_store_byte v0, v14, s[2:3] offset:1280
	;; [unrolled: 2-line block ×13, first 2 shown]
.LBB45_120:
	s_and_saveexec_b64 s[2:3], s[0:1]
	s_cbranch_execnz .LBB45_122
; %bb.121:
	s_endpgm
.LBB45_122:
	s_waitcnt lgkmcnt(0)
	global_store_byte v[2:3], v28, off offset:2816
	s_endpgm
	.section	.rodata,"a",@progbits
	.p2align	6, 0x0
	.amdhsa_kernel _ZN7rocprim17ROCPRIM_400000_NS6detail17trampoline_kernelINS0_14default_configENS1_35adjacent_difference_config_selectorILb1EaEEZNS1_24adjacent_difference_implIS3_Lb1ELb0EPaS7_N6thrust23THRUST_200600_302600_NS4plusIaEEEE10hipError_tPvRmT2_T3_mT4_P12ihipStream_tbEUlT_E_NS1_11comp_targetILNS1_3genE5ELNS1_11target_archE942ELNS1_3gpuE9ELNS1_3repE0EEENS1_30default_config_static_selectorELNS0_4arch9wavefront6targetE1EEEvT1_
		.amdhsa_group_segment_fixed_size 2944
		.amdhsa_private_segment_fixed_size 0
		.amdhsa_kernarg_size 56
		.amdhsa_user_sgpr_count 2
		.amdhsa_user_sgpr_dispatch_ptr 0
		.amdhsa_user_sgpr_queue_ptr 0
		.amdhsa_user_sgpr_kernarg_segment_ptr 1
		.amdhsa_user_sgpr_dispatch_id 0
		.amdhsa_user_sgpr_kernarg_preload_length 0
		.amdhsa_user_sgpr_kernarg_preload_offset 0
		.amdhsa_user_sgpr_private_segment_size 0
		.amdhsa_uses_dynamic_stack 0
		.amdhsa_enable_private_segment 0
		.amdhsa_system_sgpr_workgroup_id_x 1
		.amdhsa_system_sgpr_workgroup_id_y 0
		.amdhsa_system_sgpr_workgroup_id_z 0
		.amdhsa_system_sgpr_workgroup_info 0
		.amdhsa_system_vgpr_workitem_id 0
		.amdhsa_next_free_vgpr 50
		.amdhsa_next_free_sgpr 56
		.amdhsa_accum_offset 52
		.amdhsa_reserve_vcc 1
		.amdhsa_float_round_mode_32 0
		.amdhsa_float_round_mode_16_64 0
		.amdhsa_float_denorm_mode_32 3
		.amdhsa_float_denorm_mode_16_64 3
		.amdhsa_dx10_clamp 1
		.amdhsa_ieee_mode 1
		.amdhsa_fp16_overflow 0
		.amdhsa_tg_split 0
		.amdhsa_exception_fp_ieee_invalid_op 0
		.amdhsa_exception_fp_denorm_src 0
		.amdhsa_exception_fp_ieee_div_zero 0
		.amdhsa_exception_fp_ieee_overflow 0
		.amdhsa_exception_fp_ieee_underflow 0
		.amdhsa_exception_fp_ieee_inexact 0
		.amdhsa_exception_int_div_zero 0
	.end_amdhsa_kernel
	.section	.text._ZN7rocprim17ROCPRIM_400000_NS6detail17trampoline_kernelINS0_14default_configENS1_35adjacent_difference_config_selectorILb1EaEEZNS1_24adjacent_difference_implIS3_Lb1ELb0EPaS7_N6thrust23THRUST_200600_302600_NS4plusIaEEEE10hipError_tPvRmT2_T3_mT4_P12ihipStream_tbEUlT_E_NS1_11comp_targetILNS1_3genE5ELNS1_11target_archE942ELNS1_3gpuE9ELNS1_3repE0EEENS1_30default_config_static_selectorELNS0_4arch9wavefront6targetE1EEEvT1_,"axG",@progbits,_ZN7rocprim17ROCPRIM_400000_NS6detail17trampoline_kernelINS0_14default_configENS1_35adjacent_difference_config_selectorILb1EaEEZNS1_24adjacent_difference_implIS3_Lb1ELb0EPaS7_N6thrust23THRUST_200600_302600_NS4plusIaEEEE10hipError_tPvRmT2_T3_mT4_P12ihipStream_tbEUlT_E_NS1_11comp_targetILNS1_3genE5ELNS1_11target_archE942ELNS1_3gpuE9ELNS1_3repE0EEENS1_30default_config_static_selectorELNS0_4arch9wavefront6targetE1EEEvT1_,comdat
.Lfunc_end45:
	.size	_ZN7rocprim17ROCPRIM_400000_NS6detail17trampoline_kernelINS0_14default_configENS1_35adjacent_difference_config_selectorILb1EaEEZNS1_24adjacent_difference_implIS3_Lb1ELb0EPaS7_N6thrust23THRUST_200600_302600_NS4plusIaEEEE10hipError_tPvRmT2_T3_mT4_P12ihipStream_tbEUlT_E_NS1_11comp_targetILNS1_3genE5ELNS1_11target_archE942ELNS1_3gpuE9ELNS1_3repE0EEENS1_30default_config_static_selectorELNS0_4arch9wavefront6targetE1EEEvT1_, .Lfunc_end45-_ZN7rocprim17ROCPRIM_400000_NS6detail17trampoline_kernelINS0_14default_configENS1_35adjacent_difference_config_selectorILb1EaEEZNS1_24adjacent_difference_implIS3_Lb1ELb0EPaS7_N6thrust23THRUST_200600_302600_NS4plusIaEEEE10hipError_tPvRmT2_T3_mT4_P12ihipStream_tbEUlT_E_NS1_11comp_targetILNS1_3genE5ELNS1_11target_archE942ELNS1_3gpuE9ELNS1_3repE0EEENS1_30default_config_static_selectorELNS0_4arch9wavefront6targetE1EEEvT1_
                                        ; -- End function
	.section	.AMDGPU.csdata,"",@progbits
; Kernel info:
; codeLenInByte = 5384
; NumSgprs: 62
; NumVgprs: 50
; NumAgprs: 0
; TotalNumVgprs: 50
; ScratchSize: 0
; MemoryBound: 0
; FloatMode: 240
; IeeeMode: 1
; LDSByteSize: 2944 bytes/workgroup (compile time only)
; SGPRBlocks: 7
; VGPRBlocks: 6
; NumSGPRsForWavesPerEU: 62
; NumVGPRsForWavesPerEU: 50
; AccumOffset: 52
; Occupancy: 8
; WaveLimiterHint : 1
; COMPUTE_PGM_RSRC2:SCRATCH_EN: 0
; COMPUTE_PGM_RSRC2:USER_SGPR: 2
; COMPUTE_PGM_RSRC2:TRAP_HANDLER: 0
; COMPUTE_PGM_RSRC2:TGID_X_EN: 1
; COMPUTE_PGM_RSRC2:TGID_Y_EN: 0
; COMPUTE_PGM_RSRC2:TGID_Z_EN: 0
; COMPUTE_PGM_RSRC2:TIDIG_COMP_CNT: 0
; COMPUTE_PGM_RSRC3_GFX90A:ACCUM_OFFSET: 12
; COMPUTE_PGM_RSRC3_GFX90A:TG_SPLIT: 0
	.section	.text._ZN7rocprim17ROCPRIM_400000_NS6detail17trampoline_kernelINS0_14default_configENS1_35adjacent_difference_config_selectorILb1EaEEZNS1_24adjacent_difference_implIS3_Lb1ELb0EPaS7_N6thrust23THRUST_200600_302600_NS4plusIaEEEE10hipError_tPvRmT2_T3_mT4_P12ihipStream_tbEUlT_E_NS1_11comp_targetILNS1_3genE4ELNS1_11target_archE910ELNS1_3gpuE8ELNS1_3repE0EEENS1_30default_config_static_selectorELNS0_4arch9wavefront6targetE1EEEvT1_,"axG",@progbits,_ZN7rocprim17ROCPRIM_400000_NS6detail17trampoline_kernelINS0_14default_configENS1_35adjacent_difference_config_selectorILb1EaEEZNS1_24adjacent_difference_implIS3_Lb1ELb0EPaS7_N6thrust23THRUST_200600_302600_NS4plusIaEEEE10hipError_tPvRmT2_T3_mT4_P12ihipStream_tbEUlT_E_NS1_11comp_targetILNS1_3genE4ELNS1_11target_archE910ELNS1_3gpuE8ELNS1_3repE0EEENS1_30default_config_static_selectorELNS0_4arch9wavefront6targetE1EEEvT1_,comdat
	.protected	_ZN7rocprim17ROCPRIM_400000_NS6detail17trampoline_kernelINS0_14default_configENS1_35adjacent_difference_config_selectorILb1EaEEZNS1_24adjacent_difference_implIS3_Lb1ELb0EPaS7_N6thrust23THRUST_200600_302600_NS4plusIaEEEE10hipError_tPvRmT2_T3_mT4_P12ihipStream_tbEUlT_E_NS1_11comp_targetILNS1_3genE4ELNS1_11target_archE910ELNS1_3gpuE8ELNS1_3repE0EEENS1_30default_config_static_selectorELNS0_4arch9wavefront6targetE1EEEvT1_ ; -- Begin function _ZN7rocprim17ROCPRIM_400000_NS6detail17trampoline_kernelINS0_14default_configENS1_35adjacent_difference_config_selectorILb1EaEEZNS1_24adjacent_difference_implIS3_Lb1ELb0EPaS7_N6thrust23THRUST_200600_302600_NS4plusIaEEEE10hipError_tPvRmT2_T3_mT4_P12ihipStream_tbEUlT_E_NS1_11comp_targetILNS1_3genE4ELNS1_11target_archE910ELNS1_3gpuE8ELNS1_3repE0EEENS1_30default_config_static_selectorELNS0_4arch9wavefront6targetE1EEEvT1_
	.globl	_ZN7rocprim17ROCPRIM_400000_NS6detail17trampoline_kernelINS0_14default_configENS1_35adjacent_difference_config_selectorILb1EaEEZNS1_24adjacent_difference_implIS3_Lb1ELb0EPaS7_N6thrust23THRUST_200600_302600_NS4plusIaEEEE10hipError_tPvRmT2_T3_mT4_P12ihipStream_tbEUlT_E_NS1_11comp_targetILNS1_3genE4ELNS1_11target_archE910ELNS1_3gpuE8ELNS1_3repE0EEENS1_30default_config_static_selectorELNS0_4arch9wavefront6targetE1EEEvT1_
	.p2align	8
	.type	_ZN7rocprim17ROCPRIM_400000_NS6detail17trampoline_kernelINS0_14default_configENS1_35adjacent_difference_config_selectorILb1EaEEZNS1_24adjacent_difference_implIS3_Lb1ELb0EPaS7_N6thrust23THRUST_200600_302600_NS4plusIaEEEE10hipError_tPvRmT2_T3_mT4_P12ihipStream_tbEUlT_E_NS1_11comp_targetILNS1_3genE4ELNS1_11target_archE910ELNS1_3gpuE8ELNS1_3repE0EEENS1_30default_config_static_selectorELNS0_4arch9wavefront6targetE1EEEvT1_,@function
_ZN7rocprim17ROCPRIM_400000_NS6detail17trampoline_kernelINS0_14default_configENS1_35adjacent_difference_config_selectorILb1EaEEZNS1_24adjacent_difference_implIS3_Lb1ELb0EPaS7_N6thrust23THRUST_200600_302600_NS4plusIaEEEE10hipError_tPvRmT2_T3_mT4_P12ihipStream_tbEUlT_E_NS1_11comp_targetILNS1_3genE4ELNS1_11target_archE910ELNS1_3gpuE8ELNS1_3repE0EEENS1_30default_config_static_selectorELNS0_4arch9wavefront6targetE1EEEvT1_: ; @_ZN7rocprim17ROCPRIM_400000_NS6detail17trampoline_kernelINS0_14default_configENS1_35adjacent_difference_config_selectorILb1EaEEZNS1_24adjacent_difference_implIS3_Lb1ELb0EPaS7_N6thrust23THRUST_200600_302600_NS4plusIaEEEE10hipError_tPvRmT2_T3_mT4_P12ihipStream_tbEUlT_E_NS1_11comp_targetILNS1_3genE4ELNS1_11target_archE910ELNS1_3gpuE8ELNS1_3repE0EEENS1_30default_config_static_selectorELNS0_4arch9wavefront6targetE1EEEvT1_
; %bb.0:
	.section	.rodata,"a",@progbits
	.p2align	6, 0x0
	.amdhsa_kernel _ZN7rocprim17ROCPRIM_400000_NS6detail17trampoline_kernelINS0_14default_configENS1_35adjacent_difference_config_selectorILb1EaEEZNS1_24adjacent_difference_implIS3_Lb1ELb0EPaS7_N6thrust23THRUST_200600_302600_NS4plusIaEEEE10hipError_tPvRmT2_T3_mT4_P12ihipStream_tbEUlT_E_NS1_11comp_targetILNS1_3genE4ELNS1_11target_archE910ELNS1_3gpuE8ELNS1_3repE0EEENS1_30default_config_static_selectorELNS0_4arch9wavefront6targetE1EEEvT1_
		.amdhsa_group_segment_fixed_size 0
		.amdhsa_private_segment_fixed_size 0
		.amdhsa_kernarg_size 56
		.amdhsa_user_sgpr_count 2
		.amdhsa_user_sgpr_dispatch_ptr 0
		.amdhsa_user_sgpr_queue_ptr 0
		.amdhsa_user_sgpr_kernarg_segment_ptr 1
		.amdhsa_user_sgpr_dispatch_id 0
		.amdhsa_user_sgpr_kernarg_preload_length 0
		.amdhsa_user_sgpr_kernarg_preload_offset 0
		.amdhsa_user_sgpr_private_segment_size 0
		.amdhsa_uses_dynamic_stack 0
		.amdhsa_enable_private_segment 0
		.amdhsa_system_sgpr_workgroup_id_x 1
		.amdhsa_system_sgpr_workgroup_id_y 0
		.amdhsa_system_sgpr_workgroup_id_z 0
		.amdhsa_system_sgpr_workgroup_info 0
		.amdhsa_system_vgpr_workitem_id 0
		.amdhsa_next_free_vgpr 1
		.amdhsa_next_free_sgpr 0
		.amdhsa_accum_offset 4
		.amdhsa_reserve_vcc 0
		.amdhsa_float_round_mode_32 0
		.amdhsa_float_round_mode_16_64 0
		.amdhsa_float_denorm_mode_32 3
		.amdhsa_float_denorm_mode_16_64 3
		.amdhsa_dx10_clamp 1
		.amdhsa_ieee_mode 1
		.amdhsa_fp16_overflow 0
		.amdhsa_tg_split 0
		.amdhsa_exception_fp_ieee_invalid_op 0
		.amdhsa_exception_fp_denorm_src 0
		.amdhsa_exception_fp_ieee_div_zero 0
		.amdhsa_exception_fp_ieee_overflow 0
		.amdhsa_exception_fp_ieee_underflow 0
		.amdhsa_exception_fp_ieee_inexact 0
		.amdhsa_exception_int_div_zero 0
	.end_amdhsa_kernel
	.section	.text._ZN7rocprim17ROCPRIM_400000_NS6detail17trampoline_kernelINS0_14default_configENS1_35adjacent_difference_config_selectorILb1EaEEZNS1_24adjacent_difference_implIS3_Lb1ELb0EPaS7_N6thrust23THRUST_200600_302600_NS4plusIaEEEE10hipError_tPvRmT2_T3_mT4_P12ihipStream_tbEUlT_E_NS1_11comp_targetILNS1_3genE4ELNS1_11target_archE910ELNS1_3gpuE8ELNS1_3repE0EEENS1_30default_config_static_selectorELNS0_4arch9wavefront6targetE1EEEvT1_,"axG",@progbits,_ZN7rocprim17ROCPRIM_400000_NS6detail17trampoline_kernelINS0_14default_configENS1_35adjacent_difference_config_selectorILb1EaEEZNS1_24adjacent_difference_implIS3_Lb1ELb0EPaS7_N6thrust23THRUST_200600_302600_NS4plusIaEEEE10hipError_tPvRmT2_T3_mT4_P12ihipStream_tbEUlT_E_NS1_11comp_targetILNS1_3genE4ELNS1_11target_archE910ELNS1_3gpuE8ELNS1_3repE0EEENS1_30default_config_static_selectorELNS0_4arch9wavefront6targetE1EEEvT1_,comdat
.Lfunc_end46:
	.size	_ZN7rocprim17ROCPRIM_400000_NS6detail17trampoline_kernelINS0_14default_configENS1_35adjacent_difference_config_selectorILb1EaEEZNS1_24adjacent_difference_implIS3_Lb1ELb0EPaS7_N6thrust23THRUST_200600_302600_NS4plusIaEEEE10hipError_tPvRmT2_T3_mT4_P12ihipStream_tbEUlT_E_NS1_11comp_targetILNS1_3genE4ELNS1_11target_archE910ELNS1_3gpuE8ELNS1_3repE0EEENS1_30default_config_static_selectorELNS0_4arch9wavefront6targetE1EEEvT1_, .Lfunc_end46-_ZN7rocprim17ROCPRIM_400000_NS6detail17trampoline_kernelINS0_14default_configENS1_35adjacent_difference_config_selectorILb1EaEEZNS1_24adjacent_difference_implIS3_Lb1ELb0EPaS7_N6thrust23THRUST_200600_302600_NS4plusIaEEEE10hipError_tPvRmT2_T3_mT4_P12ihipStream_tbEUlT_E_NS1_11comp_targetILNS1_3genE4ELNS1_11target_archE910ELNS1_3gpuE8ELNS1_3repE0EEENS1_30default_config_static_selectorELNS0_4arch9wavefront6targetE1EEEvT1_
                                        ; -- End function
	.section	.AMDGPU.csdata,"",@progbits
; Kernel info:
; codeLenInByte = 0
; NumSgprs: 6
; NumVgprs: 0
; NumAgprs: 0
; TotalNumVgprs: 0
; ScratchSize: 0
; MemoryBound: 0
; FloatMode: 240
; IeeeMode: 1
; LDSByteSize: 0 bytes/workgroup (compile time only)
; SGPRBlocks: 0
; VGPRBlocks: 0
; NumSGPRsForWavesPerEU: 6
; NumVGPRsForWavesPerEU: 1
; AccumOffset: 4
; Occupancy: 8
; WaveLimiterHint : 0
; COMPUTE_PGM_RSRC2:SCRATCH_EN: 0
; COMPUTE_PGM_RSRC2:USER_SGPR: 2
; COMPUTE_PGM_RSRC2:TRAP_HANDLER: 0
; COMPUTE_PGM_RSRC2:TGID_X_EN: 1
; COMPUTE_PGM_RSRC2:TGID_Y_EN: 0
; COMPUTE_PGM_RSRC2:TGID_Z_EN: 0
; COMPUTE_PGM_RSRC2:TIDIG_COMP_CNT: 0
; COMPUTE_PGM_RSRC3_GFX90A:ACCUM_OFFSET: 0
; COMPUTE_PGM_RSRC3_GFX90A:TG_SPLIT: 0
	.section	.text._ZN7rocprim17ROCPRIM_400000_NS6detail17trampoline_kernelINS0_14default_configENS1_35adjacent_difference_config_selectorILb1EaEEZNS1_24adjacent_difference_implIS3_Lb1ELb0EPaS7_N6thrust23THRUST_200600_302600_NS4plusIaEEEE10hipError_tPvRmT2_T3_mT4_P12ihipStream_tbEUlT_E_NS1_11comp_targetILNS1_3genE3ELNS1_11target_archE908ELNS1_3gpuE7ELNS1_3repE0EEENS1_30default_config_static_selectorELNS0_4arch9wavefront6targetE1EEEvT1_,"axG",@progbits,_ZN7rocprim17ROCPRIM_400000_NS6detail17trampoline_kernelINS0_14default_configENS1_35adjacent_difference_config_selectorILb1EaEEZNS1_24adjacent_difference_implIS3_Lb1ELb0EPaS7_N6thrust23THRUST_200600_302600_NS4plusIaEEEE10hipError_tPvRmT2_T3_mT4_P12ihipStream_tbEUlT_E_NS1_11comp_targetILNS1_3genE3ELNS1_11target_archE908ELNS1_3gpuE7ELNS1_3repE0EEENS1_30default_config_static_selectorELNS0_4arch9wavefront6targetE1EEEvT1_,comdat
	.protected	_ZN7rocprim17ROCPRIM_400000_NS6detail17trampoline_kernelINS0_14default_configENS1_35adjacent_difference_config_selectorILb1EaEEZNS1_24adjacent_difference_implIS3_Lb1ELb0EPaS7_N6thrust23THRUST_200600_302600_NS4plusIaEEEE10hipError_tPvRmT2_T3_mT4_P12ihipStream_tbEUlT_E_NS1_11comp_targetILNS1_3genE3ELNS1_11target_archE908ELNS1_3gpuE7ELNS1_3repE0EEENS1_30default_config_static_selectorELNS0_4arch9wavefront6targetE1EEEvT1_ ; -- Begin function _ZN7rocprim17ROCPRIM_400000_NS6detail17trampoline_kernelINS0_14default_configENS1_35adjacent_difference_config_selectorILb1EaEEZNS1_24adjacent_difference_implIS3_Lb1ELb0EPaS7_N6thrust23THRUST_200600_302600_NS4plusIaEEEE10hipError_tPvRmT2_T3_mT4_P12ihipStream_tbEUlT_E_NS1_11comp_targetILNS1_3genE3ELNS1_11target_archE908ELNS1_3gpuE7ELNS1_3repE0EEENS1_30default_config_static_selectorELNS0_4arch9wavefront6targetE1EEEvT1_
	.globl	_ZN7rocprim17ROCPRIM_400000_NS6detail17trampoline_kernelINS0_14default_configENS1_35adjacent_difference_config_selectorILb1EaEEZNS1_24adjacent_difference_implIS3_Lb1ELb0EPaS7_N6thrust23THRUST_200600_302600_NS4plusIaEEEE10hipError_tPvRmT2_T3_mT4_P12ihipStream_tbEUlT_E_NS1_11comp_targetILNS1_3genE3ELNS1_11target_archE908ELNS1_3gpuE7ELNS1_3repE0EEENS1_30default_config_static_selectorELNS0_4arch9wavefront6targetE1EEEvT1_
	.p2align	8
	.type	_ZN7rocprim17ROCPRIM_400000_NS6detail17trampoline_kernelINS0_14default_configENS1_35adjacent_difference_config_selectorILb1EaEEZNS1_24adjacent_difference_implIS3_Lb1ELb0EPaS7_N6thrust23THRUST_200600_302600_NS4plusIaEEEE10hipError_tPvRmT2_T3_mT4_P12ihipStream_tbEUlT_E_NS1_11comp_targetILNS1_3genE3ELNS1_11target_archE908ELNS1_3gpuE7ELNS1_3repE0EEENS1_30default_config_static_selectorELNS0_4arch9wavefront6targetE1EEEvT1_,@function
_ZN7rocprim17ROCPRIM_400000_NS6detail17trampoline_kernelINS0_14default_configENS1_35adjacent_difference_config_selectorILb1EaEEZNS1_24adjacent_difference_implIS3_Lb1ELb0EPaS7_N6thrust23THRUST_200600_302600_NS4plusIaEEEE10hipError_tPvRmT2_T3_mT4_P12ihipStream_tbEUlT_E_NS1_11comp_targetILNS1_3genE3ELNS1_11target_archE908ELNS1_3gpuE7ELNS1_3repE0EEENS1_30default_config_static_selectorELNS0_4arch9wavefront6targetE1EEEvT1_: ; @_ZN7rocprim17ROCPRIM_400000_NS6detail17trampoline_kernelINS0_14default_configENS1_35adjacent_difference_config_selectorILb1EaEEZNS1_24adjacent_difference_implIS3_Lb1ELb0EPaS7_N6thrust23THRUST_200600_302600_NS4plusIaEEEE10hipError_tPvRmT2_T3_mT4_P12ihipStream_tbEUlT_E_NS1_11comp_targetILNS1_3genE3ELNS1_11target_archE908ELNS1_3gpuE7ELNS1_3repE0EEENS1_30default_config_static_selectorELNS0_4arch9wavefront6targetE1EEEvT1_
; %bb.0:
	.section	.rodata,"a",@progbits
	.p2align	6, 0x0
	.amdhsa_kernel _ZN7rocprim17ROCPRIM_400000_NS6detail17trampoline_kernelINS0_14default_configENS1_35adjacent_difference_config_selectorILb1EaEEZNS1_24adjacent_difference_implIS3_Lb1ELb0EPaS7_N6thrust23THRUST_200600_302600_NS4plusIaEEEE10hipError_tPvRmT2_T3_mT4_P12ihipStream_tbEUlT_E_NS1_11comp_targetILNS1_3genE3ELNS1_11target_archE908ELNS1_3gpuE7ELNS1_3repE0EEENS1_30default_config_static_selectorELNS0_4arch9wavefront6targetE1EEEvT1_
		.amdhsa_group_segment_fixed_size 0
		.amdhsa_private_segment_fixed_size 0
		.amdhsa_kernarg_size 56
		.amdhsa_user_sgpr_count 2
		.amdhsa_user_sgpr_dispatch_ptr 0
		.amdhsa_user_sgpr_queue_ptr 0
		.amdhsa_user_sgpr_kernarg_segment_ptr 1
		.amdhsa_user_sgpr_dispatch_id 0
		.amdhsa_user_sgpr_kernarg_preload_length 0
		.amdhsa_user_sgpr_kernarg_preload_offset 0
		.amdhsa_user_sgpr_private_segment_size 0
		.amdhsa_uses_dynamic_stack 0
		.amdhsa_enable_private_segment 0
		.amdhsa_system_sgpr_workgroup_id_x 1
		.amdhsa_system_sgpr_workgroup_id_y 0
		.amdhsa_system_sgpr_workgroup_id_z 0
		.amdhsa_system_sgpr_workgroup_info 0
		.amdhsa_system_vgpr_workitem_id 0
		.amdhsa_next_free_vgpr 1
		.amdhsa_next_free_sgpr 0
		.amdhsa_accum_offset 4
		.amdhsa_reserve_vcc 0
		.amdhsa_float_round_mode_32 0
		.amdhsa_float_round_mode_16_64 0
		.amdhsa_float_denorm_mode_32 3
		.amdhsa_float_denorm_mode_16_64 3
		.amdhsa_dx10_clamp 1
		.amdhsa_ieee_mode 1
		.amdhsa_fp16_overflow 0
		.amdhsa_tg_split 0
		.amdhsa_exception_fp_ieee_invalid_op 0
		.amdhsa_exception_fp_denorm_src 0
		.amdhsa_exception_fp_ieee_div_zero 0
		.amdhsa_exception_fp_ieee_overflow 0
		.amdhsa_exception_fp_ieee_underflow 0
		.amdhsa_exception_fp_ieee_inexact 0
		.amdhsa_exception_int_div_zero 0
	.end_amdhsa_kernel
	.section	.text._ZN7rocprim17ROCPRIM_400000_NS6detail17trampoline_kernelINS0_14default_configENS1_35adjacent_difference_config_selectorILb1EaEEZNS1_24adjacent_difference_implIS3_Lb1ELb0EPaS7_N6thrust23THRUST_200600_302600_NS4plusIaEEEE10hipError_tPvRmT2_T3_mT4_P12ihipStream_tbEUlT_E_NS1_11comp_targetILNS1_3genE3ELNS1_11target_archE908ELNS1_3gpuE7ELNS1_3repE0EEENS1_30default_config_static_selectorELNS0_4arch9wavefront6targetE1EEEvT1_,"axG",@progbits,_ZN7rocprim17ROCPRIM_400000_NS6detail17trampoline_kernelINS0_14default_configENS1_35adjacent_difference_config_selectorILb1EaEEZNS1_24adjacent_difference_implIS3_Lb1ELb0EPaS7_N6thrust23THRUST_200600_302600_NS4plusIaEEEE10hipError_tPvRmT2_T3_mT4_P12ihipStream_tbEUlT_E_NS1_11comp_targetILNS1_3genE3ELNS1_11target_archE908ELNS1_3gpuE7ELNS1_3repE0EEENS1_30default_config_static_selectorELNS0_4arch9wavefront6targetE1EEEvT1_,comdat
.Lfunc_end47:
	.size	_ZN7rocprim17ROCPRIM_400000_NS6detail17trampoline_kernelINS0_14default_configENS1_35adjacent_difference_config_selectorILb1EaEEZNS1_24adjacent_difference_implIS3_Lb1ELb0EPaS7_N6thrust23THRUST_200600_302600_NS4plusIaEEEE10hipError_tPvRmT2_T3_mT4_P12ihipStream_tbEUlT_E_NS1_11comp_targetILNS1_3genE3ELNS1_11target_archE908ELNS1_3gpuE7ELNS1_3repE0EEENS1_30default_config_static_selectorELNS0_4arch9wavefront6targetE1EEEvT1_, .Lfunc_end47-_ZN7rocprim17ROCPRIM_400000_NS6detail17trampoline_kernelINS0_14default_configENS1_35adjacent_difference_config_selectorILb1EaEEZNS1_24adjacent_difference_implIS3_Lb1ELb0EPaS7_N6thrust23THRUST_200600_302600_NS4plusIaEEEE10hipError_tPvRmT2_T3_mT4_P12ihipStream_tbEUlT_E_NS1_11comp_targetILNS1_3genE3ELNS1_11target_archE908ELNS1_3gpuE7ELNS1_3repE0EEENS1_30default_config_static_selectorELNS0_4arch9wavefront6targetE1EEEvT1_
                                        ; -- End function
	.section	.AMDGPU.csdata,"",@progbits
; Kernel info:
; codeLenInByte = 0
; NumSgprs: 6
; NumVgprs: 0
; NumAgprs: 0
; TotalNumVgprs: 0
; ScratchSize: 0
; MemoryBound: 0
; FloatMode: 240
; IeeeMode: 1
; LDSByteSize: 0 bytes/workgroup (compile time only)
; SGPRBlocks: 0
; VGPRBlocks: 0
; NumSGPRsForWavesPerEU: 6
; NumVGPRsForWavesPerEU: 1
; AccumOffset: 4
; Occupancy: 8
; WaveLimiterHint : 0
; COMPUTE_PGM_RSRC2:SCRATCH_EN: 0
; COMPUTE_PGM_RSRC2:USER_SGPR: 2
; COMPUTE_PGM_RSRC2:TRAP_HANDLER: 0
; COMPUTE_PGM_RSRC2:TGID_X_EN: 1
; COMPUTE_PGM_RSRC2:TGID_Y_EN: 0
; COMPUTE_PGM_RSRC2:TGID_Z_EN: 0
; COMPUTE_PGM_RSRC2:TIDIG_COMP_CNT: 0
; COMPUTE_PGM_RSRC3_GFX90A:ACCUM_OFFSET: 0
; COMPUTE_PGM_RSRC3_GFX90A:TG_SPLIT: 0
	.section	.text._ZN7rocprim17ROCPRIM_400000_NS6detail17trampoline_kernelINS0_14default_configENS1_35adjacent_difference_config_selectorILb1EaEEZNS1_24adjacent_difference_implIS3_Lb1ELb0EPaS7_N6thrust23THRUST_200600_302600_NS4plusIaEEEE10hipError_tPvRmT2_T3_mT4_P12ihipStream_tbEUlT_E_NS1_11comp_targetILNS1_3genE2ELNS1_11target_archE906ELNS1_3gpuE6ELNS1_3repE0EEENS1_30default_config_static_selectorELNS0_4arch9wavefront6targetE1EEEvT1_,"axG",@progbits,_ZN7rocprim17ROCPRIM_400000_NS6detail17trampoline_kernelINS0_14default_configENS1_35adjacent_difference_config_selectorILb1EaEEZNS1_24adjacent_difference_implIS3_Lb1ELb0EPaS7_N6thrust23THRUST_200600_302600_NS4plusIaEEEE10hipError_tPvRmT2_T3_mT4_P12ihipStream_tbEUlT_E_NS1_11comp_targetILNS1_3genE2ELNS1_11target_archE906ELNS1_3gpuE6ELNS1_3repE0EEENS1_30default_config_static_selectorELNS0_4arch9wavefront6targetE1EEEvT1_,comdat
	.protected	_ZN7rocprim17ROCPRIM_400000_NS6detail17trampoline_kernelINS0_14default_configENS1_35adjacent_difference_config_selectorILb1EaEEZNS1_24adjacent_difference_implIS3_Lb1ELb0EPaS7_N6thrust23THRUST_200600_302600_NS4plusIaEEEE10hipError_tPvRmT2_T3_mT4_P12ihipStream_tbEUlT_E_NS1_11comp_targetILNS1_3genE2ELNS1_11target_archE906ELNS1_3gpuE6ELNS1_3repE0EEENS1_30default_config_static_selectorELNS0_4arch9wavefront6targetE1EEEvT1_ ; -- Begin function _ZN7rocprim17ROCPRIM_400000_NS6detail17trampoline_kernelINS0_14default_configENS1_35adjacent_difference_config_selectorILb1EaEEZNS1_24adjacent_difference_implIS3_Lb1ELb0EPaS7_N6thrust23THRUST_200600_302600_NS4plusIaEEEE10hipError_tPvRmT2_T3_mT4_P12ihipStream_tbEUlT_E_NS1_11comp_targetILNS1_3genE2ELNS1_11target_archE906ELNS1_3gpuE6ELNS1_3repE0EEENS1_30default_config_static_selectorELNS0_4arch9wavefront6targetE1EEEvT1_
	.globl	_ZN7rocprim17ROCPRIM_400000_NS6detail17trampoline_kernelINS0_14default_configENS1_35adjacent_difference_config_selectorILb1EaEEZNS1_24adjacent_difference_implIS3_Lb1ELb0EPaS7_N6thrust23THRUST_200600_302600_NS4plusIaEEEE10hipError_tPvRmT2_T3_mT4_P12ihipStream_tbEUlT_E_NS1_11comp_targetILNS1_3genE2ELNS1_11target_archE906ELNS1_3gpuE6ELNS1_3repE0EEENS1_30default_config_static_selectorELNS0_4arch9wavefront6targetE1EEEvT1_
	.p2align	8
	.type	_ZN7rocprim17ROCPRIM_400000_NS6detail17trampoline_kernelINS0_14default_configENS1_35adjacent_difference_config_selectorILb1EaEEZNS1_24adjacent_difference_implIS3_Lb1ELb0EPaS7_N6thrust23THRUST_200600_302600_NS4plusIaEEEE10hipError_tPvRmT2_T3_mT4_P12ihipStream_tbEUlT_E_NS1_11comp_targetILNS1_3genE2ELNS1_11target_archE906ELNS1_3gpuE6ELNS1_3repE0EEENS1_30default_config_static_selectorELNS0_4arch9wavefront6targetE1EEEvT1_,@function
_ZN7rocprim17ROCPRIM_400000_NS6detail17trampoline_kernelINS0_14default_configENS1_35adjacent_difference_config_selectorILb1EaEEZNS1_24adjacent_difference_implIS3_Lb1ELb0EPaS7_N6thrust23THRUST_200600_302600_NS4plusIaEEEE10hipError_tPvRmT2_T3_mT4_P12ihipStream_tbEUlT_E_NS1_11comp_targetILNS1_3genE2ELNS1_11target_archE906ELNS1_3gpuE6ELNS1_3repE0EEENS1_30default_config_static_selectorELNS0_4arch9wavefront6targetE1EEEvT1_: ; @_ZN7rocprim17ROCPRIM_400000_NS6detail17trampoline_kernelINS0_14default_configENS1_35adjacent_difference_config_selectorILb1EaEEZNS1_24adjacent_difference_implIS3_Lb1ELb0EPaS7_N6thrust23THRUST_200600_302600_NS4plusIaEEEE10hipError_tPvRmT2_T3_mT4_P12ihipStream_tbEUlT_E_NS1_11comp_targetILNS1_3genE2ELNS1_11target_archE906ELNS1_3gpuE6ELNS1_3repE0EEENS1_30default_config_static_selectorELNS0_4arch9wavefront6targetE1EEEvT1_
; %bb.0:
	.section	.rodata,"a",@progbits
	.p2align	6, 0x0
	.amdhsa_kernel _ZN7rocprim17ROCPRIM_400000_NS6detail17trampoline_kernelINS0_14default_configENS1_35adjacent_difference_config_selectorILb1EaEEZNS1_24adjacent_difference_implIS3_Lb1ELb0EPaS7_N6thrust23THRUST_200600_302600_NS4plusIaEEEE10hipError_tPvRmT2_T3_mT4_P12ihipStream_tbEUlT_E_NS1_11comp_targetILNS1_3genE2ELNS1_11target_archE906ELNS1_3gpuE6ELNS1_3repE0EEENS1_30default_config_static_selectorELNS0_4arch9wavefront6targetE1EEEvT1_
		.amdhsa_group_segment_fixed_size 0
		.amdhsa_private_segment_fixed_size 0
		.amdhsa_kernarg_size 56
		.amdhsa_user_sgpr_count 2
		.amdhsa_user_sgpr_dispatch_ptr 0
		.amdhsa_user_sgpr_queue_ptr 0
		.amdhsa_user_sgpr_kernarg_segment_ptr 1
		.amdhsa_user_sgpr_dispatch_id 0
		.amdhsa_user_sgpr_kernarg_preload_length 0
		.amdhsa_user_sgpr_kernarg_preload_offset 0
		.amdhsa_user_sgpr_private_segment_size 0
		.amdhsa_uses_dynamic_stack 0
		.amdhsa_enable_private_segment 0
		.amdhsa_system_sgpr_workgroup_id_x 1
		.amdhsa_system_sgpr_workgroup_id_y 0
		.amdhsa_system_sgpr_workgroup_id_z 0
		.amdhsa_system_sgpr_workgroup_info 0
		.amdhsa_system_vgpr_workitem_id 0
		.amdhsa_next_free_vgpr 1
		.amdhsa_next_free_sgpr 0
		.amdhsa_accum_offset 4
		.amdhsa_reserve_vcc 0
		.amdhsa_float_round_mode_32 0
		.amdhsa_float_round_mode_16_64 0
		.amdhsa_float_denorm_mode_32 3
		.amdhsa_float_denorm_mode_16_64 3
		.amdhsa_dx10_clamp 1
		.amdhsa_ieee_mode 1
		.amdhsa_fp16_overflow 0
		.amdhsa_tg_split 0
		.amdhsa_exception_fp_ieee_invalid_op 0
		.amdhsa_exception_fp_denorm_src 0
		.amdhsa_exception_fp_ieee_div_zero 0
		.amdhsa_exception_fp_ieee_overflow 0
		.amdhsa_exception_fp_ieee_underflow 0
		.amdhsa_exception_fp_ieee_inexact 0
		.amdhsa_exception_int_div_zero 0
	.end_amdhsa_kernel
	.section	.text._ZN7rocprim17ROCPRIM_400000_NS6detail17trampoline_kernelINS0_14default_configENS1_35adjacent_difference_config_selectorILb1EaEEZNS1_24adjacent_difference_implIS3_Lb1ELb0EPaS7_N6thrust23THRUST_200600_302600_NS4plusIaEEEE10hipError_tPvRmT2_T3_mT4_P12ihipStream_tbEUlT_E_NS1_11comp_targetILNS1_3genE2ELNS1_11target_archE906ELNS1_3gpuE6ELNS1_3repE0EEENS1_30default_config_static_selectorELNS0_4arch9wavefront6targetE1EEEvT1_,"axG",@progbits,_ZN7rocprim17ROCPRIM_400000_NS6detail17trampoline_kernelINS0_14default_configENS1_35adjacent_difference_config_selectorILb1EaEEZNS1_24adjacent_difference_implIS3_Lb1ELb0EPaS7_N6thrust23THRUST_200600_302600_NS4plusIaEEEE10hipError_tPvRmT2_T3_mT4_P12ihipStream_tbEUlT_E_NS1_11comp_targetILNS1_3genE2ELNS1_11target_archE906ELNS1_3gpuE6ELNS1_3repE0EEENS1_30default_config_static_selectorELNS0_4arch9wavefront6targetE1EEEvT1_,comdat
.Lfunc_end48:
	.size	_ZN7rocprim17ROCPRIM_400000_NS6detail17trampoline_kernelINS0_14default_configENS1_35adjacent_difference_config_selectorILb1EaEEZNS1_24adjacent_difference_implIS3_Lb1ELb0EPaS7_N6thrust23THRUST_200600_302600_NS4plusIaEEEE10hipError_tPvRmT2_T3_mT4_P12ihipStream_tbEUlT_E_NS1_11comp_targetILNS1_3genE2ELNS1_11target_archE906ELNS1_3gpuE6ELNS1_3repE0EEENS1_30default_config_static_selectorELNS0_4arch9wavefront6targetE1EEEvT1_, .Lfunc_end48-_ZN7rocprim17ROCPRIM_400000_NS6detail17trampoline_kernelINS0_14default_configENS1_35adjacent_difference_config_selectorILb1EaEEZNS1_24adjacent_difference_implIS3_Lb1ELb0EPaS7_N6thrust23THRUST_200600_302600_NS4plusIaEEEE10hipError_tPvRmT2_T3_mT4_P12ihipStream_tbEUlT_E_NS1_11comp_targetILNS1_3genE2ELNS1_11target_archE906ELNS1_3gpuE6ELNS1_3repE0EEENS1_30default_config_static_selectorELNS0_4arch9wavefront6targetE1EEEvT1_
                                        ; -- End function
	.section	.AMDGPU.csdata,"",@progbits
; Kernel info:
; codeLenInByte = 0
; NumSgprs: 6
; NumVgprs: 0
; NumAgprs: 0
; TotalNumVgprs: 0
; ScratchSize: 0
; MemoryBound: 0
; FloatMode: 240
; IeeeMode: 1
; LDSByteSize: 0 bytes/workgroup (compile time only)
; SGPRBlocks: 0
; VGPRBlocks: 0
; NumSGPRsForWavesPerEU: 6
; NumVGPRsForWavesPerEU: 1
; AccumOffset: 4
; Occupancy: 8
; WaveLimiterHint : 0
; COMPUTE_PGM_RSRC2:SCRATCH_EN: 0
; COMPUTE_PGM_RSRC2:USER_SGPR: 2
; COMPUTE_PGM_RSRC2:TRAP_HANDLER: 0
; COMPUTE_PGM_RSRC2:TGID_X_EN: 1
; COMPUTE_PGM_RSRC2:TGID_Y_EN: 0
; COMPUTE_PGM_RSRC2:TGID_Z_EN: 0
; COMPUTE_PGM_RSRC2:TIDIG_COMP_CNT: 0
; COMPUTE_PGM_RSRC3_GFX90A:ACCUM_OFFSET: 0
; COMPUTE_PGM_RSRC3_GFX90A:TG_SPLIT: 0
	.section	.text._ZN7rocprim17ROCPRIM_400000_NS6detail17trampoline_kernelINS0_14default_configENS1_35adjacent_difference_config_selectorILb1EaEEZNS1_24adjacent_difference_implIS3_Lb1ELb0EPaS7_N6thrust23THRUST_200600_302600_NS4plusIaEEEE10hipError_tPvRmT2_T3_mT4_P12ihipStream_tbEUlT_E_NS1_11comp_targetILNS1_3genE9ELNS1_11target_archE1100ELNS1_3gpuE3ELNS1_3repE0EEENS1_30default_config_static_selectorELNS0_4arch9wavefront6targetE1EEEvT1_,"axG",@progbits,_ZN7rocprim17ROCPRIM_400000_NS6detail17trampoline_kernelINS0_14default_configENS1_35adjacent_difference_config_selectorILb1EaEEZNS1_24adjacent_difference_implIS3_Lb1ELb0EPaS7_N6thrust23THRUST_200600_302600_NS4plusIaEEEE10hipError_tPvRmT2_T3_mT4_P12ihipStream_tbEUlT_E_NS1_11comp_targetILNS1_3genE9ELNS1_11target_archE1100ELNS1_3gpuE3ELNS1_3repE0EEENS1_30default_config_static_selectorELNS0_4arch9wavefront6targetE1EEEvT1_,comdat
	.protected	_ZN7rocprim17ROCPRIM_400000_NS6detail17trampoline_kernelINS0_14default_configENS1_35adjacent_difference_config_selectorILb1EaEEZNS1_24adjacent_difference_implIS3_Lb1ELb0EPaS7_N6thrust23THRUST_200600_302600_NS4plusIaEEEE10hipError_tPvRmT2_T3_mT4_P12ihipStream_tbEUlT_E_NS1_11comp_targetILNS1_3genE9ELNS1_11target_archE1100ELNS1_3gpuE3ELNS1_3repE0EEENS1_30default_config_static_selectorELNS0_4arch9wavefront6targetE1EEEvT1_ ; -- Begin function _ZN7rocprim17ROCPRIM_400000_NS6detail17trampoline_kernelINS0_14default_configENS1_35adjacent_difference_config_selectorILb1EaEEZNS1_24adjacent_difference_implIS3_Lb1ELb0EPaS7_N6thrust23THRUST_200600_302600_NS4plusIaEEEE10hipError_tPvRmT2_T3_mT4_P12ihipStream_tbEUlT_E_NS1_11comp_targetILNS1_3genE9ELNS1_11target_archE1100ELNS1_3gpuE3ELNS1_3repE0EEENS1_30default_config_static_selectorELNS0_4arch9wavefront6targetE1EEEvT1_
	.globl	_ZN7rocprim17ROCPRIM_400000_NS6detail17trampoline_kernelINS0_14default_configENS1_35adjacent_difference_config_selectorILb1EaEEZNS1_24adjacent_difference_implIS3_Lb1ELb0EPaS7_N6thrust23THRUST_200600_302600_NS4plusIaEEEE10hipError_tPvRmT2_T3_mT4_P12ihipStream_tbEUlT_E_NS1_11comp_targetILNS1_3genE9ELNS1_11target_archE1100ELNS1_3gpuE3ELNS1_3repE0EEENS1_30default_config_static_selectorELNS0_4arch9wavefront6targetE1EEEvT1_
	.p2align	8
	.type	_ZN7rocprim17ROCPRIM_400000_NS6detail17trampoline_kernelINS0_14default_configENS1_35adjacent_difference_config_selectorILb1EaEEZNS1_24adjacent_difference_implIS3_Lb1ELb0EPaS7_N6thrust23THRUST_200600_302600_NS4plusIaEEEE10hipError_tPvRmT2_T3_mT4_P12ihipStream_tbEUlT_E_NS1_11comp_targetILNS1_3genE9ELNS1_11target_archE1100ELNS1_3gpuE3ELNS1_3repE0EEENS1_30default_config_static_selectorELNS0_4arch9wavefront6targetE1EEEvT1_,@function
_ZN7rocprim17ROCPRIM_400000_NS6detail17trampoline_kernelINS0_14default_configENS1_35adjacent_difference_config_selectorILb1EaEEZNS1_24adjacent_difference_implIS3_Lb1ELb0EPaS7_N6thrust23THRUST_200600_302600_NS4plusIaEEEE10hipError_tPvRmT2_T3_mT4_P12ihipStream_tbEUlT_E_NS1_11comp_targetILNS1_3genE9ELNS1_11target_archE1100ELNS1_3gpuE3ELNS1_3repE0EEENS1_30default_config_static_selectorELNS0_4arch9wavefront6targetE1EEEvT1_: ; @_ZN7rocprim17ROCPRIM_400000_NS6detail17trampoline_kernelINS0_14default_configENS1_35adjacent_difference_config_selectorILb1EaEEZNS1_24adjacent_difference_implIS3_Lb1ELb0EPaS7_N6thrust23THRUST_200600_302600_NS4plusIaEEEE10hipError_tPvRmT2_T3_mT4_P12ihipStream_tbEUlT_E_NS1_11comp_targetILNS1_3genE9ELNS1_11target_archE1100ELNS1_3gpuE3ELNS1_3repE0EEENS1_30default_config_static_selectorELNS0_4arch9wavefront6targetE1EEEvT1_
; %bb.0:
	.section	.rodata,"a",@progbits
	.p2align	6, 0x0
	.amdhsa_kernel _ZN7rocprim17ROCPRIM_400000_NS6detail17trampoline_kernelINS0_14default_configENS1_35adjacent_difference_config_selectorILb1EaEEZNS1_24adjacent_difference_implIS3_Lb1ELb0EPaS7_N6thrust23THRUST_200600_302600_NS4plusIaEEEE10hipError_tPvRmT2_T3_mT4_P12ihipStream_tbEUlT_E_NS1_11comp_targetILNS1_3genE9ELNS1_11target_archE1100ELNS1_3gpuE3ELNS1_3repE0EEENS1_30default_config_static_selectorELNS0_4arch9wavefront6targetE1EEEvT1_
		.amdhsa_group_segment_fixed_size 0
		.amdhsa_private_segment_fixed_size 0
		.amdhsa_kernarg_size 56
		.amdhsa_user_sgpr_count 2
		.amdhsa_user_sgpr_dispatch_ptr 0
		.amdhsa_user_sgpr_queue_ptr 0
		.amdhsa_user_sgpr_kernarg_segment_ptr 1
		.amdhsa_user_sgpr_dispatch_id 0
		.amdhsa_user_sgpr_kernarg_preload_length 0
		.amdhsa_user_sgpr_kernarg_preload_offset 0
		.amdhsa_user_sgpr_private_segment_size 0
		.amdhsa_uses_dynamic_stack 0
		.amdhsa_enable_private_segment 0
		.amdhsa_system_sgpr_workgroup_id_x 1
		.amdhsa_system_sgpr_workgroup_id_y 0
		.amdhsa_system_sgpr_workgroup_id_z 0
		.amdhsa_system_sgpr_workgroup_info 0
		.amdhsa_system_vgpr_workitem_id 0
		.amdhsa_next_free_vgpr 1
		.amdhsa_next_free_sgpr 0
		.amdhsa_accum_offset 4
		.amdhsa_reserve_vcc 0
		.amdhsa_float_round_mode_32 0
		.amdhsa_float_round_mode_16_64 0
		.amdhsa_float_denorm_mode_32 3
		.amdhsa_float_denorm_mode_16_64 3
		.amdhsa_dx10_clamp 1
		.amdhsa_ieee_mode 1
		.amdhsa_fp16_overflow 0
		.amdhsa_tg_split 0
		.amdhsa_exception_fp_ieee_invalid_op 0
		.amdhsa_exception_fp_denorm_src 0
		.amdhsa_exception_fp_ieee_div_zero 0
		.amdhsa_exception_fp_ieee_overflow 0
		.amdhsa_exception_fp_ieee_underflow 0
		.amdhsa_exception_fp_ieee_inexact 0
		.amdhsa_exception_int_div_zero 0
	.end_amdhsa_kernel
	.section	.text._ZN7rocprim17ROCPRIM_400000_NS6detail17trampoline_kernelINS0_14default_configENS1_35adjacent_difference_config_selectorILb1EaEEZNS1_24adjacent_difference_implIS3_Lb1ELb0EPaS7_N6thrust23THRUST_200600_302600_NS4plusIaEEEE10hipError_tPvRmT2_T3_mT4_P12ihipStream_tbEUlT_E_NS1_11comp_targetILNS1_3genE9ELNS1_11target_archE1100ELNS1_3gpuE3ELNS1_3repE0EEENS1_30default_config_static_selectorELNS0_4arch9wavefront6targetE1EEEvT1_,"axG",@progbits,_ZN7rocprim17ROCPRIM_400000_NS6detail17trampoline_kernelINS0_14default_configENS1_35adjacent_difference_config_selectorILb1EaEEZNS1_24adjacent_difference_implIS3_Lb1ELb0EPaS7_N6thrust23THRUST_200600_302600_NS4plusIaEEEE10hipError_tPvRmT2_T3_mT4_P12ihipStream_tbEUlT_E_NS1_11comp_targetILNS1_3genE9ELNS1_11target_archE1100ELNS1_3gpuE3ELNS1_3repE0EEENS1_30default_config_static_selectorELNS0_4arch9wavefront6targetE1EEEvT1_,comdat
.Lfunc_end49:
	.size	_ZN7rocprim17ROCPRIM_400000_NS6detail17trampoline_kernelINS0_14default_configENS1_35adjacent_difference_config_selectorILb1EaEEZNS1_24adjacent_difference_implIS3_Lb1ELb0EPaS7_N6thrust23THRUST_200600_302600_NS4plusIaEEEE10hipError_tPvRmT2_T3_mT4_P12ihipStream_tbEUlT_E_NS1_11comp_targetILNS1_3genE9ELNS1_11target_archE1100ELNS1_3gpuE3ELNS1_3repE0EEENS1_30default_config_static_selectorELNS0_4arch9wavefront6targetE1EEEvT1_, .Lfunc_end49-_ZN7rocprim17ROCPRIM_400000_NS6detail17trampoline_kernelINS0_14default_configENS1_35adjacent_difference_config_selectorILb1EaEEZNS1_24adjacent_difference_implIS3_Lb1ELb0EPaS7_N6thrust23THRUST_200600_302600_NS4plusIaEEEE10hipError_tPvRmT2_T3_mT4_P12ihipStream_tbEUlT_E_NS1_11comp_targetILNS1_3genE9ELNS1_11target_archE1100ELNS1_3gpuE3ELNS1_3repE0EEENS1_30default_config_static_selectorELNS0_4arch9wavefront6targetE1EEEvT1_
                                        ; -- End function
	.section	.AMDGPU.csdata,"",@progbits
; Kernel info:
; codeLenInByte = 0
; NumSgprs: 6
; NumVgprs: 0
; NumAgprs: 0
; TotalNumVgprs: 0
; ScratchSize: 0
; MemoryBound: 0
; FloatMode: 240
; IeeeMode: 1
; LDSByteSize: 0 bytes/workgroup (compile time only)
; SGPRBlocks: 0
; VGPRBlocks: 0
; NumSGPRsForWavesPerEU: 6
; NumVGPRsForWavesPerEU: 1
; AccumOffset: 4
; Occupancy: 8
; WaveLimiterHint : 0
; COMPUTE_PGM_RSRC2:SCRATCH_EN: 0
; COMPUTE_PGM_RSRC2:USER_SGPR: 2
; COMPUTE_PGM_RSRC2:TRAP_HANDLER: 0
; COMPUTE_PGM_RSRC2:TGID_X_EN: 1
; COMPUTE_PGM_RSRC2:TGID_Y_EN: 0
; COMPUTE_PGM_RSRC2:TGID_Z_EN: 0
; COMPUTE_PGM_RSRC2:TIDIG_COMP_CNT: 0
; COMPUTE_PGM_RSRC3_GFX90A:ACCUM_OFFSET: 0
; COMPUTE_PGM_RSRC3_GFX90A:TG_SPLIT: 0
	.section	.text._ZN7rocprim17ROCPRIM_400000_NS6detail17trampoline_kernelINS0_14default_configENS1_35adjacent_difference_config_selectorILb1EaEEZNS1_24adjacent_difference_implIS3_Lb1ELb0EPaS7_N6thrust23THRUST_200600_302600_NS4plusIaEEEE10hipError_tPvRmT2_T3_mT4_P12ihipStream_tbEUlT_E_NS1_11comp_targetILNS1_3genE8ELNS1_11target_archE1030ELNS1_3gpuE2ELNS1_3repE0EEENS1_30default_config_static_selectorELNS0_4arch9wavefront6targetE1EEEvT1_,"axG",@progbits,_ZN7rocprim17ROCPRIM_400000_NS6detail17trampoline_kernelINS0_14default_configENS1_35adjacent_difference_config_selectorILb1EaEEZNS1_24adjacent_difference_implIS3_Lb1ELb0EPaS7_N6thrust23THRUST_200600_302600_NS4plusIaEEEE10hipError_tPvRmT2_T3_mT4_P12ihipStream_tbEUlT_E_NS1_11comp_targetILNS1_3genE8ELNS1_11target_archE1030ELNS1_3gpuE2ELNS1_3repE0EEENS1_30default_config_static_selectorELNS0_4arch9wavefront6targetE1EEEvT1_,comdat
	.protected	_ZN7rocprim17ROCPRIM_400000_NS6detail17trampoline_kernelINS0_14default_configENS1_35adjacent_difference_config_selectorILb1EaEEZNS1_24adjacent_difference_implIS3_Lb1ELb0EPaS7_N6thrust23THRUST_200600_302600_NS4plusIaEEEE10hipError_tPvRmT2_T3_mT4_P12ihipStream_tbEUlT_E_NS1_11comp_targetILNS1_3genE8ELNS1_11target_archE1030ELNS1_3gpuE2ELNS1_3repE0EEENS1_30default_config_static_selectorELNS0_4arch9wavefront6targetE1EEEvT1_ ; -- Begin function _ZN7rocprim17ROCPRIM_400000_NS6detail17trampoline_kernelINS0_14default_configENS1_35adjacent_difference_config_selectorILb1EaEEZNS1_24adjacent_difference_implIS3_Lb1ELb0EPaS7_N6thrust23THRUST_200600_302600_NS4plusIaEEEE10hipError_tPvRmT2_T3_mT4_P12ihipStream_tbEUlT_E_NS1_11comp_targetILNS1_3genE8ELNS1_11target_archE1030ELNS1_3gpuE2ELNS1_3repE0EEENS1_30default_config_static_selectorELNS0_4arch9wavefront6targetE1EEEvT1_
	.globl	_ZN7rocprim17ROCPRIM_400000_NS6detail17trampoline_kernelINS0_14default_configENS1_35adjacent_difference_config_selectorILb1EaEEZNS1_24adjacent_difference_implIS3_Lb1ELb0EPaS7_N6thrust23THRUST_200600_302600_NS4plusIaEEEE10hipError_tPvRmT2_T3_mT4_P12ihipStream_tbEUlT_E_NS1_11comp_targetILNS1_3genE8ELNS1_11target_archE1030ELNS1_3gpuE2ELNS1_3repE0EEENS1_30default_config_static_selectorELNS0_4arch9wavefront6targetE1EEEvT1_
	.p2align	8
	.type	_ZN7rocprim17ROCPRIM_400000_NS6detail17trampoline_kernelINS0_14default_configENS1_35adjacent_difference_config_selectorILb1EaEEZNS1_24adjacent_difference_implIS3_Lb1ELb0EPaS7_N6thrust23THRUST_200600_302600_NS4plusIaEEEE10hipError_tPvRmT2_T3_mT4_P12ihipStream_tbEUlT_E_NS1_11comp_targetILNS1_3genE8ELNS1_11target_archE1030ELNS1_3gpuE2ELNS1_3repE0EEENS1_30default_config_static_selectorELNS0_4arch9wavefront6targetE1EEEvT1_,@function
_ZN7rocprim17ROCPRIM_400000_NS6detail17trampoline_kernelINS0_14default_configENS1_35adjacent_difference_config_selectorILb1EaEEZNS1_24adjacent_difference_implIS3_Lb1ELb0EPaS7_N6thrust23THRUST_200600_302600_NS4plusIaEEEE10hipError_tPvRmT2_T3_mT4_P12ihipStream_tbEUlT_E_NS1_11comp_targetILNS1_3genE8ELNS1_11target_archE1030ELNS1_3gpuE2ELNS1_3repE0EEENS1_30default_config_static_selectorELNS0_4arch9wavefront6targetE1EEEvT1_: ; @_ZN7rocprim17ROCPRIM_400000_NS6detail17trampoline_kernelINS0_14default_configENS1_35adjacent_difference_config_selectorILb1EaEEZNS1_24adjacent_difference_implIS3_Lb1ELb0EPaS7_N6thrust23THRUST_200600_302600_NS4plusIaEEEE10hipError_tPvRmT2_T3_mT4_P12ihipStream_tbEUlT_E_NS1_11comp_targetILNS1_3genE8ELNS1_11target_archE1030ELNS1_3gpuE2ELNS1_3repE0EEENS1_30default_config_static_selectorELNS0_4arch9wavefront6targetE1EEEvT1_
; %bb.0:
	.section	.rodata,"a",@progbits
	.p2align	6, 0x0
	.amdhsa_kernel _ZN7rocprim17ROCPRIM_400000_NS6detail17trampoline_kernelINS0_14default_configENS1_35adjacent_difference_config_selectorILb1EaEEZNS1_24adjacent_difference_implIS3_Lb1ELb0EPaS7_N6thrust23THRUST_200600_302600_NS4plusIaEEEE10hipError_tPvRmT2_T3_mT4_P12ihipStream_tbEUlT_E_NS1_11comp_targetILNS1_3genE8ELNS1_11target_archE1030ELNS1_3gpuE2ELNS1_3repE0EEENS1_30default_config_static_selectorELNS0_4arch9wavefront6targetE1EEEvT1_
		.amdhsa_group_segment_fixed_size 0
		.amdhsa_private_segment_fixed_size 0
		.amdhsa_kernarg_size 56
		.amdhsa_user_sgpr_count 2
		.amdhsa_user_sgpr_dispatch_ptr 0
		.amdhsa_user_sgpr_queue_ptr 0
		.amdhsa_user_sgpr_kernarg_segment_ptr 1
		.amdhsa_user_sgpr_dispatch_id 0
		.amdhsa_user_sgpr_kernarg_preload_length 0
		.amdhsa_user_sgpr_kernarg_preload_offset 0
		.amdhsa_user_sgpr_private_segment_size 0
		.amdhsa_uses_dynamic_stack 0
		.amdhsa_enable_private_segment 0
		.amdhsa_system_sgpr_workgroup_id_x 1
		.amdhsa_system_sgpr_workgroup_id_y 0
		.amdhsa_system_sgpr_workgroup_id_z 0
		.amdhsa_system_sgpr_workgroup_info 0
		.amdhsa_system_vgpr_workitem_id 0
		.amdhsa_next_free_vgpr 1
		.amdhsa_next_free_sgpr 0
		.amdhsa_accum_offset 4
		.amdhsa_reserve_vcc 0
		.amdhsa_float_round_mode_32 0
		.amdhsa_float_round_mode_16_64 0
		.amdhsa_float_denorm_mode_32 3
		.amdhsa_float_denorm_mode_16_64 3
		.amdhsa_dx10_clamp 1
		.amdhsa_ieee_mode 1
		.amdhsa_fp16_overflow 0
		.amdhsa_tg_split 0
		.amdhsa_exception_fp_ieee_invalid_op 0
		.amdhsa_exception_fp_denorm_src 0
		.amdhsa_exception_fp_ieee_div_zero 0
		.amdhsa_exception_fp_ieee_overflow 0
		.amdhsa_exception_fp_ieee_underflow 0
		.amdhsa_exception_fp_ieee_inexact 0
		.amdhsa_exception_int_div_zero 0
	.end_amdhsa_kernel
	.section	.text._ZN7rocprim17ROCPRIM_400000_NS6detail17trampoline_kernelINS0_14default_configENS1_35adjacent_difference_config_selectorILb1EaEEZNS1_24adjacent_difference_implIS3_Lb1ELb0EPaS7_N6thrust23THRUST_200600_302600_NS4plusIaEEEE10hipError_tPvRmT2_T3_mT4_P12ihipStream_tbEUlT_E_NS1_11comp_targetILNS1_3genE8ELNS1_11target_archE1030ELNS1_3gpuE2ELNS1_3repE0EEENS1_30default_config_static_selectorELNS0_4arch9wavefront6targetE1EEEvT1_,"axG",@progbits,_ZN7rocprim17ROCPRIM_400000_NS6detail17trampoline_kernelINS0_14default_configENS1_35adjacent_difference_config_selectorILb1EaEEZNS1_24adjacent_difference_implIS3_Lb1ELb0EPaS7_N6thrust23THRUST_200600_302600_NS4plusIaEEEE10hipError_tPvRmT2_T3_mT4_P12ihipStream_tbEUlT_E_NS1_11comp_targetILNS1_3genE8ELNS1_11target_archE1030ELNS1_3gpuE2ELNS1_3repE0EEENS1_30default_config_static_selectorELNS0_4arch9wavefront6targetE1EEEvT1_,comdat
.Lfunc_end50:
	.size	_ZN7rocprim17ROCPRIM_400000_NS6detail17trampoline_kernelINS0_14default_configENS1_35adjacent_difference_config_selectorILb1EaEEZNS1_24adjacent_difference_implIS3_Lb1ELb0EPaS7_N6thrust23THRUST_200600_302600_NS4plusIaEEEE10hipError_tPvRmT2_T3_mT4_P12ihipStream_tbEUlT_E_NS1_11comp_targetILNS1_3genE8ELNS1_11target_archE1030ELNS1_3gpuE2ELNS1_3repE0EEENS1_30default_config_static_selectorELNS0_4arch9wavefront6targetE1EEEvT1_, .Lfunc_end50-_ZN7rocprim17ROCPRIM_400000_NS6detail17trampoline_kernelINS0_14default_configENS1_35adjacent_difference_config_selectorILb1EaEEZNS1_24adjacent_difference_implIS3_Lb1ELb0EPaS7_N6thrust23THRUST_200600_302600_NS4plusIaEEEE10hipError_tPvRmT2_T3_mT4_P12ihipStream_tbEUlT_E_NS1_11comp_targetILNS1_3genE8ELNS1_11target_archE1030ELNS1_3gpuE2ELNS1_3repE0EEENS1_30default_config_static_selectorELNS0_4arch9wavefront6targetE1EEEvT1_
                                        ; -- End function
	.section	.AMDGPU.csdata,"",@progbits
; Kernel info:
; codeLenInByte = 0
; NumSgprs: 6
; NumVgprs: 0
; NumAgprs: 0
; TotalNumVgprs: 0
; ScratchSize: 0
; MemoryBound: 0
; FloatMode: 240
; IeeeMode: 1
; LDSByteSize: 0 bytes/workgroup (compile time only)
; SGPRBlocks: 0
; VGPRBlocks: 0
; NumSGPRsForWavesPerEU: 6
; NumVGPRsForWavesPerEU: 1
; AccumOffset: 4
; Occupancy: 8
; WaveLimiterHint : 0
; COMPUTE_PGM_RSRC2:SCRATCH_EN: 0
; COMPUTE_PGM_RSRC2:USER_SGPR: 2
; COMPUTE_PGM_RSRC2:TRAP_HANDLER: 0
; COMPUTE_PGM_RSRC2:TGID_X_EN: 1
; COMPUTE_PGM_RSRC2:TGID_Y_EN: 0
; COMPUTE_PGM_RSRC2:TGID_Z_EN: 0
; COMPUTE_PGM_RSRC2:TIDIG_COMP_CNT: 0
; COMPUTE_PGM_RSRC3_GFX90A:ACCUM_OFFSET: 0
; COMPUTE_PGM_RSRC3_GFX90A:TG_SPLIT: 0
	.section	.text._ZN6thrust23THRUST_200600_302600_NS11hip_rocprim14__parallel_for6kernelILj256ENS1_20__uninitialized_fill7functorINS0_10device_ptrIsEEsEEmLj1EEEvT0_T1_SA_,"axG",@progbits,_ZN6thrust23THRUST_200600_302600_NS11hip_rocprim14__parallel_for6kernelILj256ENS1_20__uninitialized_fill7functorINS0_10device_ptrIsEEsEEmLj1EEEvT0_T1_SA_,comdat
	.protected	_ZN6thrust23THRUST_200600_302600_NS11hip_rocprim14__parallel_for6kernelILj256ENS1_20__uninitialized_fill7functorINS0_10device_ptrIsEEsEEmLj1EEEvT0_T1_SA_ ; -- Begin function _ZN6thrust23THRUST_200600_302600_NS11hip_rocprim14__parallel_for6kernelILj256ENS1_20__uninitialized_fill7functorINS0_10device_ptrIsEEsEEmLj1EEEvT0_T1_SA_
	.globl	_ZN6thrust23THRUST_200600_302600_NS11hip_rocprim14__parallel_for6kernelILj256ENS1_20__uninitialized_fill7functorINS0_10device_ptrIsEEsEEmLj1EEEvT0_T1_SA_
	.p2align	8
	.type	_ZN6thrust23THRUST_200600_302600_NS11hip_rocprim14__parallel_for6kernelILj256ENS1_20__uninitialized_fill7functorINS0_10device_ptrIsEEsEEmLj1EEEvT0_T1_SA_,@function
_ZN6thrust23THRUST_200600_302600_NS11hip_rocprim14__parallel_for6kernelILj256ENS1_20__uninitialized_fill7functorINS0_10device_ptrIsEEsEEmLj1EEEvT0_T1_SA_: ; @_ZN6thrust23THRUST_200600_302600_NS11hip_rocprim14__parallel_for6kernelILj256ENS1_20__uninitialized_fill7functorINS0_10device_ptrIsEEsEEmLj1EEEvT0_T1_SA_
; %bb.0:
	s_load_dwordx4 s[4:7], s[0:1], 0x10
	s_lshl_b32 s2, s2, 8
	v_mov_b64_e32 v[2:3], 0x100
	s_waitcnt lgkmcnt(0)
	s_add_u32 s2, s2, s6
	s_addc_u32 s3, 0, s7
	s_sub_u32 s4, s4, s2
	s_subb_u32 s5, s5, s3
	v_cmp_lt_u64_e32 vcc, s[4:5], v[2:3]
	s_cbranch_vccz .LBB51_2
; %bb.1:
	v_cmp_gt_u32_e32 vcc, s4, v0
	s_and_b64 s[4:5], vcc, exec
	s_cbranch_execz .LBB51_3
	s_branch .LBB51_4
.LBB51_2:
	s_mov_b64 s[4:5], 0
.LBB51_3:
	s_or_b64 s[4:5], s[4:5], exec
.LBB51_4:
	s_and_saveexec_b64 s[6:7], s[4:5]
	s_cbranch_execnz .LBB51_6
; %bb.5:
	s_endpgm
.LBB51_6:
	s_load_dwordx2 s[4:5], s[0:1], 0x0
	s_load_dword s6, s[0:1], 0x8
	s_lshl_b64 s[0:1], s[2:3], 1
	v_mov_b32_e32 v1, 0
	s_waitcnt lgkmcnt(0)
	s_add_u32 s0, s4, s0
	s_addc_u32 s1, s5, s1
	v_lshl_add_u64 v[0:1], v[0:1], 1, s[0:1]
	v_mov_b32_e32 v2, s6
	flat_store_short v[0:1], v2
	s_endpgm
	.section	.rodata,"a",@progbits
	.p2align	6, 0x0
	.amdhsa_kernel _ZN6thrust23THRUST_200600_302600_NS11hip_rocprim14__parallel_for6kernelILj256ENS1_20__uninitialized_fill7functorINS0_10device_ptrIsEEsEEmLj1EEEvT0_T1_SA_
		.amdhsa_group_segment_fixed_size 0
		.amdhsa_private_segment_fixed_size 0
		.amdhsa_kernarg_size 32
		.amdhsa_user_sgpr_count 2
		.amdhsa_user_sgpr_dispatch_ptr 0
		.amdhsa_user_sgpr_queue_ptr 0
		.amdhsa_user_sgpr_kernarg_segment_ptr 1
		.amdhsa_user_sgpr_dispatch_id 0
		.amdhsa_user_sgpr_kernarg_preload_length 0
		.amdhsa_user_sgpr_kernarg_preload_offset 0
		.amdhsa_user_sgpr_private_segment_size 0
		.amdhsa_uses_dynamic_stack 0
		.amdhsa_enable_private_segment 0
		.amdhsa_system_sgpr_workgroup_id_x 1
		.amdhsa_system_sgpr_workgroup_id_y 0
		.amdhsa_system_sgpr_workgroup_id_z 0
		.amdhsa_system_sgpr_workgroup_info 0
		.amdhsa_system_vgpr_workitem_id 0
		.amdhsa_next_free_vgpr 4
		.amdhsa_next_free_sgpr 8
		.amdhsa_accum_offset 4
		.amdhsa_reserve_vcc 1
		.amdhsa_float_round_mode_32 0
		.amdhsa_float_round_mode_16_64 0
		.amdhsa_float_denorm_mode_32 3
		.amdhsa_float_denorm_mode_16_64 3
		.amdhsa_dx10_clamp 1
		.amdhsa_ieee_mode 1
		.amdhsa_fp16_overflow 0
		.amdhsa_tg_split 0
		.amdhsa_exception_fp_ieee_invalid_op 0
		.amdhsa_exception_fp_denorm_src 0
		.amdhsa_exception_fp_ieee_div_zero 0
		.amdhsa_exception_fp_ieee_overflow 0
		.amdhsa_exception_fp_ieee_underflow 0
		.amdhsa_exception_fp_ieee_inexact 0
		.amdhsa_exception_int_div_zero 0
	.end_amdhsa_kernel
	.section	.text._ZN6thrust23THRUST_200600_302600_NS11hip_rocprim14__parallel_for6kernelILj256ENS1_20__uninitialized_fill7functorINS0_10device_ptrIsEEsEEmLj1EEEvT0_T1_SA_,"axG",@progbits,_ZN6thrust23THRUST_200600_302600_NS11hip_rocprim14__parallel_for6kernelILj256ENS1_20__uninitialized_fill7functorINS0_10device_ptrIsEEsEEmLj1EEEvT0_T1_SA_,comdat
.Lfunc_end51:
	.size	_ZN6thrust23THRUST_200600_302600_NS11hip_rocprim14__parallel_for6kernelILj256ENS1_20__uninitialized_fill7functorINS0_10device_ptrIsEEsEEmLj1EEEvT0_T1_SA_, .Lfunc_end51-_ZN6thrust23THRUST_200600_302600_NS11hip_rocprim14__parallel_for6kernelILj256ENS1_20__uninitialized_fill7functorINS0_10device_ptrIsEEsEEmLj1EEEvT0_T1_SA_
                                        ; -- End function
	.section	.AMDGPU.csdata,"",@progbits
; Kernel info:
; codeLenInByte = 144
; NumSgprs: 14
; NumVgprs: 4
; NumAgprs: 0
; TotalNumVgprs: 4
; ScratchSize: 0
; MemoryBound: 0
; FloatMode: 240
; IeeeMode: 1
; LDSByteSize: 0 bytes/workgroup (compile time only)
; SGPRBlocks: 1
; VGPRBlocks: 0
; NumSGPRsForWavesPerEU: 14
; NumVGPRsForWavesPerEU: 4
; AccumOffset: 4
; Occupancy: 8
; WaveLimiterHint : 0
; COMPUTE_PGM_RSRC2:SCRATCH_EN: 0
; COMPUTE_PGM_RSRC2:USER_SGPR: 2
; COMPUTE_PGM_RSRC2:TRAP_HANDLER: 0
; COMPUTE_PGM_RSRC2:TGID_X_EN: 1
; COMPUTE_PGM_RSRC2:TGID_Y_EN: 0
; COMPUTE_PGM_RSRC2:TGID_Z_EN: 0
; COMPUTE_PGM_RSRC2:TIDIG_COMP_CNT: 0
; COMPUTE_PGM_RSRC3_GFX90A:ACCUM_OFFSET: 0
; COMPUTE_PGM_RSRC3_GFX90A:TG_SPLIT: 0
	.section	.text._ZN7rocprim17ROCPRIM_400000_NS6detail17trampoline_kernelINS0_14default_configENS1_35adjacent_difference_config_selectorILb0EsEEZNS1_24adjacent_difference_implIS3_Lb0ELb0EPsS7_N6thrust23THRUST_200600_302600_NS5minusIsEEEE10hipError_tPvRmT2_T3_mT4_P12ihipStream_tbEUlT_E_NS1_11comp_targetILNS1_3genE0ELNS1_11target_archE4294967295ELNS1_3gpuE0ELNS1_3repE0EEENS1_30default_config_static_selectorELNS0_4arch9wavefront6targetE1EEEvT1_,"axG",@progbits,_ZN7rocprim17ROCPRIM_400000_NS6detail17trampoline_kernelINS0_14default_configENS1_35adjacent_difference_config_selectorILb0EsEEZNS1_24adjacent_difference_implIS3_Lb0ELb0EPsS7_N6thrust23THRUST_200600_302600_NS5minusIsEEEE10hipError_tPvRmT2_T3_mT4_P12ihipStream_tbEUlT_E_NS1_11comp_targetILNS1_3genE0ELNS1_11target_archE4294967295ELNS1_3gpuE0ELNS1_3repE0EEENS1_30default_config_static_selectorELNS0_4arch9wavefront6targetE1EEEvT1_,comdat
	.protected	_ZN7rocprim17ROCPRIM_400000_NS6detail17trampoline_kernelINS0_14default_configENS1_35adjacent_difference_config_selectorILb0EsEEZNS1_24adjacent_difference_implIS3_Lb0ELb0EPsS7_N6thrust23THRUST_200600_302600_NS5minusIsEEEE10hipError_tPvRmT2_T3_mT4_P12ihipStream_tbEUlT_E_NS1_11comp_targetILNS1_3genE0ELNS1_11target_archE4294967295ELNS1_3gpuE0ELNS1_3repE0EEENS1_30default_config_static_selectorELNS0_4arch9wavefront6targetE1EEEvT1_ ; -- Begin function _ZN7rocprim17ROCPRIM_400000_NS6detail17trampoline_kernelINS0_14default_configENS1_35adjacent_difference_config_selectorILb0EsEEZNS1_24adjacent_difference_implIS3_Lb0ELb0EPsS7_N6thrust23THRUST_200600_302600_NS5minusIsEEEE10hipError_tPvRmT2_T3_mT4_P12ihipStream_tbEUlT_E_NS1_11comp_targetILNS1_3genE0ELNS1_11target_archE4294967295ELNS1_3gpuE0ELNS1_3repE0EEENS1_30default_config_static_selectorELNS0_4arch9wavefront6targetE1EEEvT1_
	.globl	_ZN7rocprim17ROCPRIM_400000_NS6detail17trampoline_kernelINS0_14default_configENS1_35adjacent_difference_config_selectorILb0EsEEZNS1_24adjacent_difference_implIS3_Lb0ELb0EPsS7_N6thrust23THRUST_200600_302600_NS5minusIsEEEE10hipError_tPvRmT2_T3_mT4_P12ihipStream_tbEUlT_E_NS1_11comp_targetILNS1_3genE0ELNS1_11target_archE4294967295ELNS1_3gpuE0ELNS1_3repE0EEENS1_30default_config_static_selectorELNS0_4arch9wavefront6targetE1EEEvT1_
	.p2align	8
	.type	_ZN7rocprim17ROCPRIM_400000_NS6detail17trampoline_kernelINS0_14default_configENS1_35adjacent_difference_config_selectorILb0EsEEZNS1_24adjacent_difference_implIS3_Lb0ELb0EPsS7_N6thrust23THRUST_200600_302600_NS5minusIsEEEE10hipError_tPvRmT2_T3_mT4_P12ihipStream_tbEUlT_E_NS1_11comp_targetILNS1_3genE0ELNS1_11target_archE4294967295ELNS1_3gpuE0ELNS1_3repE0EEENS1_30default_config_static_selectorELNS0_4arch9wavefront6targetE1EEEvT1_,@function
_ZN7rocprim17ROCPRIM_400000_NS6detail17trampoline_kernelINS0_14default_configENS1_35adjacent_difference_config_selectorILb0EsEEZNS1_24adjacent_difference_implIS3_Lb0ELb0EPsS7_N6thrust23THRUST_200600_302600_NS5minusIsEEEE10hipError_tPvRmT2_T3_mT4_P12ihipStream_tbEUlT_E_NS1_11comp_targetILNS1_3genE0ELNS1_11target_archE4294967295ELNS1_3gpuE0ELNS1_3repE0EEENS1_30default_config_static_selectorELNS0_4arch9wavefront6targetE1EEEvT1_: ; @_ZN7rocprim17ROCPRIM_400000_NS6detail17trampoline_kernelINS0_14default_configENS1_35adjacent_difference_config_selectorILb0EsEEZNS1_24adjacent_difference_implIS3_Lb0ELb0EPsS7_N6thrust23THRUST_200600_302600_NS5minusIsEEEE10hipError_tPvRmT2_T3_mT4_P12ihipStream_tbEUlT_E_NS1_11comp_targetILNS1_3genE0ELNS1_11target_archE4294967295ELNS1_3gpuE0ELNS1_3repE0EEENS1_30default_config_static_selectorELNS0_4arch9wavefront6targetE1EEEvT1_
; %bb.0:
	.section	.rodata,"a",@progbits
	.p2align	6, 0x0
	.amdhsa_kernel _ZN7rocprim17ROCPRIM_400000_NS6detail17trampoline_kernelINS0_14default_configENS1_35adjacent_difference_config_selectorILb0EsEEZNS1_24adjacent_difference_implIS3_Lb0ELb0EPsS7_N6thrust23THRUST_200600_302600_NS5minusIsEEEE10hipError_tPvRmT2_T3_mT4_P12ihipStream_tbEUlT_E_NS1_11comp_targetILNS1_3genE0ELNS1_11target_archE4294967295ELNS1_3gpuE0ELNS1_3repE0EEENS1_30default_config_static_selectorELNS0_4arch9wavefront6targetE1EEEvT1_
		.amdhsa_group_segment_fixed_size 0
		.amdhsa_private_segment_fixed_size 0
		.amdhsa_kernarg_size 56
		.amdhsa_user_sgpr_count 2
		.amdhsa_user_sgpr_dispatch_ptr 0
		.amdhsa_user_sgpr_queue_ptr 0
		.amdhsa_user_sgpr_kernarg_segment_ptr 1
		.amdhsa_user_sgpr_dispatch_id 0
		.amdhsa_user_sgpr_kernarg_preload_length 0
		.amdhsa_user_sgpr_kernarg_preload_offset 0
		.amdhsa_user_sgpr_private_segment_size 0
		.amdhsa_uses_dynamic_stack 0
		.amdhsa_enable_private_segment 0
		.amdhsa_system_sgpr_workgroup_id_x 1
		.amdhsa_system_sgpr_workgroup_id_y 0
		.amdhsa_system_sgpr_workgroup_id_z 0
		.amdhsa_system_sgpr_workgroup_info 0
		.amdhsa_system_vgpr_workitem_id 0
		.amdhsa_next_free_vgpr 1
		.amdhsa_next_free_sgpr 0
		.amdhsa_accum_offset 4
		.amdhsa_reserve_vcc 0
		.amdhsa_float_round_mode_32 0
		.amdhsa_float_round_mode_16_64 0
		.amdhsa_float_denorm_mode_32 3
		.amdhsa_float_denorm_mode_16_64 3
		.amdhsa_dx10_clamp 1
		.amdhsa_ieee_mode 1
		.amdhsa_fp16_overflow 0
		.amdhsa_tg_split 0
		.amdhsa_exception_fp_ieee_invalid_op 0
		.amdhsa_exception_fp_denorm_src 0
		.amdhsa_exception_fp_ieee_div_zero 0
		.amdhsa_exception_fp_ieee_overflow 0
		.amdhsa_exception_fp_ieee_underflow 0
		.amdhsa_exception_fp_ieee_inexact 0
		.amdhsa_exception_int_div_zero 0
	.end_amdhsa_kernel
	.section	.text._ZN7rocprim17ROCPRIM_400000_NS6detail17trampoline_kernelINS0_14default_configENS1_35adjacent_difference_config_selectorILb0EsEEZNS1_24adjacent_difference_implIS3_Lb0ELb0EPsS7_N6thrust23THRUST_200600_302600_NS5minusIsEEEE10hipError_tPvRmT2_T3_mT4_P12ihipStream_tbEUlT_E_NS1_11comp_targetILNS1_3genE0ELNS1_11target_archE4294967295ELNS1_3gpuE0ELNS1_3repE0EEENS1_30default_config_static_selectorELNS0_4arch9wavefront6targetE1EEEvT1_,"axG",@progbits,_ZN7rocprim17ROCPRIM_400000_NS6detail17trampoline_kernelINS0_14default_configENS1_35adjacent_difference_config_selectorILb0EsEEZNS1_24adjacent_difference_implIS3_Lb0ELb0EPsS7_N6thrust23THRUST_200600_302600_NS5minusIsEEEE10hipError_tPvRmT2_T3_mT4_P12ihipStream_tbEUlT_E_NS1_11comp_targetILNS1_3genE0ELNS1_11target_archE4294967295ELNS1_3gpuE0ELNS1_3repE0EEENS1_30default_config_static_selectorELNS0_4arch9wavefront6targetE1EEEvT1_,comdat
.Lfunc_end52:
	.size	_ZN7rocprim17ROCPRIM_400000_NS6detail17trampoline_kernelINS0_14default_configENS1_35adjacent_difference_config_selectorILb0EsEEZNS1_24adjacent_difference_implIS3_Lb0ELb0EPsS7_N6thrust23THRUST_200600_302600_NS5minusIsEEEE10hipError_tPvRmT2_T3_mT4_P12ihipStream_tbEUlT_E_NS1_11comp_targetILNS1_3genE0ELNS1_11target_archE4294967295ELNS1_3gpuE0ELNS1_3repE0EEENS1_30default_config_static_selectorELNS0_4arch9wavefront6targetE1EEEvT1_, .Lfunc_end52-_ZN7rocprim17ROCPRIM_400000_NS6detail17trampoline_kernelINS0_14default_configENS1_35adjacent_difference_config_selectorILb0EsEEZNS1_24adjacent_difference_implIS3_Lb0ELb0EPsS7_N6thrust23THRUST_200600_302600_NS5minusIsEEEE10hipError_tPvRmT2_T3_mT4_P12ihipStream_tbEUlT_E_NS1_11comp_targetILNS1_3genE0ELNS1_11target_archE4294967295ELNS1_3gpuE0ELNS1_3repE0EEENS1_30default_config_static_selectorELNS0_4arch9wavefront6targetE1EEEvT1_
                                        ; -- End function
	.section	.AMDGPU.csdata,"",@progbits
; Kernel info:
; codeLenInByte = 0
; NumSgprs: 6
; NumVgprs: 0
; NumAgprs: 0
; TotalNumVgprs: 0
; ScratchSize: 0
; MemoryBound: 0
; FloatMode: 240
; IeeeMode: 1
; LDSByteSize: 0 bytes/workgroup (compile time only)
; SGPRBlocks: 0
; VGPRBlocks: 0
; NumSGPRsForWavesPerEU: 6
; NumVGPRsForWavesPerEU: 1
; AccumOffset: 4
; Occupancy: 8
; WaveLimiterHint : 0
; COMPUTE_PGM_RSRC2:SCRATCH_EN: 0
; COMPUTE_PGM_RSRC2:USER_SGPR: 2
; COMPUTE_PGM_RSRC2:TRAP_HANDLER: 0
; COMPUTE_PGM_RSRC2:TGID_X_EN: 1
; COMPUTE_PGM_RSRC2:TGID_Y_EN: 0
; COMPUTE_PGM_RSRC2:TGID_Z_EN: 0
; COMPUTE_PGM_RSRC2:TIDIG_COMP_CNT: 0
; COMPUTE_PGM_RSRC3_GFX90A:ACCUM_OFFSET: 0
; COMPUTE_PGM_RSRC3_GFX90A:TG_SPLIT: 0
	.section	.text._ZN7rocprim17ROCPRIM_400000_NS6detail17trampoline_kernelINS0_14default_configENS1_35adjacent_difference_config_selectorILb0EsEEZNS1_24adjacent_difference_implIS3_Lb0ELb0EPsS7_N6thrust23THRUST_200600_302600_NS5minusIsEEEE10hipError_tPvRmT2_T3_mT4_P12ihipStream_tbEUlT_E_NS1_11comp_targetILNS1_3genE10ELNS1_11target_archE1201ELNS1_3gpuE5ELNS1_3repE0EEENS1_30default_config_static_selectorELNS0_4arch9wavefront6targetE1EEEvT1_,"axG",@progbits,_ZN7rocprim17ROCPRIM_400000_NS6detail17trampoline_kernelINS0_14default_configENS1_35adjacent_difference_config_selectorILb0EsEEZNS1_24adjacent_difference_implIS3_Lb0ELb0EPsS7_N6thrust23THRUST_200600_302600_NS5minusIsEEEE10hipError_tPvRmT2_T3_mT4_P12ihipStream_tbEUlT_E_NS1_11comp_targetILNS1_3genE10ELNS1_11target_archE1201ELNS1_3gpuE5ELNS1_3repE0EEENS1_30default_config_static_selectorELNS0_4arch9wavefront6targetE1EEEvT1_,comdat
	.protected	_ZN7rocprim17ROCPRIM_400000_NS6detail17trampoline_kernelINS0_14default_configENS1_35adjacent_difference_config_selectorILb0EsEEZNS1_24adjacent_difference_implIS3_Lb0ELb0EPsS7_N6thrust23THRUST_200600_302600_NS5minusIsEEEE10hipError_tPvRmT2_T3_mT4_P12ihipStream_tbEUlT_E_NS1_11comp_targetILNS1_3genE10ELNS1_11target_archE1201ELNS1_3gpuE5ELNS1_3repE0EEENS1_30default_config_static_selectorELNS0_4arch9wavefront6targetE1EEEvT1_ ; -- Begin function _ZN7rocprim17ROCPRIM_400000_NS6detail17trampoline_kernelINS0_14default_configENS1_35adjacent_difference_config_selectorILb0EsEEZNS1_24adjacent_difference_implIS3_Lb0ELb0EPsS7_N6thrust23THRUST_200600_302600_NS5minusIsEEEE10hipError_tPvRmT2_T3_mT4_P12ihipStream_tbEUlT_E_NS1_11comp_targetILNS1_3genE10ELNS1_11target_archE1201ELNS1_3gpuE5ELNS1_3repE0EEENS1_30default_config_static_selectorELNS0_4arch9wavefront6targetE1EEEvT1_
	.globl	_ZN7rocprim17ROCPRIM_400000_NS6detail17trampoline_kernelINS0_14default_configENS1_35adjacent_difference_config_selectorILb0EsEEZNS1_24adjacent_difference_implIS3_Lb0ELb0EPsS7_N6thrust23THRUST_200600_302600_NS5minusIsEEEE10hipError_tPvRmT2_T3_mT4_P12ihipStream_tbEUlT_E_NS1_11comp_targetILNS1_3genE10ELNS1_11target_archE1201ELNS1_3gpuE5ELNS1_3repE0EEENS1_30default_config_static_selectorELNS0_4arch9wavefront6targetE1EEEvT1_
	.p2align	8
	.type	_ZN7rocprim17ROCPRIM_400000_NS6detail17trampoline_kernelINS0_14default_configENS1_35adjacent_difference_config_selectorILb0EsEEZNS1_24adjacent_difference_implIS3_Lb0ELb0EPsS7_N6thrust23THRUST_200600_302600_NS5minusIsEEEE10hipError_tPvRmT2_T3_mT4_P12ihipStream_tbEUlT_E_NS1_11comp_targetILNS1_3genE10ELNS1_11target_archE1201ELNS1_3gpuE5ELNS1_3repE0EEENS1_30default_config_static_selectorELNS0_4arch9wavefront6targetE1EEEvT1_,@function
_ZN7rocprim17ROCPRIM_400000_NS6detail17trampoline_kernelINS0_14default_configENS1_35adjacent_difference_config_selectorILb0EsEEZNS1_24adjacent_difference_implIS3_Lb0ELb0EPsS7_N6thrust23THRUST_200600_302600_NS5minusIsEEEE10hipError_tPvRmT2_T3_mT4_P12ihipStream_tbEUlT_E_NS1_11comp_targetILNS1_3genE10ELNS1_11target_archE1201ELNS1_3gpuE5ELNS1_3repE0EEENS1_30default_config_static_selectorELNS0_4arch9wavefront6targetE1EEEvT1_: ; @_ZN7rocprim17ROCPRIM_400000_NS6detail17trampoline_kernelINS0_14default_configENS1_35adjacent_difference_config_selectorILb0EsEEZNS1_24adjacent_difference_implIS3_Lb0ELb0EPsS7_N6thrust23THRUST_200600_302600_NS5minusIsEEEE10hipError_tPvRmT2_T3_mT4_P12ihipStream_tbEUlT_E_NS1_11comp_targetILNS1_3genE10ELNS1_11target_archE1201ELNS1_3gpuE5ELNS1_3repE0EEENS1_30default_config_static_selectorELNS0_4arch9wavefront6targetE1EEEvT1_
; %bb.0:
	.section	.rodata,"a",@progbits
	.p2align	6, 0x0
	.amdhsa_kernel _ZN7rocprim17ROCPRIM_400000_NS6detail17trampoline_kernelINS0_14default_configENS1_35adjacent_difference_config_selectorILb0EsEEZNS1_24adjacent_difference_implIS3_Lb0ELb0EPsS7_N6thrust23THRUST_200600_302600_NS5minusIsEEEE10hipError_tPvRmT2_T3_mT4_P12ihipStream_tbEUlT_E_NS1_11comp_targetILNS1_3genE10ELNS1_11target_archE1201ELNS1_3gpuE5ELNS1_3repE0EEENS1_30default_config_static_selectorELNS0_4arch9wavefront6targetE1EEEvT1_
		.amdhsa_group_segment_fixed_size 0
		.amdhsa_private_segment_fixed_size 0
		.amdhsa_kernarg_size 56
		.amdhsa_user_sgpr_count 2
		.amdhsa_user_sgpr_dispatch_ptr 0
		.amdhsa_user_sgpr_queue_ptr 0
		.amdhsa_user_sgpr_kernarg_segment_ptr 1
		.amdhsa_user_sgpr_dispatch_id 0
		.amdhsa_user_sgpr_kernarg_preload_length 0
		.amdhsa_user_sgpr_kernarg_preload_offset 0
		.amdhsa_user_sgpr_private_segment_size 0
		.amdhsa_uses_dynamic_stack 0
		.amdhsa_enable_private_segment 0
		.amdhsa_system_sgpr_workgroup_id_x 1
		.amdhsa_system_sgpr_workgroup_id_y 0
		.amdhsa_system_sgpr_workgroup_id_z 0
		.amdhsa_system_sgpr_workgroup_info 0
		.amdhsa_system_vgpr_workitem_id 0
		.amdhsa_next_free_vgpr 1
		.amdhsa_next_free_sgpr 0
		.amdhsa_accum_offset 4
		.amdhsa_reserve_vcc 0
		.amdhsa_float_round_mode_32 0
		.amdhsa_float_round_mode_16_64 0
		.amdhsa_float_denorm_mode_32 3
		.amdhsa_float_denorm_mode_16_64 3
		.amdhsa_dx10_clamp 1
		.amdhsa_ieee_mode 1
		.amdhsa_fp16_overflow 0
		.amdhsa_tg_split 0
		.amdhsa_exception_fp_ieee_invalid_op 0
		.amdhsa_exception_fp_denorm_src 0
		.amdhsa_exception_fp_ieee_div_zero 0
		.amdhsa_exception_fp_ieee_overflow 0
		.amdhsa_exception_fp_ieee_underflow 0
		.amdhsa_exception_fp_ieee_inexact 0
		.amdhsa_exception_int_div_zero 0
	.end_amdhsa_kernel
	.section	.text._ZN7rocprim17ROCPRIM_400000_NS6detail17trampoline_kernelINS0_14default_configENS1_35adjacent_difference_config_selectorILb0EsEEZNS1_24adjacent_difference_implIS3_Lb0ELb0EPsS7_N6thrust23THRUST_200600_302600_NS5minusIsEEEE10hipError_tPvRmT2_T3_mT4_P12ihipStream_tbEUlT_E_NS1_11comp_targetILNS1_3genE10ELNS1_11target_archE1201ELNS1_3gpuE5ELNS1_3repE0EEENS1_30default_config_static_selectorELNS0_4arch9wavefront6targetE1EEEvT1_,"axG",@progbits,_ZN7rocprim17ROCPRIM_400000_NS6detail17trampoline_kernelINS0_14default_configENS1_35adjacent_difference_config_selectorILb0EsEEZNS1_24adjacent_difference_implIS3_Lb0ELb0EPsS7_N6thrust23THRUST_200600_302600_NS5minusIsEEEE10hipError_tPvRmT2_T3_mT4_P12ihipStream_tbEUlT_E_NS1_11comp_targetILNS1_3genE10ELNS1_11target_archE1201ELNS1_3gpuE5ELNS1_3repE0EEENS1_30default_config_static_selectorELNS0_4arch9wavefront6targetE1EEEvT1_,comdat
.Lfunc_end53:
	.size	_ZN7rocprim17ROCPRIM_400000_NS6detail17trampoline_kernelINS0_14default_configENS1_35adjacent_difference_config_selectorILb0EsEEZNS1_24adjacent_difference_implIS3_Lb0ELb0EPsS7_N6thrust23THRUST_200600_302600_NS5minusIsEEEE10hipError_tPvRmT2_T3_mT4_P12ihipStream_tbEUlT_E_NS1_11comp_targetILNS1_3genE10ELNS1_11target_archE1201ELNS1_3gpuE5ELNS1_3repE0EEENS1_30default_config_static_selectorELNS0_4arch9wavefront6targetE1EEEvT1_, .Lfunc_end53-_ZN7rocprim17ROCPRIM_400000_NS6detail17trampoline_kernelINS0_14default_configENS1_35adjacent_difference_config_selectorILb0EsEEZNS1_24adjacent_difference_implIS3_Lb0ELb0EPsS7_N6thrust23THRUST_200600_302600_NS5minusIsEEEE10hipError_tPvRmT2_T3_mT4_P12ihipStream_tbEUlT_E_NS1_11comp_targetILNS1_3genE10ELNS1_11target_archE1201ELNS1_3gpuE5ELNS1_3repE0EEENS1_30default_config_static_selectorELNS0_4arch9wavefront6targetE1EEEvT1_
                                        ; -- End function
	.section	.AMDGPU.csdata,"",@progbits
; Kernel info:
; codeLenInByte = 0
; NumSgprs: 6
; NumVgprs: 0
; NumAgprs: 0
; TotalNumVgprs: 0
; ScratchSize: 0
; MemoryBound: 0
; FloatMode: 240
; IeeeMode: 1
; LDSByteSize: 0 bytes/workgroup (compile time only)
; SGPRBlocks: 0
; VGPRBlocks: 0
; NumSGPRsForWavesPerEU: 6
; NumVGPRsForWavesPerEU: 1
; AccumOffset: 4
; Occupancy: 8
; WaveLimiterHint : 0
; COMPUTE_PGM_RSRC2:SCRATCH_EN: 0
; COMPUTE_PGM_RSRC2:USER_SGPR: 2
; COMPUTE_PGM_RSRC2:TRAP_HANDLER: 0
; COMPUTE_PGM_RSRC2:TGID_X_EN: 1
; COMPUTE_PGM_RSRC2:TGID_Y_EN: 0
; COMPUTE_PGM_RSRC2:TGID_Z_EN: 0
; COMPUTE_PGM_RSRC2:TIDIG_COMP_CNT: 0
; COMPUTE_PGM_RSRC3_GFX90A:ACCUM_OFFSET: 0
; COMPUTE_PGM_RSRC3_GFX90A:TG_SPLIT: 0
	.section	.text._ZN7rocprim17ROCPRIM_400000_NS6detail17trampoline_kernelINS0_14default_configENS1_35adjacent_difference_config_selectorILb0EsEEZNS1_24adjacent_difference_implIS3_Lb0ELb0EPsS7_N6thrust23THRUST_200600_302600_NS5minusIsEEEE10hipError_tPvRmT2_T3_mT4_P12ihipStream_tbEUlT_E_NS1_11comp_targetILNS1_3genE5ELNS1_11target_archE942ELNS1_3gpuE9ELNS1_3repE0EEENS1_30default_config_static_selectorELNS0_4arch9wavefront6targetE1EEEvT1_,"axG",@progbits,_ZN7rocprim17ROCPRIM_400000_NS6detail17trampoline_kernelINS0_14default_configENS1_35adjacent_difference_config_selectorILb0EsEEZNS1_24adjacent_difference_implIS3_Lb0ELb0EPsS7_N6thrust23THRUST_200600_302600_NS5minusIsEEEE10hipError_tPvRmT2_T3_mT4_P12ihipStream_tbEUlT_E_NS1_11comp_targetILNS1_3genE5ELNS1_11target_archE942ELNS1_3gpuE9ELNS1_3repE0EEENS1_30default_config_static_selectorELNS0_4arch9wavefront6targetE1EEEvT1_,comdat
	.protected	_ZN7rocprim17ROCPRIM_400000_NS6detail17trampoline_kernelINS0_14default_configENS1_35adjacent_difference_config_selectorILb0EsEEZNS1_24adjacent_difference_implIS3_Lb0ELb0EPsS7_N6thrust23THRUST_200600_302600_NS5minusIsEEEE10hipError_tPvRmT2_T3_mT4_P12ihipStream_tbEUlT_E_NS1_11comp_targetILNS1_3genE5ELNS1_11target_archE942ELNS1_3gpuE9ELNS1_3repE0EEENS1_30default_config_static_selectorELNS0_4arch9wavefront6targetE1EEEvT1_ ; -- Begin function _ZN7rocprim17ROCPRIM_400000_NS6detail17trampoline_kernelINS0_14default_configENS1_35adjacent_difference_config_selectorILb0EsEEZNS1_24adjacent_difference_implIS3_Lb0ELb0EPsS7_N6thrust23THRUST_200600_302600_NS5minusIsEEEE10hipError_tPvRmT2_T3_mT4_P12ihipStream_tbEUlT_E_NS1_11comp_targetILNS1_3genE5ELNS1_11target_archE942ELNS1_3gpuE9ELNS1_3repE0EEENS1_30default_config_static_selectorELNS0_4arch9wavefront6targetE1EEEvT1_
	.globl	_ZN7rocprim17ROCPRIM_400000_NS6detail17trampoline_kernelINS0_14default_configENS1_35adjacent_difference_config_selectorILb0EsEEZNS1_24adjacent_difference_implIS3_Lb0ELb0EPsS7_N6thrust23THRUST_200600_302600_NS5minusIsEEEE10hipError_tPvRmT2_T3_mT4_P12ihipStream_tbEUlT_E_NS1_11comp_targetILNS1_3genE5ELNS1_11target_archE942ELNS1_3gpuE9ELNS1_3repE0EEENS1_30default_config_static_selectorELNS0_4arch9wavefront6targetE1EEEvT1_
	.p2align	8
	.type	_ZN7rocprim17ROCPRIM_400000_NS6detail17trampoline_kernelINS0_14default_configENS1_35adjacent_difference_config_selectorILb0EsEEZNS1_24adjacent_difference_implIS3_Lb0ELb0EPsS7_N6thrust23THRUST_200600_302600_NS5minusIsEEEE10hipError_tPvRmT2_T3_mT4_P12ihipStream_tbEUlT_E_NS1_11comp_targetILNS1_3genE5ELNS1_11target_archE942ELNS1_3gpuE9ELNS1_3repE0EEENS1_30default_config_static_selectorELNS0_4arch9wavefront6targetE1EEEvT1_,@function
_ZN7rocprim17ROCPRIM_400000_NS6detail17trampoline_kernelINS0_14default_configENS1_35adjacent_difference_config_selectorILb0EsEEZNS1_24adjacent_difference_implIS3_Lb0ELb0EPsS7_N6thrust23THRUST_200600_302600_NS5minusIsEEEE10hipError_tPvRmT2_T3_mT4_P12ihipStream_tbEUlT_E_NS1_11comp_targetILNS1_3genE5ELNS1_11target_archE942ELNS1_3gpuE9ELNS1_3repE0EEENS1_30default_config_static_selectorELNS0_4arch9wavefront6targetE1EEEvT1_: ; @_ZN7rocprim17ROCPRIM_400000_NS6detail17trampoline_kernelINS0_14default_configENS1_35adjacent_difference_config_selectorILb0EsEEZNS1_24adjacent_difference_implIS3_Lb0ELb0EPsS7_N6thrust23THRUST_200600_302600_NS5minusIsEEEE10hipError_tPvRmT2_T3_mT4_P12ihipStream_tbEUlT_E_NS1_11comp_targetILNS1_3genE5ELNS1_11target_archE942ELNS1_3gpuE9ELNS1_3repE0EEENS1_30default_config_static_selectorELNS0_4arch9wavefront6targetE1EEEvT1_
; %bb.0:
	s_load_dwordx8 s[4:11], s[0:1], 0x0
	v_bfrev_b32_e32 v1, 11
	s_movk_i32 s3, 0x1100
	s_load_dwordx2 s[0:1], s[0:1], 0x30
	s_mul_i32 s12, s2, 0x1100
	s_waitcnt lgkmcnt(0)
	s_lshl_b64 s[14:15], s[6:7], 1
	s_add_u32 s20, s4, s14
	s_addc_u32 s21, s5, s15
	s_mov_b32 s4, 0x3f0f0aa0
	s_add_u32 s4, 0x367, s4
	s_addc_u32 s5, 0, 0
	v_add_co_u32_e32 v1, vcc, s4, v1
	s_cmp_lg_u64 vcc, 0
	v_readfirstlane_b32 s6, v1
	s_addc_u32 s4, s5, 0xf0f0e
	s_mul_hi_u32 s7, s6, 0xffffef00
	s_mul_i32 s5, s4, 0xffffef00
	s_sub_i32 s7, s7, s6
	s_add_i32 s7, s7, s5
	s_mul_i32 s17, s6, 0xffffef00
	s_mul_hi_u32 s5, s6, s7
	s_mul_i32 s16, s6, s7
	s_mul_hi_u32 s6, s6, s17
	s_add_u32 s6, s6, s16
	s_addc_u32 s5, 0, s5
	s_mul_hi_u32 s18, s4, s17
	s_mul_i32 s17, s4, s17
	s_add_u32 s6, s6, s17
	s_mul_hi_u32 s16, s4, s7
	s_addc_u32 s5, s5, s18
	s_addc_u32 s6, s16, 0
	s_mul_i32 s7, s4, s7
	s_add_u32 s5, s5, s7
	s_addc_u32 s6, 0, s6
	v_add_co_u32_e32 v1, vcc, s5, v1
	s_cmp_lg_u64 vcc, 0
	s_addc_u32 s4, s4, s6
	v_readfirstlane_b32 s7, v1
	s_mul_i32 s6, s10, s4
	s_mul_hi_u32 s16, s10, s7
	s_mul_hi_u32 s5, s10, s4
	s_add_u32 s6, s16, s6
	s_addc_u32 s5, 0, s5
	s_mul_hi_u32 s17, s11, s7
	s_mul_i32 s7, s11, s7
	s_add_u32 s6, s6, s7
	s_mul_hi_u32 s16, s11, s4
	s_addc_u32 s5, s5, s17
	s_addc_u32 s6, s16, 0
	s_mul_i32 s4, s11, s4
	s_add_u32 s4, s5, s4
	s_addc_u32 s5, 0, s6
	s_add_u32 s6, s4, 1
	s_addc_u32 s7, s5, 0
	s_add_u32 s16, s4, 2
	s_mul_i32 s18, s5, 0x1100
	s_mul_hi_u32 s19, s4, 0x1100
	s_addc_u32 s17, s5, 0
	s_add_i32 s19, s19, s18
	s_mul_i32 s18, s4, 0x1100
	v_mov_b32_e32 v1, s18
	v_sub_co_u32_e32 v1, vcc, s10, v1
	s_cmp_lg_u64 vcc, 0
	s_subb_u32 s18, s11, s19
	v_subrev_co_u32_e32 v2, vcc, s3, v1
	s_cmp_lg_u64 vcc, 0
	s_subb_u32 s3, s18, 0
	v_readfirstlane_b32 s19, v2
	s_cmpk_gt_u32 s19, 0x10ff
	s_cselect_b32 s19, -1, 0
	s_cmp_eq_u32 s3, 0
	s_cselect_b32 s3, s19, -1
	s_cmp_lg_u32 s3, 0
	s_cselect_b32 s3, s16, s6
	s_cselect_b32 s6, s17, s7
	v_readfirstlane_b32 s7, v1
	s_cmpk_gt_u32 s7, 0x10ff
	s_cselect_b32 s7, -1, 0
	s_cmp_eq_u32 s18, 0
	s_cselect_b32 s7, s7, -1
	s_cmp_lg_u32 s7, 0
	s_cselect_b32 s6, s6, s5
	s_cselect_b32 s3, s3, s4
	s_mul_i32 s4, s6, 0x1100
	s_mul_hi_u32 s5, s3, 0x1100
	s_add_i32 s5, s5, s4
	s_mul_i32 s4, s3, 0x1100
	s_sub_u32 s4, s10, s4
	s_subb_u32 s5, s11, s5
	s_cmp_lg_u64 s[4:5], 0
	s_cselect_b64 s[4:5], -1, 0
	v_cndmask_b32_e64 v1, 0, 1, s[4:5]
	s_mov_b32 s13, 0
	v_readfirstlane_b32 s4, v1
	s_add_u32 s4, s3, s4
	s_addc_u32 s5, s6, 0
	s_add_u32 s2, s0, s2
	s_addc_u32 s3, s1, 0
	s_add_u32 s6, s4, -1
	s_addc_u32 s7, s5, -1
	v_mov_b64_e32 v[2:3], s[6:7]
	v_cmp_ge_u64_e64 s[0:1], s[2:3], v[2:3]
	s_mov_b64 s[16:17], -1
	s_and_b64 vcc, exec, s[0:1]
	s_mul_i32 s11, s6, 0xffffef00
	s_cbranch_vccz .LBB54_36
; %bb.1:
	s_add_i32 s22, s11, s10
	s_lshl_b64 s[16:17], s[12:13], 1
	s_add_u32 s16, s20, s16
	s_addc_u32 s17, s21, s17
	v_cmp_gt_u32_e32 vcc, s22, v0
                                        ; implicit-def: $vgpr1
	s_and_saveexec_b64 s[18:19], vcc
	s_cbranch_execz .LBB54_3
; %bb.2:
	v_lshlrev_b32_e32 v1, 1, v0
	global_load_ushort v1, v1, s[16:17]
.LBB54_3:
	s_or_b64 exec, exec, s[18:19]
	v_or_b32_e32 v2, 0x100, v0
	v_cmp_gt_u32_e32 vcc, s22, v2
                                        ; implicit-def: $vgpr2
	s_and_saveexec_b64 s[18:19], vcc
	s_cbranch_execz .LBB54_5
; %bb.4:
	v_lshlrev_b32_e32 v2, 1, v0
	global_load_ushort v2, v2, s[16:17] offset:512
.LBB54_5:
	s_or_b64 exec, exec, s[18:19]
	v_or_b32_e32 v3, 0x200, v0
	v_cmp_gt_u32_e32 vcc, s22, v3
                                        ; implicit-def: $vgpr3
	s_and_saveexec_b64 s[18:19], vcc
	s_cbranch_execz .LBB54_7
; %bb.6:
	v_lshlrev_b32_e32 v3, 1, v0
	global_load_ushort v3, v3, s[16:17] offset:1024
.LBB54_7:
	s_or_b64 exec, exec, s[18:19]
	v_or_b32_e32 v4, 0x300, v0
	v_cmp_gt_u32_e32 vcc, s22, v4
                                        ; implicit-def: $vgpr4
	s_and_saveexec_b64 s[18:19], vcc
	s_cbranch_execz .LBB54_9
; %bb.8:
	v_lshlrev_b32_e32 v4, 1, v0
	global_load_ushort v4, v4, s[16:17] offset:1536
.LBB54_9:
	s_or_b64 exec, exec, s[18:19]
	v_or_b32_e32 v5, 0x400, v0
	v_cmp_gt_u32_e32 vcc, s22, v5
                                        ; implicit-def: $vgpr5
	s_and_saveexec_b64 s[18:19], vcc
	s_cbranch_execz .LBB54_11
; %bb.10:
	v_lshlrev_b32_e32 v5, 1, v0
	global_load_ushort v5, v5, s[16:17] offset:2048
.LBB54_11:
	s_or_b64 exec, exec, s[18:19]
	v_or_b32_e32 v6, 0x500, v0
	v_cmp_gt_u32_e32 vcc, s22, v6
                                        ; implicit-def: $vgpr6
	s_and_saveexec_b64 s[18:19], vcc
	s_cbranch_execz .LBB54_13
; %bb.12:
	v_lshlrev_b32_e32 v6, 1, v0
	global_load_ushort v6, v6, s[16:17] offset:2560
.LBB54_13:
	s_or_b64 exec, exec, s[18:19]
	v_or_b32_e32 v7, 0x600, v0
	v_cmp_gt_u32_e32 vcc, s22, v7
                                        ; implicit-def: $vgpr7
	s_and_saveexec_b64 s[18:19], vcc
	s_cbranch_execz .LBB54_15
; %bb.14:
	v_lshlrev_b32_e32 v7, 1, v0
	global_load_ushort v7, v7, s[16:17] offset:3072
.LBB54_15:
	s_or_b64 exec, exec, s[18:19]
	v_or_b32_e32 v8, 0x700, v0
	v_cmp_gt_u32_e32 vcc, s22, v8
                                        ; implicit-def: $vgpr8
	s_and_saveexec_b64 s[18:19], vcc
	s_cbranch_execz .LBB54_17
; %bb.16:
	v_lshlrev_b32_e32 v8, 1, v0
	global_load_ushort v8, v8, s[16:17] offset:3584
.LBB54_17:
	s_or_b64 exec, exec, s[18:19]
	v_or_b32_e32 v10, 0x800, v0
	v_cmp_gt_u32_e32 vcc, s22, v10
                                        ; implicit-def: $vgpr9
	s_and_saveexec_b64 s[18:19], vcc
	s_cbranch_execz .LBB54_19
; %bb.18:
	v_lshlrev_b32_e32 v9, 1, v10
	global_load_ushort v9, v9, s[16:17]
.LBB54_19:
	s_or_b64 exec, exec, s[18:19]
	v_or_b32_e32 v11, 0x900, v0
	v_cmp_gt_u32_e32 vcc, s22, v11
                                        ; implicit-def: $vgpr10
	s_and_saveexec_b64 s[18:19], vcc
	s_cbranch_execz .LBB54_21
; %bb.20:
	v_lshlrev_b32_e32 v10, 1, v11
	global_load_ushort v10, v10, s[16:17]
.LBB54_21:
	s_or_b64 exec, exec, s[18:19]
	v_or_b32_e32 v12, 0xa00, v0
	v_cmp_gt_u32_e32 vcc, s22, v12
                                        ; implicit-def: $vgpr11
	s_and_saveexec_b64 s[18:19], vcc
	s_cbranch_execz .LBB54_23
; %bb.22:
	v_lshlrev_b32_e32 v11, 1, v12
	global_load_ushort v11, v11, s[16:17]
.LBB54_23:
	s_or_b64 exec, exec, s[18:19]
	v_or_b32_e32 v13, 0xb00, v0
	v_cmp_gt_u32_e32 vcc, s22, v13
                                        ; implicit-def: $vgpr12
	s_and_saveexec_b64 s[18:19], vcc
	s_cbranch_execz .LBB54_25
; %bb.24:
	v_lshlrev_b32_e32 v12, 1, v13
	global_load_ushort v12, v12, s[16:17]
.LBB54_25:
	s_or_b64 exec, exec, s[18:19]
	v_or_b32_e32 v14, 0xc00, v0
	v_cmp_gt_u32_e32 vcc, s22, v14
                                        ; implicit-def: $vgpr13
	s_and_saveexec_b64 s[18:19], vcc
	s_cbranch_execz .LBB54_27
; %bb.26:
	v_lshlrev_b32_e32 v13, 1, v14
	global_load_ushort v13, v13, s[16:17]
.LBB54_27:
	s_or_b64 exec, exec, s[18:19]
	v_or_b32_e32 v15, 0xd00, v0
	v_cmp_gt_u32_e32 vcc, s22, v15
                                        ; implicit-def: $vgpr14
	s_and_saveexec_b64 s[18:19], vcc
	s_cbranch_execz .LBB54_29
; %bb.28:
	v_lshlrev_b32_e32 v14, 1, v15
	global_load_ushort v14, v14, s[16:17]
.LBB54_29:
	s_or_b64 exec, exec, s[18:19]
	v_or_b32_e32 v16, 0xe00, v0
	v_cmp_gt_u32_e32 vcc, s22, v16
                                        ; implicit-def: $vgpr15
	s_and_saveexec_b64 s[18:19], vcc
	s_cbranch_execz .LBB54_31
; %bb.30:
	v_lshlrev_b32_e32 v15, 1, v16
	global_load_ushort v15, v15, s[16:17]
.LBB54_31:
	s_or_b64 exec, exec, s[18:19]
	v_or_b32_e32 v17, 0xf00, v0
	v_cmp_gt_u32_e32 vcc, s22, v17
                                        ; implicit-def: $vgpr16
	s_and_saveexec_b64 s[18:19], vcc
	s_cbranch_execz .LBB54_33
; %bb.32:
	v_lshlrev_b32_e32 v16, 1, v17
	global_load_ushort v16, v16, s[16:17]
.LBB54_33:
	s_or_b64 exec, exec, s[18:19]
	v_or_b32_e32 v18, 0x1000, v0
	v_cmp_gt_u32_e32 vcc, s22, v18
                                        ; implicit-def: $vgpr17
	s_and_saveexec_b64 s[18:19], vcc
	s_cbranch_execz .LBB54_35
; %bb.34:
	v_lshlrev_b32_e32 v17, 1, v18
	global_load_ushort v17, v17, s[16:17]
.LBB54_35:
	s_or_b64 exec, exec, s[18:19]
	v_lshlrev_b32_e32 v18, 1, v0
	s_mov_b64 s[16:17], 0
	s_waitcnt vmcnt(0)
	ds_write_b16 v18, v1
	ds_write_b16 v18, v2 offset:512
	ds_write_b16 v18, v3 offset:1024
	ds_write_b16 v18, v4 offset:1536
	ds_write_b16 v18, v5 offset:2048
	ds_write_b16 v18, v6 offset:2560
	ds_write_b16 v18, v7 offset:3072
	ds_write_b16 v18, v8 offset:3584
	ds_write_b16 v18, v9 offset:4096
	ds_write_b16 v18, v10 offset:4608
	ds_write_b16 v18, v11 offset:5120
	ds_write_b16 v18, v12 offset:5632
	ds_write_b16 v18, v13 offset:6144
	ds_write_b16 v18, v14 offset:6656
	ds_write_b16 v18, v15 offset:7168
	ds_write_b16 v18, v16 offset:7680
	ds_write_b16 v18, v17 offset:8192
	s_waitcnt lgkmcnt(0)
	s_barrier
.LBB54_36:
	s_and_b64 vcc, exec, s[16:17]
	v_lshlrev_b32_e32 v10, 1, v0
	s_cbranch_vccz .LBB54_38
; %bb.37:
	s_lshl_b64 s[16:17], s[12:13], 1
	s_add_u32 s16, s20, s16
	s_addc_u32 s17, s21, s17
	v_mov_b32_e32 v11, 0
	v_lshl_add_u64 v[2:3], s[16:17], 0, v[10:11]
	s_movk_i32 s13, 0x1000
	v_add_co_u32_e32 v4, vcc, s13, v2
	s_movk_i32 s13, 0x2000
	s_nop 0
	v_addc_co_u32_e32 v5, vcc, 0, v3, vcc
	v_add_co_u32_e32 v2, vcc, s13, v2
	global_load_ushort v1, v10, s[16:17]
	s_nop 0
	v_addc_co_u32_e32 v3, vcc, 0, v3, vcc
	global_load_ushort v6, v10, s[16:17] offset:512
	global_load_ushort v7, v10, s[16:17] offset:1024
	global_load_ushort v8, v10, s[16:17] offset:1536
	global_load_ushort v9, v10, s[16:17] offset:2048
	global_load_ushort v11, v10, s[16:17] offset:2560
	global_load_ushort v12, v10, s[16:17] offset:3072
	global_load_ushort v13, v10, s[16:17] offset:3584
	global_load_ushort v14, v[2:3], off offset:-4096
	global_load_ushort v15, v[4:5], off offset:512
	global_load_ushort v16, v[4:5], off offset:1024
	;; [unrolled: 1-line block ×7, first 2 shown]
                                        ; kill: killed $vgpr4 killed $vgpr5
                                        ; kill: killed $sgpr16 killed $sgpr17
	s_nop 0
	global_load_ushort v2, v[2:3], off
	s_waitcnt vmcnt(16)
	ds_write_b16 v10, v1
	s_waitcnt vmcnt(15)
	ds_write_b16 v10, v6 offset:512
	s_waitcnt vmcnt(14)
	ds_write_b16 v10, v7 offset:1024
	;; [unrolled: 2-line block ×16, first 2 shown]
	s_waitcnt lgkmcnt(0)
	s_barrier
.LBB54_38:
	v_mul_u32_u24_e32 v1, 17, v0
	v_lshlrev_b32_e32 v1, 1, v1
	ds_read_b96 v[2:4], v1 offset:20
	ds_read_b96 v[6:8], v1
	ds_read_b64 v[12:13], v1 offset:12
	ds_read_u16 v5, v1 offset:32
	s_cmp_eq_u64 s[2:3], 0
	s_waitcnt lgkmcnt(3)
	v_alignbit_b32 v9, v4, v3, 16
	v_alignbit_b32 v3, v3, v2, 16
	v_lshrrev_b32_e32 v4, 16, v4
	s_waitcnt lgkmcnt(2)
	v_alignbit_b32 v11, v8, v7, 16
	v_alignbit_b32 v7, v7, v6, 16
	v_lshrrev_b32_e32 v8, 16, v8
	s_waitcnt lgkmcnt(0)
	s_barrier
	s_cbranch_scc1 .LBB54_43
; %bb.39:
	s_mov_b32 s13, 0
	s_lshl_b64 s[16:17], s[12:13], 1
	s_add_u32 s16, s20, s16
	s_addc_u32 s17, s21, s17
	v_mov_b32_e32 v1, 0
	global_load_ushort v23, v1, s[16:17] offset:-2
	s_cmp_eq_u64 s[2:3], s[6:7]
	s_cbranch_scc1 .LBB54_44
; %bb.40:
	v_cmp_ne_u32_e32 vcc, 0, v0
	s_waitcnt vmcnt(0)
	v_mov_b32_e32 v1, v23
	ds_write_b16 v10, v5
	s_waitcnt lgkmcnt(0)
	s_barrier
	s_and_saveexec_b64 s[6:7], vcc
	s_cbranch_execz .LBB54_42
; %bb.41:
	v_add_u32_e32 v1, -2, v10
	ds_read_u16 v1, v1
.LBB54_42:
	s_or_b64 exec, exec, s[6:7]
	s_mov_b32 s3, 0x5040100
	v_perm_b32 v17, v7, v6, s3
	v_perm_b32 v20, v12, v8, s3
	;; [unrolled: 1-line block ×3, first 2 shown]
	s_mov_b32 s3, 0xffff
	s_waitcnt lgkmcnt(0)
	v_sub_u16_e32 v1, v6, v1
	v_alignbit_b32 v19, v11, v7, 16
	v_lshrrev_b32_e32 v16, 16, v11
	v_alignbit_b32 v22, v13, v12, 16
	v_lshrrev_b32_e32 v15, 16, v13
	v_alignbit_b32 v21, v9, v3, 16
	v_bfi_b32 v14, s3, v4, v9
	s_branch .LBB54_48
.LBB54_43:
                                        ; implicit-def: $vgpr21
                                        ; implicit-def: $vgpr18
                                        ; implicit-def: $vgpr22
                                        ; implicit-def: $vgpr20
                                        ; implicit-def: $vgpr19
                                        ; implicit-def: $vgpr17
                                        ; implicit-def: $vgpr14
                                        ; implicit-def: $vgpr1
                                        ; implicit-def: $vgpr16
                                        ; implicit-def: $vgpr15
	s_branch .LBB54_49
.LBB54_44:
                                        ; implicit-def: $vgpr21
                                        ; implicit-def: $vgpr18
                                        ; implicit-def: $vgpr22
                                        ; implicit-def: $vgpr20
                                        ; implicit-def: $vgpr19
                                        ; implicit-def: $vgpr17
                                        ; implicit-def: $vgpr14
                                        ; implicit-def: $vgpr1
                                        ; implicit-def: $vgpr16
                                        ; implicit-def: $vgpr15
	s_cbranch_execz .LBB54_48
; %bb.45:
	v_mul_u32_u24_e32 v1, 17, v0
	v_cmp_ne_u32_e32 vcc, 0, v0
	ds_write_b16 v10, v5
	s_waitcnt lgkmcnt(0)
	s_barrier
	s_and_saveexec_b64 s[6:7], vcc
	s_cbranch_execz .LBB54_47
; %bb.46:
	v_add_u32_e32 v14, -2, v10
	s_waitcnt vmcnt(0)
	ds_read_u16 v23, v14
.LBB54_47:
	s_or_b64 exec, exec, s[6:7]
	s_mulk_i32 s2, 0xef00
	s_add_i32 s2, s2, s10
	v_add_u32_e32 v14, 16, v1
	v_add_u32_e32 v15, 15, v1
	v_cmp_gt_u32_e32 vcc, s2, v14
	v_lshrrev_b32_e32 v16, 16, v9
	s_mov_b32 s3, 0x5040100
	v_cndmask_b32_e32 v14, 0, v4, vcc
	v_cmp_gt_u32_e32 vcc, s2, v15
	v_lshrrev_b32_e32 v19, 16, v3
	v_add_u32_e32 v17, 11, v1
	v_cndmask_b32_e32 v15, 0, v16, vcc
	v_perm_b32 v14, v15, v14, s3
	v_add_u32_e32 v15, 13, v1
	v_add_u32_e32 v16, 14, v1
	v_cmp_gt_u32_e32 vcc, s2, v15
	v_add_u32_e32 v18, 12, v1
	v_add_u32_e32 v15, 10, v1
	v_cndmask_b32_e32 v21, 0, v19, vcc
	v_cmp_gt_u32_e32 vcc, s2, v16
	v_lshrrev_b32_e32 v16, 16, v13
	v_lshrrev_b32_e32 v22, 16, v12
	v_cndmask_b32_e32 v24, 0, v9, vcc
	v_cmp_gt_u32_e32 vcc, s2, v17
	v_add_u32_e32 v17, 9, v1
	v_add_u32_e32 v19, 6, v1
	v_cndmask_b32_e32 v25, 0, v2, vcc
	v_cmp_gt_u32_e32 vcc, s2, v18
	v_add_u32_e32 v20, 7, v1
	v_lshrrev_b32_e32 v30, 16, v7
	v_cndmask_b32_e32 v18, 0, v3, vcc
	v_cmp_gt_u32_e32 vcc, s2, v15
	v_add_u32_e32 v28, 1, v1
	v_add_u32_e32 v29, 2, v1
	v_cndmask_b32_e32 v15, 0, v16, vcc
	v_add_u32_e32 v16, 8, v1
	v_cmp_gt_u32_e32 vcc, s2, v16
	v_add_u32_e32 v16, 5, v1
	v_perm_b32 v18, v18, v25, s3
	v_cndmask_b32_e32 v22, 0, v22, vcc
	v_cmp_gt_u32_e32 vcc, s2, v17
	v_lshrrev_b32_e32 v17, 16, v11
	v_perm_b32 v21, v24, v21, s3
	v_cndmask_b32_e32 v26, 0, v13, vcc
	v_cmp_gt_u32_e32 vcc, s2, v19
	v_add_u32_e32 v19, 4, v1
	v_perm_b32 v22, v26, v22, s3
	v_cndmask_b32_e32 v27, 0, v8, vcc
	v_cmp_gt_u32_e32 vcc, s2, v20
	s_nop 1
	v_cndmask_b32_e32 v20, 0, v12, vcc
	v_cmp_gt_u32_e32 vcc, s2, v16
	v_perm_b32 v20, v20, v27, s3
	s_nop 0
	v_cndmask_b32_e32 v16, 0, v17, vcc
	v_add_u32_e32 v17, 3, v1
	v_cmp_gt_u32_e32 vcc, s2, v17
	s_nop 1
	v_cndmask_b32_e32 v30, 0, v30, vcc
	v_cmp_gt_u32_e32 vcc, s2, v19
	s_nop 1
	v_cndmask_b32_e32 v19, 0, v11, vcc
	v_cmp_gt_u32_e32 vcc, s2, v28
	v_perm_b32 v19, v19, v30, s3
	s_nop 0
	v_cndmask_b32_e32 v17, 0, v6, vcc
	v_cmp_gt_u32_e32 vcc, s2, v29
	s_nop 1
	v_cndmask_b32_e32 v28, 0, v7, vcc
	v_cmp_gt_u32_e32 vcc, s2, v1
	v_perm_b32 v17, v28, v17, s3
	s_waitcnt vmcnt(0) lgkmcnt(0)
	v_cndmask_b32_e32 v1, 0, v23, vcc
	v_sub_u16_e32 v1, v6, v1
.LBB54_48:
	s_cbranch_execnz .LBB54_57
.LBB54_49:
	s_cmp_eq_u64 s[4:5], 1
	v_cmp_ne_u32_e32 vcc, 0, v0
	s_cbranch_scc1 .LBB54_53
; %bb.50:
	s_mov_b32 s5, 0x5040100
	s_mov_b32 s4, 0xffff
	v_mov_b32_e32 v1, v6
	ds_write_b16 v10, v5
	s_waitcnt lgkmcnt(0)
	s_barrier
	s_and_saveexec_b64 s[2:3], vcc
	s_cbranch_execz .LBB54_52
; %bb.51:
	v_add_u32_e32 v1, -2, v10
	ds_read_u16 v1, v1
	s_waitcnt lgkmcnt(0)
	v_sub_u16_e32 v1, v6, v1
.LBB54_52:
	s_or_b64 exec, exec, s[2:3]
	v_perm_b32 v17, v7, v6, s5
	v_alignbit_b32 v19, v11, v7, 16
	v_lshrrev_b32_e32 v16, 16, v11
	v_perm_b32 v20, v12, v8, s5
	v_alignbit_b32 v22, v13, v12, 16
	v_lshrrev_b32_e32 v15, 16, v13
	v_perm_b32 v18, v3, v2, s5
	v_alignbit_b32 v21, v9, v3, 16
	v_bfi_b32 v14, s4, v4, v9
	s_cbranch_execz .LBB54_54
	s_branch .LBB54_57
.LBB54_53:
                                        ; implicit-def: $vgpr21
                                        ; implicit-def: $vgpr18
                                        ; implicit-def: $vgpr22
                                        ; implicit-def: $vgpr20
                                        ; implicit-def: $vgpr19
                                        ; implicit-def: $vgpr17
                                        ; implicit-def: $vgpr14
                                        ; implicit-def: $vgpr1
                                        ; implicit-def: $vgpr16
                                        ; implicit-def: $vgpr15
.LBB54_54:
	v_mad_u32_u24 v1, v0, 17, 16
	v_mad_u32_u24 v14, v0, 17, 15
	v_cmp_gt_u32_e32 vcc, s10, v1
	v_lshrrev_b32_e32 v15, 16, v9
	v_mad_u32_u24 v16, v0, 17, 13
	v_cndmask_b32_e32 v1, 0, v4, vcc
	v_cmp_gt_u32_e32 vcc, s10, v14
	v_mad_u32_u24 v17, v0, 17, 11
	v_lshrrev_b32_e32 v18, 16, v3
	v_cndmask_b32_e32 v14, 0, v15, vcc
	v_mad_u32_u24 v15, v0, 17, 14
	v_cmp_gt_u32_e32 vcc, s10, v15
	v_mad_u32_u24 v19, v0, 17, 12
	v_lshrrev_b32_e32 v20, 16, v12
	v_cndmask_b32_e32 v21, 0, v9, vcc
	v_cmp_gt_u32_e32 vcc, s10, v16
	v_mad_u32_u24 v16, v0, 17, 9
	v_cmp_gt_u32_e64 s[2:3], s10, v16
	s_waitcnt vmcnt(0)
	v_cndmask_b32_e32 v23, 0, v18, vcc
	v_cmp_gt_u32_e32 vcc, s10, v17
	v_mad_u32_u24 v17, v0, 17, 8
	v_cndmask_b32_e64 v22, 0, v13, s[2:3]
	v_cmp_gt_u32_e64 s[2:3], s10, v17
	v_mad_u32_u24 v17, v0, 17, 4
	v_cndmask_b32_e32 v18, 0, v2, vcc
	v_cmp_gt_u32_e32 vcc, s10, v19
	v_mad_u32_u24 v19, v0, 17, 6
	v_mad_u32_u24 v27, v0, 17, 3
	v_cmp_gt_u32_e64 s[4:5], s10, v17
	v_cndmask_b32_e64 v25, 0, v20, s[2:3]
	v_cmp_gt_u32_e64 s[2:3], s10, v19
	v_mad_u32_u24 v28, v0, 17, 1
	v_lshrrev_b32_e32 v31, 16, v7
	v_cndmask_b32_e64 v19, 0, v11, s[4:5]
	v_cmp_gt_u32_e64 s[4:5], s10, v27
	v_mad_u32_u24 v30, v0, 17, 2
	v_mul_u32_u24_e32 v29, 17, v0
	v_cndmask_b32_e64 v27, 0, v31, s[4:5]
	v_cmp_gt_u32_e64 s[4:5], s10, v28
	v_mad_u32_u24 v26, v0, 17, 7
	v_mad_u32_u24 v15, v0, 17, 10
	v_cndmask_b32_e64 v17, 0, v6, s[4:5]
	v_cmp_gt_u32_e64 s[4:5], s10, v30
	v_cndmask_b32_e64 v20, 0, v8, s[2:3]
	v_cmp_gt_u32_e64 s[2:3], s10, v26
	v_mad_u32_u24 v16, v0, 17, 5
	v_cndmask_b32_e64 v28, 0, v7, s[4:5]
	v_cmp_ne_u32_e64 s[4:5], 0, v0
	v_cmp_gt_u32_e64 s[6:7], s10, v29
	s_mov_b32 s13, 0x5040100
	v_cndmask_b32_e32 v24, 0, v3, vcc
	v_cmp_gt_u32_e32 vcc, s10, v15
	v_lshrrev_b32_e32 v15, 16, v13
	v_cndmask_b32_e64 v26, 0, v12, s[2:3]
	v_cmp_gt_u32_e64 s[2:3], s10, v16
	v_lshrrev_b32_e32 v16, 16, v11
	s_and_b64 s[6:7], s[4:5], s[6:7]
	ds_write_b16 v10, v5
	s_waitcnt lgkmcnt(0)
	s_barrier
	s_and_saveexec_b64 s[4:5], s[6:7]
	s_cbranch_execz .LBB54_56
; %bb.55:
	v_add_u32_e32 v29, -2, v10
	ds_read_u16 v29, v29
	s_waitcnt lgkmcnt(0)
	v_sub_u16_e32 v6, v6, v29
.LBB54_56:
	s_or_b64 exec, exec, s[4:5]
	v_perm_b32 v14, v14, v1, s13
	v_cndmask_b32_e32 v15, 0, v15, vcc
	v_cndmask_b32_e64 v16, 0, v16, s[2:3]
	v_perm_b32 v17, v28, v17, s13
	v_perm_b32 v19, v19, v27, s13
	;; [unrolled: 1-line block ×6, first 2 shown]
	v_mov_b32_e32 v1, v6
.LBB54_57:
	s_add_u32 s4, s8, s14
	v_pk_sub_i16 v6, v11, v19
	v_pk_sub_i16 v17, v7, v17
	v_sub_u16_e32 v7, v8, v16
	v_sub_u16_e32 v16, v2, v15
	v_pk_sub_i16 v2, v9, v21
	v_pk_sub_i16 v18, v3, v18
	v_sub_u16_sdwa v3, v4, v14 dst_sel:DWORD dst_unused:UNUSED_PAD src0_sel:DWORD src1_sel:WORD_1
	s_addc_u32 s5, s9, s15
	v_pk_sub_i16 v13, v13, v22
	v_pk_sub_i16 v12, v12, v20
	v_sub_u16_e32 v5, v5, v14
	s_and_b64 vcc, exec, s[0:1]
	v_mul_u32_u24_e32 v9, 34, v0
	v_alignbit_b32 v8, v7, v6, 16
	v_alignbit_b32 v7, v6, v17, 16
	;; [unrolled: 1-line block ×4, first 2 shown]
	v_lshlrev_b32_e32 v19, 5, v0
	s_barrier
	s_cbranch_vccz .LBB54_91
; %bb.58:
	s_mov_b32 s2, 0x5040100
	v_perm_b32 v6, v17, v1, s2
	v_perm_b32 v2, v18, v16, s2
	ds_write_b96 v9, v[6:8]
	ds_write_b64 v9, v[12:13] offset:12
	ds_write_b96 v9, v[2:4] offset:20
	ds_write_b16 v9, v5 offset:32
	v_sub_u32_e32 v2, v9, v19
	s_waitcnt lgkmcnt(0)
	s_barrier
	ds_read_u16 v33, v2 offset:512
	ds_read_u16 v32, v2 offset:1024
	;; [unrolled: 1-line block ×10, first 2 shown]
	s_waitcnt vmcnt(0)
	ds_read_u16 v23, v2 offset:5632
	ds_read_u16 v22, v2 offset:6144
	;; [unrolled: 1-line block ×6, first 2 shown]
	s_mov_b32 s13, 0
	s_add_i32 s11, s11, s10
	s_lshl_b64 s[0:1], s[12:13], 1
	s_add_u32 s0, s4, s0
	s_addc_u32 s1, s5, s1
	v_mov_b32_e32 v11, 0
	v_lshl_add_u64 v[14:15], s[0:1], 0, v[10:11]
	v_cmp_gt_u32_e32 vcc, s11, v0
	s_and_saveexec_b64 s[0:1], vcc
	s_cbranch_execz .LBB54_60
; %bb.59:
	v_sub_u32_e32 v11, 0, v19
	v_add_u32_e32 v11, v9, v11
	ds_read_u16 v11, v11
	s_waitcnt lgkmcnt(0)
	global_store_short v[14:15], v11, off
.LBB54_60:
	s_or_b64 exec, exec, s[0:1]
	v_or_b32_e32 v11, 0x100, v0
	v_cmp_gt_u32_e32 vcc, s11, v11
	s_and_saveexec_b64 s[0:1], vcc
	s_cbranch_execz .LBB54_62
; %bb.61:
	s_waitcnt lgkmcnt(14)
	global_store_short v[14:15], v33, off offset:512
.LBB54_62:
	s_or_b64 exec, exec, s[0:1]
	v_or_b32_e32 v11, 0x200, v0
	v_cmp_gt_u32_e32 vcc, s11, v11
	s_and_saveexec_b64 s[0:1], vcc
	s_cbranch_execz .LBB54_64
; %bb.63:
	s_waitcnt lgkmcnt(14)
	global_store_short v[14:15], v32, off offset:1024
.LBB54_64:
	;; [unrolled: 9-line block ×7, first 2 shown]
	s_or_b64 exec, exec, s[0:1]
	v_or_b32_e32 v11, 0x800, v0
	v_cmp_gt_u32_e32 vcc, s11, v11
	s_and_saveexec_b64 s[0:1], vcc
	s_cbranch_execz .LBB54_76
; %bb.75:
	s_waitcnt lgkmcnt(10)
	v_add_co_u32_e32 v28, vcc, 0x1000, v14
	s_nop 1
	v_addc_co_u32_e32 v29, vcc, 0, v15, vcc
	s_waitcnt lgkmcnt(8)
	global_store_short v[28:29], v26, off
.LBB54_76:
	s_or_b64 exec, exec, s[0:1]
	v_or_b32_e32 v11, 0x900, v0
	v_cmp_gt_u32_e32 vcc, s11, v11
	s_and_saveexec_b64 s[0:1], vcc
	s_cbranch_execz .LBB54_78
; %bb.77:
	s_waitcnt lgkmcnt(8)
	v_add_co_u32_e32 v26, vcc, 0x1000, v14
	s_nop 1
	v_addc_co_u32_e32 v27, vcc, 0, v15, vcc
	s_waitcnt lgkmcnt(7)
	global_store_short v[26:27], v25, off offset:512
.LBB54_78:
	s_or_b64 exec, exec, s[0:1]
	v_or_b32_e32 v11, 0xa00, v0
	v_cmp_gt_u32_e32 vcc, s11, v11
	s_and_saveexec_b64 s[0:1], vcc
	s_cbranch_execz .LBB54_80
; %bb.79:
	s_waitcnt lgkmcnt(8)
	v_add_co_u32_e32 v26, vcc, 0x1000, v14
	s_nop 1
	v_addc_co_u32_e32 v27, vcc, 0, v15, vcc
	s_waitcnt lgkmcnt(6)
	global_store_short v[26:27], v24, off offset:1024
.LBB54_80:
	;; [unrolled: 13-line block ×7, first 2 shown]
	s_or_b64 exec, exec, s[0:1]
	v_or_b32_e32 v0, 0x1000, v0
	v_cmp_gt_u32_e64 s[0:1], s11, v0
	s_branch .LBB54_93
.LBB54_91:
	s_mov_b64 s[0:1], 0
                                        ; implicit-def: $vgpr2
                                        ; implicit-def: $vgpr14_vgpr15
	s_cbranch_execz .LBB54_93
; %bb.92:
	s_mov_b32 s13, 0
	s_lshl_b64 s[2:3], s[12:13], 1
	s_add_u32 s2, s4, s2
	s_mov_b32 s4, 0x5040100
	s_waitcnt lgkmcnt(1)
	v_perm_b32 v6, v17, v1, s4
	s_waitcnt lgkmcnt(0)
	v_perm_b32 v2, v18, v16, s4
	v_sub_u32_e32 v0, v9, v19
	s_addc_u32 s3, s5, s3
	ds_write_b96 v9, v[6:8]
	ds_write_b64 v9, v[12:13] offset:12
	ds_write_b96 v9, v[2:4] offset:20
	ds_write_b16 v9, v5 offset:32
	s_waitcnt lgkmcnt(0)
	s_barrier
	ds_read_u16 v1, v0
	ds_read_u16 v3, v0 offset:512
	ds_read_u16 v4, v0 offset:1024
	;; [unrolled: 1-line block ×16, first 2 shown]
	v_mov_b32_e32 v11, 0
	v_lshl_add_u64 v[14:15], s[2:3], 0, v[10:11]
	v_add_co_u32_e32 v0, vcc, 0x1000, v14
	s_waitcnt lgkmcnt(14)
	global_store_short v10, v1, s[2:3]
	global_store_short v10, v3, s[2:3] offset:512
	global_store_short v10, v4, s[2:3] offset:1024
	s_waitcnt lgkmcnt(13)
	global_store_short v10, v5, s[2:3] offset:1536
	s_waitcnt lgkmcnt(12)
	;; [unrolled: 2-line block ×5, first 2 shown]
	global_store_short v10, v9, s[2:3] offset:3584
	v_addc_co_u32_e32 v1, vcc, 0, v15, vcc
	s_or_b64 s[0:1], s[0:1], exec
	s_waitcnt lgkmcnt(8)
	global_store_short v[0:1], v12, off
	s_waitcnt lgkmcnt(7)
	global_store_short v[0:1], v13, off offset:512
	s_waitcnt lgkmcnt(6)
	global_store_short v[0:1], v16, off offset:1024
	;; [unrolled: 2-line block ×7, first 2 shown]
.LBB54_93:
	s_and_saveexec_b64 s[2:3], s[0:1]
	s_cbranch_execnz .LBB54_95
; %bb.94:
	s_endpgm
.LBB54_95:
	v_add_co_u32_e32 v0, vcc, 0x2000, v14
	s_nop 1
	v_addc_co_u32_e32 v1, vcc, 0, v15, vcc
	s_waitcnt lgkmcnt(0)
	global_store_short v[0:1], v2, off
	s_endpgm
	.section	.rodata,"a",@progbits
	.p2align	6, 0x0
	.amdhsa_kernel _ZN7rocprim17ROCPRIM_400000_NS6detail17trampoline_kernelINS0_14default_configENS1_35adjacent_difference_config_selectorILb0EsEEZNS1_24adjacent_difference_implIS3_Lb0ELb0EPsS7_N6thrust23THRUST_200600_302600_NS5minusIsEEEE10hipError_tPvRmT2_T3_mT4_P12ihipStream_tbEUlT_E_NS1_11comp_targetILNS1_3genE5ELNS1_11target_archE942ELNS1_3gpuE9ELNS1_3repE0EEENS1_30default_config_static_selectorELNS0_4arch9wavefront6targetE1EEEvT1_
		.amdhsa_group_segment_fixed_size 8704
		.amdhsa_private_segment_fixed_size 0
		.amdhsa_kernarg_size 56
		.amdhsa_user_sgpr_count 2
		.amdhsa_user_sgpr_dispatch_ptr 0
		.amdhsa_user_sgpr_queue_ptr 0
		.amdhsa_user_sgpr_kernarg_segment_ptr 1
		.amdhsa_user_sgpr_dispatch_id 0
		.amdhsa_user_sgpr_kernarg_preload_length 0
		.amdhsa_user_sgpr_kernarg_preload_offset 0
		.amdhsa_user_sgpr_private_segment_size 0
		.amdhsa_uses_dynamic_stack 0
		.amdhsa_enable_private_segment 0
		.amdhsa_system_sgpr_workgroup_id_x 1
		.amdhsa_system_sgpr_workgroup_id_y 0
		.amdhsa_system_sgpr_workgroup_id_z 0
		.amdhsa_system_sgpr_workgroup_info 0
		.amdhsa_system_vgpr_workitem_id 0
		.amdhsa_next_free_vgpr 34
		.amdhsa_next_free_sgpr 23
		.amdhsa_accum_offset 36
		.amdhsa_reserve_vcc 1
		.amdhsa_float_round_mode_32 0
		.amdhsa_float_round_mode_16_64 0
		.amdhsa_float_denorm_mode_32 3
		.amdhsa_float_denorm_mode_16_64 3
		.amdhsa_dx10_clamp 1
		.amdhsa_ieee_mode 1
		.amdhsa_fp16_overflow 0
		.amdhsa_tg_split 0
		.amdhsa_exception_fp_ieee_invalid_op 0
		.amdhsa_exception_fp_denorm_src 0
		.amdhsa_exception_fp_ieee_div_zero 0
		.amdhsa_exception_fp_ieee_overflow 0
		.amdhsa_exception_fp_ieee_underflow 0
		.amdhsa_exception_fp_ieee_inexact 0
		.amdhsa_exception_int_div_zero 0
	.end_amdhsa_kernel
	.section	.text._ZN7rocprim17ROCPRIM_400000_NS6detail17trampoline_kernelINS0_14default_configENS1_35adjacent_difference_config_selectorILb0EsEEZNS1_24adjacent_difference_implIS3_Lb0ELb0EPsS7_N6thrust23THRUST_200600_302600_NS5minusIsEEEE10hipError_tPvRmT2_T3_mT4_P12ihipStream_tbEUlT_E_NS1_11comp_targetILNS1_3genE5ELNS1_11target_archE942ELNS1_3gpuE9ELNS1_3repE0EEENS1_30default_config_static_selectorELNS0_4arch9wavefront6targetE1EEEvT1_,"axG",@progbits,_ZN7rocprim17ROCPRIM_400000_NS6detail17trampoline_kernelINS0_14default_configENS1_35adjacent_difference_config_selectorILb0EsEEZNS1_24adjacent_difference_implIS3_Lb0ELb0EPsS7_N6thrust23THRUST_200600_302600_NS5minusIsEEEE10hipError_tPvRmT2_T3_mT4_P12ihipStream_tbEUlT_E_NS1_11comp_targetILNS1_3genE5ELNS1_11target_archE942ELNS1_3gpuE9ELNS1_3repE0EEENS1_30default_config_static_selectorELNS0_4arch9wavefront6targetE1EEEvT1_,comdat
.Lfunc_end54:
	.size	_ZN7rocprim17ROCPRIM_400000_NS6detail17trampoline_kernelINS0_14default_configENS1_35adjacent_difference_config_selectorILb0EsEEZNS1_24adjacent_difference_implIS3_Lb0ELb0EPsS7_N6thrust23THRUST_200600_302600_NS5minusIsEEEE10hipError_tPvRmT2_T3_mT4_P12ihipStream_tbEUlT_E_NS1_11comp_targetILNS1_3genE5ELNS1_11target_archE942ELNS1_3gpuE9ELNS1_3repE0EEENS1_30default_config_static_selectorELNS0_4arch9wavefront6targetE1EEEvT1_, .Lfunc_end54-_ZN7rocprim17ROCPRIM_400000_NS6detail17trampoline_kernelINS0_14default_configENS1_35adjacent_difference_config_selectorILb0EsEEZNS1_24adjacent_difference_implIS3_Lb0ELb0EPsS7_N6thrust23THRUST_200600_302600_NS5minusIsEEEE10hipError_tPvRmT2_T3_mT4_P12ihipStream_tbEUlT_E_NS1_11comp_targetILNS1_3genE5ELNS1_11target_archE942ELNS1_3gpuE9ELNS1_3repE0EEENS1_30default_config_static_selectorELNS0_4arch9wavefront6targetE1EEEvT1_
                                        ; -- End function
	.section	.AMDGPU.csdata,"",@progbits
; Kernel info:
; codeLenInByte = 4636
; NumSgprs: 29
; NumVgprs: 34
; NumAgprs: 0
; TotalNumVgprs: 34
; ScratchSize: 0
; MemoryBound: 0
; FloatMode: 240
; IeeeMode: 1
; LDSByteSize: 8704 bytes/workgroup (compile time only)
; SGPRBlocks: 3
; VGPRBlocks: 4
; NumSGPRsForWavesPerEU: 29
; NumVGPRsForWavesPerEU: 34
; AccumOffset: 36
; Occupancy: 7
; WaveLimiterHint : 1
; COMPUTE_PGM_RSRC2:SCRATCH_EN: 0
; COMPUTE_PGM_RSRC2:USER_SGPR: 2
; COMPUTE_PGM_RSRC2:TRAP_HANDLER: 0
; COMPUTE_PGM_RSRC2:TGID_X_EN: 1
; COMPUTE_PGM_RSRC2:TGID_Y_EN: 0
; COMPUTE_PGM_RSRC2:TGID_Z_EN: 0
; COMPUTE_PGM_RSRC2:TIDIG_COMP_CNT: 0
; COMPUTE_PGM_RSRC3_GFX90A:ACCUM_OFFSET: 8
; COMPUTE_PGM_RSRC3_GFX90A:TG_SPLIT: 0
	.section	.text._ZN7rocprim17ROCPRIM_400000_NS6detail17trampoline_kernelINS0_14default_configENS1_35adjacent_difference_config_selectorILb0EsEEZNS1_24adjacent_difference_implIS3_Lb0ELb0EPsS7_N6thrust23THRUST_200600_302600_NS5minusIsEEEE10hipError_tPvRmT2_T3_mT4_P12ihipStream_tbEUlT_E_NS1_11comp_targetILNS1_3genE4ELNS1_11target_archE910ELNS1_3gpuE8ELNS1_3repE0EEENS1_30default_config_static_selectorELNS0_4arch9wavefront6targetE1EEEvT1_,"axG",@progbits,_ZN7rocprim17ROCPRIM_400000_NS6detail17trampoline_kernelINS0_14default_configENS1_35adjacent_difference_config_selectorILb0EsEEZNS1_24adjacent_difference_implIS3_Lb0ELb0EPsS7_N6thrust23THRUST_200600_302600_NS5minusIsEEEE10hipError_tPvRmT2_T3_mT4_P12ihipStream_tbEUlT_E_NS1_11comp_targetILNS1_3genE4ELNS1_11target_archE910ELNS1_3gpuE8ELNS1_3repE0EEENS1_30default_config_static_selectorELNS0_4arch9wavefront6targetE1EEEvT1_,comdat
	.protected	_ZN7rocprim17ROCPRIM_400000_NS6detail17trampoline_kernelINS0_14default_configENS1_35adjacent_difference_config_selectorILb0EsEEZNS1_24adjacent_difference_implIS3_Lb0ELb0EPsS7_N6thrust23THRUST_200600_302600_NS5minusIsEEEE10hipError_tPvRmT2_T3_mT4_P12ihipStream_tbEUlT_E_NS1_11comp_targetILNS1_3genE4ELNS1_11target_archE910ELNS1_3gpuE8ELNS1_3repE0EEENS1_30default_config_static_selectorELNS0_4arch9wavefront6targetE1EEEvT1_ ; -- Begin function _ZN7rocprim17ROCPRIM_400000_NS6detail17trampoline_kernelINS0_14default_configENS1_35adjacent_difference_config_selectorILb0EsEEZNS1_24adjacent_difference_implIS3_Lb0ELb0EPsS7_N6thrust23THRUST_200600_302600_NS5minusIsEEEE10hipError_tPvRmT2_T3_mT4_P12ihipStream_tbEUlT_E_NS1_11comp_targetILNS1_3genE4ELNS1_11target_archE910ELNS1_3gpuE8ELNS1_3repE0EEENS1_30default_config_static_selectorELNS0_4arch9wavefront6targetE1EEEvT1_
	.globl	_ZN7rocprim17ROCPRIM_400000_NS6detail17trampoline_kernelINS0_14default_configENS1_35adjacent_difference_config_selectorILb0EsEEZNS1_24adjacent_difference_implIS3_Lb0ELb0EPsS7_N6thrust23THRUST_200600_302600_NS5minusIsEEEE10hipError_tPvRmT2_T3_mT4_P12ihipStream_tbEUlT_E_NS1_11comp_targetILNS1_3genE4ELNS1_11target_archE910ELNS1_3gpuE8ELNS1_3repE0EEENS1_30default_config_static_selectorELNS0_4arch9wavefront6targetE1EEEvT1_
	.p2align	8
	.type	_ZN7rocprim17ROCPRIM_400000_NS6detail17trampoline_kernelINS0_14default_configENS1_35adjacent_difference_config_selectorILb0EsEEZNS1_24adjacent_difference_implIS3_Lb0ELb0EPsS7_N6thrust23THRUST_200600_302600_NS5minusIsEEEE10hipError_tPvRmT2_T3_mT4_P12ihipStream_tbEUlT_E_NS1_11comp_targetILNS1_3genE4ELNS1_11target_archE910ELNS1_3gpuE8ELNS1_3repE0EEENS1_30default_config_static_selectorELNS0_4arch9wavefront6targetE1EEEvT1_,@function
_ZN7rocprim17ROCPRIM_400000_NS6detail17trampoline_kernelINS0_14default_configENS1_35adjacent_difference_config_selectorILb0EsEEZNS1_24adjacent_difference_implIS3_Lb0ELb0EPsS7_N6thrust23THRUST_200600_302600_NS5minusIsEEEE10hipError_tPvRmT2_T3_mT4_P12ihipStream_tbEUlT_E_NS1_11comp_targetILNS1_3genE4ELNS1_11target_archE910ELNS1_3gpuE8ELNS1_3repE0EEENS1_30default_config_static_selectorELNS0_4arch9wavefront6targetE1EEEvT1_: ; @_ZN7rocprim17ROCPRIM_400000_NS6detail17trampoline_kernelINS0_14default_configENS1_35adjacent_difference_config_selectorILb0EsEEZNS1_24adjacent_difference_implIS3_Lb0ELb0EPsS7_N6thrust23THRUST_200600_302600_NS5minusIsEEEE10hipError_tPvRmT2_T3_mT4_P12ihipStream_tbEUlT_E_NS1_11comp_targetILNS1_3genE4ELNS1_11target_archE910ELNS1_3gpuE8ELNS1_3repE0EEENS1_30default_config_static_selectorELNS0_4arch9wavefront6targetE1EEEvT1_
; %bb.0:
	.section	.rodata,"a",@progbits
	.p2align	6, 0x0
	.amdhsa_kernel _ZN7rocprim17ROCPRIM_400000_NS6detail17trampoline_kernelINS0_14default_configENS1_35adjacent_difference_config_selectorILb0EsEEZNS1_24adjacent_difference_implIS3_Lb0ELb0EPsS7_N6thrust23THRUST_200600_302600_NS5minusIsEEEE10hipError_tPvRmT2_T3_mT4_P12ihipStream_tbEUlT_E_NS1_11comp_targetILNS1_3genE4ELNS1_11target_archE910ELNS1_3gpuE8ELNS1_3repE0EEENS1_30default_config_static_selectorELNS0_4arch9wavefront6targetE1EEEvT1_
		.amdhsa_group_segment_fixed_size 0
		.amdhsa_private_segment_fixed_size 0
		.amdhsa_kernarg_size 56
		.amdhsa_user_sgpr_count 2
		.amdhsa_user_sgpr_dispatch_ptr 0
		.amdhsa_user_sgpr_queue_ptr 0
		.amdhsa_user_sgpr_kernarg_segment_ptr 1
		.amdhsa_user_sgpr_dispatch_id 0
		.amdhsa_user_sgpr_kernarg_preload_length 0
		.amdhsa_user_sgpr_kernarg_preload_offset 0
		.amdhsa_user_sgpr_private_segment_size 0
		.amdhsa_uses_dynamic_stack 0
		.amdhsa_enable_private_segment 0
		.amdhsa_system_sgpr_workgroup_id_x 1
		.amdhsa_system_sgpr_workgroup_id_y 0
		.amdhsa_system_sgpr_workgroup_id_z 0
		.amdhsa_system_sgpr_workgroup_info 0
		.amdhsa_system_vgpr_workitem_id 0
		.amdhsa_next_free_vgpr 1
		.amdhsa_next_free_sgpr 0
		.amdhsa_accum_offset 4
		.amdhsa_reserve_vcc 0
		.amdhsa_float_round_mode_32 0
		.amdhsa_float_round_mode_16_64 0
		.amdhsa_float_denorm_mode_32 3
		.amdhsa_float_denorm_mode_16_64 3
		.amdhsa_dx10_clamp 1
		.amdhsa_ieee_mode 1
		.amdhsa_fp16_overflow 0
		.amdhsa_tg_split 0
		.amdhsa_exception_fp_ieee_invalid_op 0
		.amdhsa_exception_fp_denorm_src 0
		.amdhsa_exception_fp_ieee_div_zero 0
		.amdhsa_exception_fp_ieee_overflow 0
		.amdhsa_exception_fp_ieee_underflow 0
		.amdhsa_exception_fp_ieee_inexact 0
		.amdhsa_exception_int_div_zero 0
	.end_amdhsa_kernel
	.section	.text._ZN7rocprim17ROCPRIM_400000_NS6detail17trampoline_kernelINS0_14default_configENS1_35adjacent_difference_config_selectorILb0EsEEZNS1_24adjacent_difference_implIS3_Lb0ELb0EPsS7_N6thrust23THRUST_200600_302600_NS5minusIsEEEE10hipError_tPvRmT2_T3_mT4_P12ihipStream_tbEUlT_E_NS1_11comp_targetILNS1_3genE4ELNS1_11target_archE910ELNS1_3gpuE8ELNS1_3repE0EEENS1_30default_config_static_selectorELNS0_4arch9wavefront6targetE1EEEvT1_,"axG",@progbits,_ZN7rocprim17ROCPRIM_400000_NS6detail17trampoline_kernelINS0_14default_configENS1_35adjacent_difference_config_selectorILb0EsEEZNS1_24adjacent_difference_implIS3_Lb0ELb0EPsS7_N6thrust23THRUST_200600_302600_NS5minusIsEEEE10hipError_tPvRmT2_T3_mT4_P12ihipStream_tbEUlT_E_NS1_11comp_targetILNS1_3genE4ELNS1_11target_archE910ELNS1_3gpuE8ELNS1_3repE0EEENS1_30default_config_static_selectorELNS0_4arch9wavefront6targetE1EEEvT1_,comdat
.Lfunc_end55:
	.size	_ZN7rocprim17ROCPRIM_400000_NS6detail17trampoline_kernelINS0_14default_configENS1_35adjacent_difference_config_selectorILb0EsEEZNS1_24adjacent_difference_implIS3_Lb0ELb0EPsS7_N6thrust23THRUST_200600_302600_NS5minusIsEEEE10hipError_tPvRmT2_T3_mT4_P12ihipStream_tbEUlT_E_NS1_11comp_targetILNS1_3genE4ELNS1_11target_archE910ELNS1_3gpuE8ELNS1_3repE0EEENS1_30default_config_static_selectorELNS0_4arch9wavefront6targetE1EEEvT1_, .Lfunc_end55-_ZN7rocprim17ROCPRIM_400000_NS6detail17trampoline_kernelINS0_14default_configENS1_35adjacent_difference_config_selectorILb0EsEEZNS1_24adjacent_difference_implIS3_Lb0ELb0EPsS7_N6thrust23THRUST_200600_302600_NS5minusIsEEEE10hipError_tPvRmT2_T3_mT4_P12ihipStream_tbEUlT_E_NS1_11comp_targetILNS1_3genE4ELNS1_11target_archE910ELNS1_3gpuE8ELNS1_3repE0EEENS1_30default_config_static_selectorELNS0_4arch9wavefront6targetE1EEEvT1_
                                        ; -- End function
	.section	.AMDGPU.csdata,"",@progbits
; Kernel info:
; codeLenInByte = 0
; NumSgprs: 6
; NumVgprs: 0
; NumAgprs: 0
; TotalNumVgprs: 0
; ScratchSize: 0
; MemoryBound: 0
; FloatMode: 240
; IeeeMode: 1
; LDSByteSize: 0 bytes/workgroup (compile time only)
; SGPRBlocks: 0
; VGPRBlocks: 0
; NumSGPRsForWavesPerEU: 6
; NumVGPRsForWavesPerEU: 1
; AccumOffset: 4
; Occupancy: 8
; WaveLimiterHint : 0
; COMPUTE_PGM_RSRC2:SCRATCH_EN: 0
; COMPUTE_PGM_RSRC2:USER_SGPR: 2
; COMPUTE_PGM_RSRC2:TRAP_HANDLER: 0
; COMPUTE_PGM_RSRC2:TGID_X_EN: 1
; COMPUTE_PGM_RSRC2:TGID_Y_EN: 0
; COMPUTE_PGM_RSRC2:TGID_Z_EN: 0
; COMPUTE_PGM_RSRC2:TIDIG_COMP_CNT: 0
; COMPUTE_PGM_RSRC3_GFX90A:ACCUM_OFFSET: 0
; COMPUTE_PGM_RSRC3_GFX90A:TG_SPLIT: 0
	.section	.text._ZN7rocprim17ROCPRIM_400000_NS6detail17trampoline_kernelINS0_14default_configENS1_35adjacent_difference_config_selectorILb0EsEEZNS1_24adjacent_difference_implIS3_Lb0ELb0EPsS7_N6thrust23THRUST_200600_302600_NS5minusIsEEEE10hipError_tPvRmT2_T3_mT4_P12ihipStream_tbEUlT_E_NS1_11comp_targetILNS1_3genE3ELNS1_11target_archE908ELNS1_3gpuE7ELNS1_3repE0EEENS1_30default_config_static_selectorELNS0_4arch9wavefront6targetE1EEEvT1_,"axG",@progbits,_ZN7rocprim17ROCPRIM_400000_NS6detail17trampoline_kernelINS0_14default_configENS1_35adjacent_difference_config_selectorILb0EsEEZNS1_24adjacent_difference_implIS3_Lb0ELb0EPsS7_N6thrust23THRUST_200600_302600_NS5minusIsEEEE10hipError_tPvRmT2_T3_mT4_P12ihipStream_tbEUlT_E_NS1_11comp_targetILNS1_3genE3ELNS1_11target_archE908ELNS1_3gpuE7ELNS1_3repE0EEENS1_30default_config_static_selectorELNS0_4arch9wavefront6targetE1EEEvT1_,comdat
	.protected	_ZN7rocprim17ROCPRIM_400000_NS6detail17trampoline_kernelINS0_14default_configENS1_35adjacent_difference_config_selectorILb0EsEEZNS1_24adjacent_difference_implIS3_Lb0ELb0EPsS7_N6thrust23THRUST_200600_302600_NS5minusIsEEEE10hipError_tPvRmT2_T3_mT4_P12ihipStream_tbEUlT_E_NS1_11comp_targetILNS1_3genE3ELNS1_11target_archE908ELNS1_3gpuE7ELNS1_3repE0EEENS1_30default_config_static_selectorELNS0_4arch9wavefront6targetE1EEEvT1_ ; -- Begin function _ZN7rocprim17ROCPRIM_400000_NS6detail17trampoline_kernelINS0_14default_configENS1_35adjacent_difference_config_selectorILb0EsEEZNS1_24adjacent_difference_implIS3_Lb0ELb0EPsS7_N6thrust23THRUST_200600_302600_NS5minusIsEEEE10hipError_tPvRmT2_T3_mT4_P12ihipStream_tbEUlT_E_NS1_11comp_targetILNS1_3genE3ELNS1_11target_archE908ELNS1_3gpuE7ELNS1_3repE0EEENS1_30default_config_static_selectorELNS0_4arch9wavefront6targetE1EEEvT1_
	.globl	_ZN7rocprim17ROCPRIM_400000_NS6detail17trampoline_kernelINS0_14default_configENS1_35adjacent_difference_config_selectorILb0EsEEZNS1_24adjacent_difference_implIS3_Lb0ELb0EPsS7_N6thrust23THRUST_200600_302600_NS5minusIsEEEE10hipError_tPvRmT2_T3_mT4_P12ihipStream_tbEUlT_E_NS1_11comp_targetILNS1_3genE3ELNS1_11target_archE908ELNS1_3gpuE7ELNS1_3repE0EEENS1_30default_config_static_selectorELNS0_4arch9wavefront6targetE1EEEvT1_
	.p2align	8
	.type	_ZN7rocprim17ROCPRIM_400000_NS6detail17trampoline_kernelINS0_14default_configENS1_35adjacent_difference_config_selectorILb0EsEEZNS1_24adjacent_difference_implIS3_Lb0ELb0EPsS7_N6thrust23THRUST_200600_302600_NS5minusIsEEEE10hipError_tPvRmT2_T3_mT4_P12ihipStream_tbEUlT_E_NS1_11comp_targetILNS1_3genE3ELNS1_11target_archE908ELNS1_3gpuE7ELNS1_3repE0EEENS1_30default_config_static_selectorELNS0_4arch9wavefront6targetE1EEEvT1_,@function
_ZN7rocprim17ROCPRIM_400000_NS6detail17trampoline_kernelINS0_14default_configENS1_35adjacent_difference_config_selectorILb0EsEEZNS1_24adjacent_difference_implIS3_Lb0ELb0EPsS7_N6thrust23THRUST_200600_302600_NS5minusIsEEEE10hipError_tPvRmT2_T3_mT4_P12ihipStream_tbEUlT_E_NS1_11comp_targetILNS1_3genE3ELNS1_11target_archE908ELNS1_3gpuE7ELNS1_3repE0EEENS1_30default_config_static_selectorELNS0_4arch9wavefront6targetE1EEEvT1_: ; @_ZN7rocprim17ROCPRIM_400000_NS6detail17trampoline_kernelINS0_14default_configENS1_35adjacent_difference_config_selectorILb0EsEEZNS1_24adjacent_difference_implIS3_Lb0ELb0EPsS7_N6thrust23THRUST_200600_302600_NS5minusIsEEEE10hipError_tPvRmT2_T3_mT4_P12ihipStream_tbEUlT_E_NS1_11comp_targetILNS1_3genE3ELNS1_11target_archE908ELNS1_3gpuE7ELNS1_3repE0EEENS1_30default_config_static_selectorELNS0_4arch9wavefront6targetE1EEEvT1_
; %bb.0:
	.section	.rodata,"a",@progbits
	.p2align	6, 0x0
	.amdhsa_kernel _ZN7rocprim17ROCPRIM_400000_NS6detail17trampoline_kernelINS0_14default_configENS1_35adjacent_difference_config_selectorILb0EsEEZNS1_24adjacent_difference_implIS3_Lb0ELb0EPsS7_N6thrust23THRUST_200600_302600_NS5minusIsEEEE10hipError_tPvRmT2_T3_mT4_P12ihipStream_tbEUlT_E_NS1_11comp_targetILNS1_3genE3ELNS1_11target_archE908ELNS1_3gpuE7ELNS1_3repE0EEENS1_30default_config_static_selectorELNS0_4arch9wavefront6targetE1EEEvT1_
		.amdhsa_group_segment_fixed_size 0
		.amdhsa_private_segment_fixed_size 0
		.amdhsa_kernarg_size 56
		.amdhsa_user_sgpr_count 2
		.amdhsa_user_sgpr_dispatch_ptr 0
		.amdhsa_user_sgpr_queue_ptr 0
		.amdhsa_user_sgpr_kernarg_segment_ptr 1
		.amdhsa_user_sgpr_dispatch_id 0
		.amdhsa_user_sgpr_kernarg_preload_length 0
		.amdhsa_user_sgpr_kernarg_preload_offset 0
		.amdhsa_user_sgpr_private_segment_size 0
		.amdhsa_uses_dynamic_stack 0
		.amdhsa_enable_private_segment 0
		.amdhsa_system_sgpr_workgroup_id_x 1
		.amdhsa_system_sgpr_workgroup_id_y 0
		.amdhsa_system_sgpr_workgroup_id_z 0
		.amdhsa_system_sgpr_workgroup_info 0
		.amdhsa_system_vgpr_workitem_id 0
		.amdhsa_next_free_vgpr 1
		.amdhsa_next_free_sgpr 0
		.amdhsa_accum_offset 4
		.amdhsa_reserve_vcc 0
		.amdhsa_float_round_mode_32 0
		.amdhsa_float_round_mode_16_64 0
		.amdhsa_float_denorm_mode_32 3
		.amdhsa_float_denorm_mode_16_64 3
		.amdhsa_dx10_clamp 1
		.amdhsa_ieee_mode 1
		.amdhsa_fp16_overflow 0
		.amdhsa_tg_split 0
		.amdhsa_exception_fp_ieee_invalid_op 0
		.amdhsa_exception_fp_denorm_src 0
		.amdhsa_exception_fp_ieee_div_zero 0
		.amdhsa_exception_fp_ieee_overflow 0
		.amdhsa_exception_fp_ieee_underflow 0
		.amdhsa_exception_fp_ieee_inexact 0
		.amdhsa_exception_int_div_zero 0
	.end_amdhsa_kernel
	.section	.text._ZN7rocprim17ROCPRIM_400000_NS6detail17trampoline_kernelINS0_14default_configENS1_35adjacent_difference_config_selectorILb0EsEEZNS1_24adjacent_difference_implIS3_Lb0ELb0EPsS7_N6thrust23THRUST_200600_302600_NS5minusIsEEEE10hipError_tPvRmT2_T3_mT4_P12ihipStream_tbEUlT_E_NS1_11comp_targetILNS1_3genE3ELNS1_11target_archE908ELNS1_3gpuE7ELNS1_3repE0EEENS1_30default_config_static_selectorELNS0_4arch9wavefront6targetE1EEEvT1_,"axG",@progbits,_ZN7rocprim17ROCPRIM_400000_NS6detail17trampoline_kernelINS0_14default_configENS1_35adjacent_difference_config_selectorILb0EsEEZNS1_24adjacent_difference_implIS3_Lb0ELb0EPsS7_N6thrust23THRUST_200600_302600_NS5minusIsEEEE10hipError_tPvRmT2_T3_mT4_P12ihipStream_tbEUlT_E_NS1_11comp_targetILNS1_3genE3ELNS1_11target_archE908ELNS1_3gpuE7ELNS1_3repE0EEENS1_30default_config_static_selectorELNS0_4arch9wavefront6targetE1EEEvT1_,comdat
.Lfunc_end56:
	.size	_ZN7rocprim17ROCPRIM_400000_NS6detail17trampoline_kernelINS0_14default_configENS1_35adjacent_difference_config_selectorILb0EsEEZNS1_24adjacent_difference_implIS3_Lb0ELb0EPsS7_N6thrust23THRUST_200600_302600_NS5minusIsEEEE10hipError_tPvRmT2_T3_mT4_P12ihipStream_tbEUlT_E_NS1_11comp_targetILNS1_3genE3ELNS1_11target_archE908ELNS1_3gpuE7ELNS1_3repE0EEENS1_30default_config_static_selectorELNS0_4arch9wavefront6targetE1EEEvT1_, .Lfunc_end56-_ZN7rocprim17ROCPRIM_400000_NS6detail17trampoline_kernelINS0_14default_configENS1_35adjacent_difference_config_selectorILb0EsEEZNS1_24adjacent_difference_implIS3_Lb0ELb0EPsS7_N6thrust23THRUST_200600_302600_NS5minusIsEEEE10hipError_tPvRmT2_T3_mT4_P12ihipStream_tbEUlT_E_NS1_11comp_targetILNS1_3genE3ELNS1_11target_archE908ELNS1_3gpuE7ELNS1_3repE0EEENS1_30default_config_static_selectorELNS0_4arch9wavefront6targetE1EEEvT1_
                                        ; -- End function
	.section	.AMDGPU.csdata,"",@progbits
; Kernel info:
; codeLenInByte = 0
; NumSgprs: 6
; NumVgprs: 0
; NumAgprs: 0
; TotalNumVgprs: 0
; ScratchSize: 0
; MemoryBound: 0
; FloatMode: 240
; IeeeMode: 1
; LDSByteSize: 0 bytes/workgroup (compile time only)
; SGPRBlocks: 0
; VGPRBlocks: 0
; NumSGPRsForWavesPerEU: 6
; NumVGPRsForWavesPerEU: 1
; AccumOffset: 4
; Occupancy: 8
; WaveLimiterHint : 0
; COMPUTE_PGM_RSRC2:SCRATCH_EN: 0
; COMPUTE_PGM_RSRC2:USER_SGPR: 2
; COMPUTE_PGM_RSRC2:TRAP_HANDLER: 0
; COMPUTE_PGM_RSRC2:TGID_X_EN: 1
; COMPUTE_PGM_RSRC2:TGID_Y_EN: 0
; COMPUTE_PGM_RSRC2:TGID_Z_EN: 0
; COMPUTE_PGM_RSRC2:TIDIG_COMP_CNT: 0
; COMPUTE_PGM_RSRC3_GFX90A:ACCUM_OFFSET: 0
; COMPUTE_PGM_RSRC3_GFX90A:TG_SPLIT: 0
	.section	.text._ZN7rocprim17ROCPRIM_400000_NS6detail17trampoline_kernelINS0_14default_configENS1_35adjacent_difference_config_selectorILb0EsEEZNS1_24adjacent_difference_implIS3_Lb0ELb0EPsS7_N6thrust23THRUST_200600_302600_NS5minusIsEEEE10hipError_tPvRmT2_T3_mT4_P12ihipStream_tbEUlT_E_NS1_11comp_targetILNS1_3genE2ELNS1_11target_archE906ELNS1_3gpuE6ELNS1_3repE0EEENS1_30default_config_static_selectorELNS0_4arch9wavefront6targetE1EEEvT1_,"axG",@progbits,_ZN7rocprim17ROCPRIM_400000_NS6detail17trampoline_kernelINS0_14default_configENS1_35adjacent_difference_config_selectorILb0EsEEZNS1_24adjacent_difference_implIS3_Lb0ELb0EPsS7_N6thrust23THRUST_200600_302600_NS5minusIsEEEE10hipError_tPvRmT2_T3_mT4_P12ihipStream_tbEUlT_E_NS1_11comp_targetILNS1_3genE2ELNS1_11target_archE906ELNS1_3gpuE6ELNS1_3repE0EEENS1_30default_config_static_selectorELNS0_4arch9wavefront6targetE1EEEvT1_,comdat
	.protected	_ZN7rocprim17ROCPRIM_400000_NS6detail17trampoline_kernelINS0_14default_configENS1_35adjacent_difference_config_selectorILb0EsEEZNS1_24adjacent_difference_implIS3_Lb0ELb0EPsS7_N6thrust23THRUST_200600_302600_NS5minusIsEEEE10hipError_tPvRmT2_T3_mT4_P12ihipStream_tbEUlT_E_NS1_11comp_targetILNS1_3genE2ELNS1_11target_archE906ELNS1_3gpuE6ELNS1_3repE0EEENS1_30default_config_static_selectorELNS0_4arch9wavefront6targetE1EEEvT1_ ; -- Begin function _ZN7rocprim17ROCPRIM_400000_NS6detail17trampoline_kernelINS0_14default_configENS1_35adjacent_difference_config_selectorILb0EsEEZNS1_24adjacent_difference_implIS3_Lb0ELb0EPsS7_N6thrust23THRUST_200600_302600_NS5minusIsEEEE10hipError_tPvRmT2_T3_mT4_P12ihipStream_tbEUlT_E_NS1_11comp_targetILNS1_3genE2ELNS1_11target_archE906ELNS1_3gpuE6ELNS1_3repE0EEENS1_30default_config_static_selectorELNS0_4arch9wavefront6targetE1EEEvT1_
	.globl	_ZN7rocprim17ROCPRIM_400000_NS6detail17trampoline_kernelINS0_14default_configENS1_35adjacent_difference_config_selectorILb0EsEEZNS1_24adjacent_difference_implIS3_Lb0ELb0EPsS7_N6thrust23THRUST_200600_302600_NS5minusIsEEEE10hipError_tPvRmT2_T3_mT4_P12ihipStream_tbEUlT_E_NS1_11comp_targetILNS1_3genE2ELNS1_11target_archE906ELNS1_3gpuE6ELNS1_3repE0EEENS1_30default_config_static_selectorELNS0_4arch9wavefront6targetE1EEEvT1_
	.p2align	8
	.type	_ZN7rocprim17ROCPRIM_400000_NS6detail17trampoline_kernelINS0_14default_configENS1_35adjacent_difference_config_selectorILb0EsEEZNS1_24adjacent_difference_implIS3_Lb0ELb0EPsS7_N6thrust23THRUST_200600_302600_NS5minusIsEEEE10hipError_tPvRmT2_T3_mT4_P12ihipStream_tbEUlT_E_NS1_11comp_targetILNS1_3genE2ELNS1_11target_archE906ELNS1_3gpuE6ELNS1_3repE0EEENS1_30default_config_static_selectorELNS0_4arch9wavefront6targetE1EEEvT1_,@function
_ZN7rocprim17ROCPRIM_400000_NS6detail17trampoline_kernelINS0_14default_configENS1_35adjacent_difference_config_selectorILb0EsEEZNS1_24adjacent_difference_implIS3_Lb0ELb0EPsS7_N6thrust23THRUST_200600_302600_NS5minusIsEEEE10hipError_tPvRmT2_T3_mT4_P12ihipStream_tbEUlT_E_NS1_11comp_targetILNS1_3genE2ELNS1_11target_archE906ELNS1_3gpuE6ELNS1_3repE0EEENS1_30default_config_static_selectorELNS0_4arch9wavefront6targetE1EEEvT1_: ; @_ZN7rocprim17ROCPRIM_400000_NS6detail17trampoline_kernelINS0_14default_configENS1_35adjacent_difference_config_selectorILb0EsEEZNS1_24adjacent_difference_implIS3_Lb0ELb0EPsS7_N6thrust23THRUST_200600_302600_NS5minusIsEEEE10hipError_tPvRmT2_T3_mT4_P12ihipStream_tbEUlT_E_NS1_11comp_targetILNS1_3genE2ELNS1_11target_archE906ELNS1_3gpuE6ELNS1_3repE0EEENS1_30default_config_static_selectorELNS0_4arch9wavefront6targetE1EEEvT1_
; %bb.0:
	.section	.rodata,"a",@progbits
	.p2align	6, 0x0
	.amdhsa_kernel _ZN7rocprim17ROCPRIM_400000_NS6detail17trampoline_kernelINS0_14default_configENS1_35adjacent_difference_config_selectorILb0EsEEZNS1_24adjacent_difference_implIS3_Lb0ELb0EPsS7_N6thrust23THRUST_200600_302600_NS5minusIsEEEE10hipError_tPvRmT2_T3_mT4_P12ihipStream_tbEUlT_E_NS1_11comp_targetILNS1_3genE2ELNS1_11target_archE906ELNS1_3gpuE6ELNS1_3repE0EEENS1_30default_config_static_selectorELNS0_4arch9wavefront6targetE1EEEvT1_
		.amdhsa_group_segment_fixed_size 0
		.amdhsa_private_segment_fixed_size 0
		.amdhsa_kernarg_size 56
		.amdhsa_user_sgpr_count 2
		.amdhsa_user_sgpr_dispatch_ptr 0
		.amdhsa_user_sgpr_queue_ptr 0
		.amdhsa_user_sgpr_kernarg_segment_ptr 1
		.amdhsa_user_sgpr_dispatch_id 0
		.amdhsa_user_sgpr_kernarg_preload_length 0
		.amdhsa_user_sgpr_kernarg_preload_offset 0
		.amdhsa_user_sgpr_private_segment_size 0
		.amdhsa_uses_dynamic_stack 0
		.amdhsa_enable_private_segment 0
		.amdhsa_system_sgpr_workgroup_id_x 1
		.amdhsa_system_sgpr_workgroup_id_y 0
		.amdhsa_system_sgpr_workgroup_id_z 0
		.amdhsa_system_sgpr_workgroup_info 0
		.amdhsa_system_vgpr_workitem_id 0
		.amdhsa_next_free_vgpr 1
		.amdhsa_next_free_sgpr 0
		.amdhsa_accum_offset 4
		.amdhsa_reserve_vcc 0
		.amdhsa_float_round_mode_32 0
		.amdhsa_float_round_mode_16_64 0
		.amdhsa_float_denorm_mode_32 3
		.amdhsa_float_denorm_mode_16_64 3
		.amdhsa_dx10_clamp 1
		.amdhsa_ieee_mode 1
		.amdhsa_fp16_overflow 0
		.amdhsa_tg_split 0
		.amdhsa_exception_fp_ieee_invalid_op 0
		.amdhsa_exception_fp_denorm_src 0
		.amdhsa_exception_fp_ieee_div_zero 0
		.amdhsa_exception_fp_ieee_overflow 0
		.amdhsa_exception_fp_ieee_underflow 0
		.amdhsa_exception_fp_ieee_inexact 0
		.amdhsa_exception_int_div_zero 0
	.end_amdhsa_kernel
	.section	.text._ZN7rocprim17ROCPRIM_400000_NS6detail17trampoline_kernelINS0_14default_configENS1_35adjacent_difference_config_selectorILb0EsEEZNS1_24adjacent_difference_implIS3_Lb0ELb0EPsS7_N6thrust23THRUST_200600_302600_NS5minusIsEEEE10hipError_tPvRmT2_T3_mT4_P12ihipStream_tbEUlT_E_NS1_11comp_targetILNS1_3genE2ELNS1_11target_archE906ELNS1_3gpuE6ELNS1_3repE0EEENS1_30default_config_static_selectorELNS0_4arch9wavefront6targetE1EEEvT1_,"axG",@progbits,_ZN7rocprim17ROCPRIM_400000_NS6detail17trampoline_kernelINS0_14default_configENS1_35adjacent_difference_config_selectorILb0EsEEZNS1_24adjacent_difference_implIS3_Lb0ELb0EPsS7_N6thrust23THRUST_200600_302600_NS5minusIsEEEE10hipError_tPvRmT2_T3_mT4_P12ihipStream_tbEUlT_E_NS1_11comp_targetILNS1_3genE2ELNS1_11target_archE906ELNS1_3gpuE6ELNS1_3repE0EEENS1_30default_config_static_selectorELNS0_4arch9wavefront6targetE1EEEvT1_,comdat
.Lfunc_end57:
	.size	_ZN7rocprim17ROCPRIM_400000_NS6detail17trampoline_kernelINS0_14default_configENS1_35adjacent_difference_config_selectorILb0EsEEZNS1_24adjacent_difference_implIS3_Lb0ELb0EPsS7_N6thrust23THRUST_200600_302600_NS5minusIsEEEE10hipError_tPvRmT2_T3_mT4_P12ihipStream_tbEUlT_E_NS1_11comp_targetILNS1_3genE2ELNS1_11target_archE906ELNS1_3gpuE6ELNS1_3repE0EEENS1_30default_config_static_selectorELNS0_4arch9wavefront6targetE1EEEvT1_, .Lfunc_end57-_ZN7rocprim17ROCPRIM_400000_NS6detail17trampoline_kernelINS0_14default_configENS1_35adjacent_difference_config_selectorILb0EsEEZNS1_24adjacent_difference_implIS3_Lb0ELb0EPsS7_N6thrust23THRUST_200600_302600_NS5minusIsEEEE10hipError_tPvRmT2_T3_mT4_P12ihipStream_tbEUlT_E_NS1_11comp_targetILNS1_3genE2ELNS1_11target_archE906ELNS1_3gpuE6ELNS1_3repE0EEENS1_30default_config_static_selectorELNS0_4arch9wavefront6targetE1EEEvT1_
                                        ; -- End function
	.section	.AMDGPU.csdata,"",@progbits
; Kernel info:
; codeLenInByte = 0
; NumSgprs: 6
; NumVgprs: 0
; NumAgprs: 0
; TotalNumVgprs: 0
; ScratchSize: 0
; MemoryBound: 0
; FloatMode: 240
; IeeeMode: 1
; LDSByteSize: 0 bytes/workgroup (compile time only)
; SGPRBlocks: 0
; VGPRBlocks: 0
; NumSGPRsForWavesPerEU: 6
; NumVGPRsForWavesPerEU: 1
; AccumOffset: 4
; Occupancy: 8
; WaveLimiterHint : 0
; COMPUTE_PGM_RSRC2:SCRATCH_EN: 0
; COMPUTE_PGM_RSRC2:USER_SGPR: 2
; COMPUTE_PGM_RSRC2:TRAP_HANDLER: 0
; COMPUTE_PGM_RSRC2:TGID_X_EN: 1
; COMPUTE_PGM_RSRC2:TGID_Y_EN: 0
; COMPUTE_PGM_RSRC2:TGID_Z_EN: 0
; COMPUTE_PGM_RSRC2:TIDIG_COMP_CNT: 0
; COMPUTE_PGM_RSRC3_GFX90A:ACCUM_OFFSET: 0
; COMPUTE_PGM_RSRC3_GFX90A:TG_SPLIT: 0
	.section	.text._ZN7rocprim17ROCPRIM_400000_NS6detail17trampoline_kernelINS0_14default_configENS1_35adjacent_difference_config_selectorILb0EsEEZNS1_24adjacent_difference_implIS3_Lb0ELb0EPsS7_N6thrust23THRUST_200600_302600_NS5minusIsEEEE10hipError_tPvRmT2_T3_mT4_P12ihipStream_tbEUlT_E_NS1_11comp_targetILNS1_3genE9ELNS1_11target_archE1100ELNS1_3gpuE3ELNS1_3repE0EEENS1_30default_config_static_selectorELNS0_4arch9wavefront6targetE1EEEvT1_,"axG",@progbits,_ZN7rocprim17ROCPRIM_400000_NS6detail17trampoline_kernelINS0_14default_configENS1_35adjacent_difference_config_selectorILb0EsEEZNS1_24adjacent_difference_implIS3_Lb0ELb0EPsS7_N6thrust23THRUST_200600_302600_NS5minusIsEEEE10hipError_tPvRmT2_T3_mT4_P12ihipStream_tbEUlT_E_NS1_11comp_targetILNS1_3genE9ELNS1_11target_archE1100ELNS1_3gpuE3ELNS1_3repE0EEENS1_30default_config_static_selectorELNS0_4arch9wavefront6targetE1EEEvT1_,comdat
	.protected	_ZN7rocprim17ROCPRIM_400000_NS6detail17trampoline_kernelINS0_14default_configENS1_35adjacent_difference_config_selectorILb0EsEEZNS1_24adjacent_difference_implIS3_Lb0ELb0EPsS7_N6thrust23THRUST_200600_302600_NS5minusIsEEEE10hipError_tPvRmT2_T3_mT4_P12ihipStream_tbEUlT_E_NS1_11comp_targetILNS1_3genE9ELNS1_11target_archE1100ELNS1_3gpuE3ELNS1_3repE0EEENS1_30default_config_static_selectorELNS0_4arch9wavefront6targetE1EEEvT1_ ; -- Begin function _ZN7rocprim17ROCPRIM_400000_NS6detail17trampoline_kernelINS0_14default_configENS1_35adjacent_difference_config_selectorILb0EsEEZNS1_24adjacent_difference_implIS3_Lb0ELb0EPsS7_N6thrust23THRUST_200600_302600_NS5minusIsEEEE10hipError_tPvRmT2_T3_mT4_P12ihipStream_tbEUlT_E_NS1_11comp_targetILNS1_3genE9ELNS1_11target_archE1100ELNS1_3gpuE3ELNS1_3repE0EEENS1_30default_config_static_selectorELNS0_4arch9wavefront6targetE1EEEvT1_
	.globl	_ZN7rocprim17ROCPRIM_400000_NS6detail17trampoline_kernelINS0_14default_configENS1_35adjacent_difference_config_selectorILb0EsEEZNS1_24adjacent_difference_implIS3_Lb0ELb0EPsS7_N6thrust23THRUST_200600_302600_NS5minusIsEEEE10hipError_tPvRmT2_T3_mT4_P12ihipStream_tbEUlT_E_NS1_11comp_targetILNS1_3genE9ELNS1_11target_archE1100ELNS1_3gpuE3ELNS1_3repE0EEENS1_30default_config_static_selectorELNS0_4arch9wavefront6targetE1EEEvT1_
	.p2align	8
	.type	_ZN7rocprim17ROCPRIM_400000_NS6detail17trampoline_kernelINS0_14default_configENS1_35adjacent_difference_config_selectorILb0EsEEZNS1_24adjacent_difference_implIS3_Lb0ELb0EPsS7_N6thrust23THRUST_200600_302600_NS5minusIsEEEE10hipError_tPvRmT2_T3_mT4_P12ihipStream_tbEUlT_E_NS1_11comp_targetILNS1_3genE9ELNS1_11target_archE1100ELNS1_3gpuE3ELNS1_3repE0EEENS1_30default_config_static_selectorELNS0_4arch9wavefront6targetE1EEEvT1_,@function
_ZN7rocprim17ROCPRIM_400000_NS6detail17trampoline_kernelINS0_14default_configENS1_35adjacent_difference_config_selectorILb0EsEEZNS1_24adjacent_difference_implIS3_Lb0ELb0EPsS7_N6thrust23THRUST_200600_302600_NS5minusIsEEEE10hipError_tPvRmT2_T3_mT4_P12ihipStream_tbEUlT_E_NS1_11comp_targetILNS1_3genE9ELNS1_11target_archE1100ELNS1_3gpuE3ELNS1_3repE0EEENS1_30default_config_static_selectorELNS0_4arch9wavefront6targetE1EEEvT1_: ; @_ZN7rocprim17ROCPRIM_400000_NS6detail17trampoline_kernelINS0_14default_configENS1_35adjacent_difference_config_selectorILb0EsEEZNS1_24adjacent_difference_implIS3_Lb0ELb0EPsS7_N6thrust23THRUST_200600_302600_NS5minusIsEEEE10hipError_tPvRmT2_T3_mT4_P12ihipStream_tbEUlT_E_NS1_11comp_targetILNS1_3genE9ELNS1_11target_archE1100ELNS1_3gpuE3ELNS1_3repE0EEENS1_30default_config_static_selectorELNS0_4arch9wavefront6targetE1EEEvT1_
; %bb.0:
	.section	.rodata,"a",@progbits
	.p2align	6, 0x0
	.amdhsa_kernel _ZN7rocprim17ROCPRIM_400000_NS6detail17trampoline_kernelINS0_14default_configENS1_35adjacent_difference_config_selectorILb0EsEEZNS1_24adjacent_difference_implIS3_Lb0ELb0EPsS7_N6thrust23THRUST_200600_302600_NS5minusIsEEEE10hipError_tPvRmT2_T3_mT4_P12ihipStream_tbEUlT_E_NS1_11comp_targetILNS1_3genE9ELNS1_11target_archE1100ELNS1_3gpuE3ELNS1_3repE0EEENS1_30default_config_static_selectorELNS0_4arch9wavefront6targetE1EEEvT1_
		.amdhsa_group_segment_fixed_size 0
		.amdhsa_private_segment_fixed_size 0
		.amdhsa_kernarg_size 56
		.amdhsa_user_sgpr_count 2
		.amdhsa_user_sgpr_dispatch_ptr 0
		.amdhsa_user_sgpr_queue_ptr 0
		.amdhsa_user_sgpr_kernarg_segment_ptr 1
		.amdhsa_user_sgpr_dispatch_id 0
		.amdhsa_user_sgpr_kernarg_preload_length 0
		.amdhsa_user_sgpr_kernarg_preload_offset 0
		.amdhsa_user_sgpr_private_segment_size 0
		.amdhsa_uses_dynamic_stack 0
		.amdhsa_enable_private_segment 0
		.amdhsa_system_sgpr_workgroup_id_x 1
		.amdhsa_system_sgpr_workgroup_id_y 0
		.amdhsa_system_sgpr_workgroup_id_z 0
		.amdhsa_system_sgpr_workgroup_info 0
		.amdhsa_system_vgpr_workitem_id 0
		.amdhsa_next_free_vgpr 1
		.amdhsa_next_free_sgpr 0
		.amdhsa_accum_offset 4
		.amdhsa_reserve_vcc 0
		.amdhsa_float_round_mode_32 0
		.amdhsa_float_round_mode_16_64 0
		.amdhsa_float_denorm_mode_32 3
		.amdhsa_float_denorm_mode_16_64 3
		.amdhsa_dx10_clamp 1
		.amdhsa_ieee_mode 1
		.amdhsa_fp16_overflow 0
		.amdhsa_tg_split 0
		.amdhsa_exception_fp_ieee_invalid_op 0
		.amdhsa_exception_fp_denorm_src 0
		.amdhsa_exception_fp_ieee_div_zero 0
		.amdhsa_exception_fp_ieee_overflow 0
		.amdhsa_exception_fp_ieee_underflow 0
		.amdhsa_exception_fp_ieee_inexact 0
		.amdhsa_exception_int_div_zero 0
	.end_amdhsa_kernel
	.section	.text._ZN7rocprim17ROCPRIM_400000_NS6detail17trampoline_kernelINS0_14default_configENS1_35adjacent_difference_config_selectorILb0EsEEZNS1_24adjacent_difference_implIS3_Lb0ELb0EPsS7_N6thrust23THRUST_200600_302600_NS5minusIsEEEE10hipError_tPvRmT2_T3_mT4_P12ihipStream_tbEUlT_E_NS1_11comp_targetILNS1_3genE9ELNS1_11target_archE1100ELNS1_3gpuE3ELNS1_3repE0EEENS1_30default_config_static_selectorELNS0_4arch9wavefront6targetE1EEEvT1_,"axG",@progbits,_ZN7rocprim17ROCPRIM_400000_NS6detail17trampoline_kernelINS0_14default_configENS1_35adjacent_difference_config_selectorILb0EsEEZNS1_24adjacent_difference_implIS3_Lb0ELb0EPsS7_N6thrust23THRUST_200600_302600_NS5minusIsEEEE10hipError_tPvRmT2_T3_mT4_P12ihipStream_tbEUlT_E_NS1_11comp_targetILNS1_3genE9ELNS1_11target_archE1100ELNS1_3gpuE3ELNS1_3repE0EEENS1_30default_config_static_selectorELNS0_4arch9wavefront6targetE1EEEvT1_,comdat
.Lfunc_end58:
	.size	_ZN7rocprim17ROCPRIM_400000_NS6detail17trampoline_kernelINS0_14default_configENS1_35adjacent_difference_config_selectorILb0EsEEZNS1_24adjacent_difference_implIS3_Lb0ELb0EPsS7_N6thrust23THRUST_200600_302600_NS5minusIsEEEE10hipError_tPvRmT2_T3_mT4_P12ihipStream_tbEUlT_E_NS1_11comp_targetILNS1_3genE9ELNS1_11target_archE1100ELNS1_3gpuE3ELNS1_3repE0EEENS1_30default_config_static_selectorELNS0_4arch9wavefront6targetE1EEEvT1_, .Lfunc_end58-_ZN7rocprim17ROCPRIM_400000_NS6detail17trampoline_kernelINS0_14default_configENS1_35adjacent_difference_config_selectorILb0EsEEZNS1_24adjacent_difference_implIS3_Lb0ELb0EPsS7_N6thrust23THRUST_200600_302600_NS5minusIsEEEE10hipError_tPvRmT2_T3_mT4_P12ihipStream_tbEUlT_E_NS1_11comp_targetILNS1_3genE9ELNS1_11target_archE1100ELNS1_3gpuE3ELNS1_3repE0EEENS1_30default_config_static_selectorELNS0_4arch9wavefront6targetE1EEEvT1_
                                        ; -- End function
	.section	.AMDGPU.csdata,"",@progbits
; Kernel info:
; codeLenInByte = 0
; NumSgprs: 6
; NumVgprs: 0
; NumAgprs: 0
; TotalNumVgprs: 0
; ScratchSize: 0
; MemoryBound: 0
; FloatMode: 240
; IeeeMode: 1
; LDSByteSize: 0 bytes/workgroup (compile time only)
; SGPRBlocks: 0
; VGPRBlocks: 0
; NumSGPRsForWavesPerEU: 6
; NumVGPRsForWavesPerEU: 1
; AccumOffset: 4
; Occupancy: 8
; WaveLimiterHint : 0
; COMPUTE_PGM_RSRC2:SCRATCH_EN: 0
; COMPUTE_PGM_RSRC2:USER_SGPR: 2
; COMPUTE_PGM_RSRC2:TRAP_HANDLER: 0
; COMPUTE_PGM_RSRC2:TGID_X_EN: 1
; COMPUTE_PGM_RSRC2:TGID_Y_EN: 0
; COMPUTE_PGM_RSRC2:TGID_Z_EN: 0
; COMPUTE_PGM_RSRC2:TIDIG_COMP_CNT: 0
; COMPUTE_PGM_RSRC3_GFX90A:ACCUM_OFFSET: 0
; COMPUTE_PGM_RSRC3_GFX90A:TG_SPLIT: 0
	.section	.text._ZN7rocprim17ROCPRIM_400000_NS6detail17trampoline_kernelINS0_14default_configENS1_35adjacent_difference_config_selectorILb0EsEEZNS1_24adjacent_difference_implIS3_Lb0ELb0EPsS7_N6thrust23THRUST_200600_302600_NS5minusIsEEEE10hipError_tPvRmT2_T3_mT4_P12ihipStream_tbEUlT_E_NS1_11comp_targetILNS1_3genE8ELNS1_11target_archE1030ELNS1_3gpuE2ELNS1_3repE0EEENS1_30default_config_static_selectorELNS0_4arch9wavefront6targetE1EEEvT1_,"axG",@progbits,_ZN7rocprim17ROCPRIM_400000_NS6detail17trampoline_kernelINS0_14default_configENS1_35adjacent_difference_config_selectorILb0EsEEZNS1_24adjacent_difference_implIS3_Lb0ELb0EPsS7_N6thrust23THRUST_200600_302600_NS5minusIsEEEE10hipError_tPvRmT2_T3_mT4_P12ihipStream_tbEUlT_E_NS1_11comp_targetILNS1_3genE8ELNS1_11target_archE1030ELNS1_3gpuE2ELNS1_3repE0EEENS1_30default_config_static_selectorELNS0_4arch9wavefront6targetE1EEEvT1_,comdat
	.protected	_ZN7rocprim17ROCPRIM_400000_NS6detail17trampoline_kernelINS0_14default_configENS1_35adjacent_difference_config_selectorILb0EsEEZNS1_24adjacent_difference_implIS3_Lb0ELb0EPsS7_N6thrust23THRUST_200600_302600_NS5minusIsEEEE10hipError_tPvRmT2_T3_mT4_P12ihipStream_tbEUlT_E_NS1_11comp_targetILNS1_3genE8ELNS1_11target_archE1030ELNS1_3gpuE2ELNS1_3repE0EEENS1_30default_config_static_selectorELNS0_4arch9wavefront6targetE1EEEvT1_ ; -- Begin function _ZN7rocprim17ROCPRIM_400000_NS6detail17trampoline_kernelINS0_14default_configENS1_35adjacent_difference_config_selectorILb0EsEEZNS1_24adjacent_difference_implIS3_Lb0ELb0EPsS7_N6thrust23THRUST_200600_302600_NS5minusIsEEEE10hipError_tPvRmT2_T3_mT4_P12ihipStream_tbEUlT_E_NS1_11comp_targetILNS1_3genE8ELNS1_11target_archE1030ELNS1_3gpuE2ELNS1_3repE0EEENS1_30default_config_static_selectorELNS0_4arch9wavefront6targetE1EEEvT1_
	.globl	_ZN7rocprim17ROCPRIM_400000_NS6detail17trampoline_kernelINS0_14default_configENS1_35adjacent_difference_config_selectorILb0EsEEZNS1_24adjacent_difference_implIS3_Lb0ELb0EPsS7_N6thrust23THRUST_200600_302600_NS5minusIsEEEE10hipError_tPvRmT2_T3_mT4_P12ihipStream_tbEUlT_E_NS1_11comp_targetILNS1_3genE8ELNS1_11target_archE1030ELNS1_3gpuE2ELNS1_3repE0EEENS1_30default_config_static_selectorELNS0_4arch9wavefront6targetE1EEEvT1_
	.p2align	8
	.type	_ZN7rocprim17ROCPRIM_400000_NS6detail17trampoline_kernelINS0_14default_configENS1_35adjacent_difference_config_selectorILb0EsEEZNS1_24adjacent_difference_implIS3_Lb0ELb0EPsS7_N6thrust23THRUST_200600_302600_NS5minusIsEEEE10hipError_tPvRmT2_T3_mT4_P12ihipStream_tbEUlT_E_NS1_11comp_targetILNS1_3genE8ELNS1_11target_archE1030ELNS1_3gpuE2ELNS1_3repE0EEENS1_30default_config_static_selectorELNS0_4arch9wavefront6targetE1EEEvT1_,@function
_ZN7rocprim17ROCPRIM_400000_NS6detail17trampoline_kernelINS0_14default_configENS1_35adjacent_difference_config_selectorILb0EsEEZNS1_24adjacent_difference_implIS3_Lb0ELb0EPsS7_N6thrust23THRUST_200600_302600_NS5minusIsEEEE10hipError_tPvRmT2_T3_mT4_P12ihipStream_tbEUlT_E_NS1_11comp_targetILNS1_3genE8ELNS1_11target_archE1030ELNS1_3gpuE2ELNS1_3repE0EEENS1_30default_config_static_selectorELNS0_4arch9wavefront6targetE1EEEvT1_: ; @_ZN7rocprim17ROCPRIM_400000_NS6detail17trampoline_kernelINS0_14default_configENS1_35adjacent_difference_config_selectorILb0EsEEZNS1_24adjacent_difference_implIS3_Lb0ELb0EPsS7_N6thrust23THRUST_200600_302600_NS5minusIsEEEE10hipError_tPvRmT2_T3_mT4_P12ihipStream_tbEUlT_E_NS1_11comp_targetILNS1_3genE8ELNS1_11target_archE1030ELNS1_3gpuE2ELNS1_3repE0EEENS1_30default_config_static_selectorELNS0_4arch9wavefront6targetE1EEEvT1_
; %bb.0:
	.section	.rodata,"a",@progbits
	.p2align	6, 0x0
	.amdhsa_kernel _ZN7rocprim17ROCPRIM_400000_NS6detail17trampoline_kernelINS0_14default_configENS1_35adjacent_difference_config_selectorILb0EsEEZNS1_24adjacent_difference_implIS3_Lb0ELb0EPsS7_N6thrust23THRUST_200600_302600_NS5minusIsEEEE10hipError_tPvRmT2_T3_mT4_P12ihipStream_tbEUlT_E_NS1_11comp_targetILNS1_3genE8ELNS1_11target_archE1030ELNS1_3gpuE2ELNS1_3repE0EEENS1_30default_config_static_selectorELNS0_4arch9wavefront6targetE1EEEvT1_
		.amdhsa_group_segment_fixed_size 0
		.amdhsa_private_segment_fixed_size 0
		.amdhsa_kernarg_size 56
		.amdhsa_user_sgpr_count 2
		.amdhsa_user_sgpr_dispatch_ptr 0
		.amdhsa_user_sgpr_queue_ptr 0
		.amdhsa_user_sgpr_kernarg_segment_ptr 1
		.amdhsa_user_sgpr_dispatch_id 0
		.amdhsa_user_sgpr_kernarg_preload_length 0
		.amdhsa_user_sgpr_kernarg_preload_offset 0
		.amdhsa_user_sgpr_private_segment_size 0
		.amdhsa_uses_dynamic_stack 0
		.amdhsa_enable_private_segment 0
		.amdhsa_system_sgpr_workgroup_id_x 1
		.amdhsa_system_sgpr_workgroup_id_y 0
		.amdhsa_system_sgpr_workgroup_id_z 0
		.amdhsa_system_sgpr_workgroup_info 0
		.amdhsa_system_vgpr_workitem_id 0
		.amdhsa_next_free_vgpr 1
		.amdhsa_next_free_sgpr 0
		.amdhsa_accum_offset 4
		.amdhsa_reserve_vcc 0
		.amdhsa_float_round_mode_32 0
		.amdhsa_float_round_mode_16_64 0
		.amdhsa_float_denorm_mode_32 3
		.amdhsa_float_denorm_mode_16_64 3
		.amdhsa_dx10_clamp 1
		.amdhsa_ieee_mode 1
		.amdhsa_fp16_overflow 0
		.amdhsa_tg_split 0
		.amdhsa_exception_fp_ieee_invalid_op 0
		.amdhsa_exception_fp_denorm_src 0
		.amdhsa_exception_fp_ieee_div_zero 0
		.amdhsa_exception_fp_ieee_overflow 0
		.amdhsa_exception_fp_ieee_underflow 0
		.amdhsa_exception_fp_ieee_inexact 0
		.amdhsa_exception_int_div_zero 0
	.end_amdhsa_kernel
	.section	.text._ZN7rocprim17ROCPRIM_400000_NS6detail17trampoline_kernelINS0_14default_configENS1_35adjacent_difference_config_selectorILb0EsEEZNS1_24adjacent_difference_implIS3_Lb0ELb0EPsS7_N6thrust23THRUST_200600_302600_NS5minusIsEEEE10hipError_tPvRmT2_T3_mT4_P12ihipStream_tbEUlT_E_NS1_11comp_targetILNS1_3genE8ELNS1_11target_archE1030ELNS1_3gpuE2ELNS1_3repE0EEENS1_30default_config_static_selectorELNS0_4arch9wavefront6targetE1EEEvT1_,"axG",@progbits,_ZN7rocprim17ROCPRIM_400000_NS6detail17trampoline_kernelINS0_14default_configENS1_35adjacent_difference_config_selectorILb0EsEEZNS1_24adjacent_difference_implIS3_Lb0ELb0EPsS7_N6thrust23THRUST_200600_302600_NS5minusIsEEEE10hipError_tPvRmT2_T3_mT4_P12ihipStream_tbEUlT_E_NS1_11comp_targetILNS1_3genE8ELNS1_11target_archE1030ELNS1_3gpuE2ELNS1_3repE0EEENS1_30default_config_static_selectorELNS0_4arch9wavefront6targetE1EEEvT1_,comdat
.Lfunc_end59:
	.size	_ZN7rocprim17ROCPRIM_400000_NS6detail17trampoline_kernelINS0_14default_configENS1_35adjacent_difference_config_selectorILb0EsEEZNS1_24adjacent_difference_implIS3_Lb0ELb0EPsS7_N6thrust23THRUST_200600_302600_NS5minusIsEEEE10hipError_tPvRmT2_T3_mT4_P12ihipStream_tbEUlT_E_NS1_11comp_targetILNS1_3genE8ELNS1_11target_archE1030ELNS1_3gpuE2ELNS1_3repE0EEENS1_30default_config_static_selectorELNS0_4arch9wavefront6targetE1EEEvT1_, .Lfunc_end59-_ZN7rocprim17ROCPRIM_400000_NS6detail17trampoline_kernelINS0_14default_configENS1_35adjacent_difference_config_selectorILb0EsEEZNS1_24adjacent_difference_implIS3_Lb0ELb0EPsS7_N6thrust23THRUST_200600_302600_NS5minusIsEEEE10hipError_tPvRmT2_T3_mT4_P12ihipStream_tbEUlT_E_NS1_11comp_targetILNS1_3genE8ELNS1_11target_archE1030ELNS1_3gpuE2ELNS1_3repE0EEENS1_30default_config_static_selectorELNS0_4arch9wavefront6targetE1EEEvT1_
                                        ; -- End function
	.section	.AMDGPU.csdata,"",@progbits
; Kernel info:
; codeLenInByte = 0
; NumSgprs: 6
; NumVgprs: 0
; NumAgprs: 0
; TotalNumVgprs: 0
; ScratchSize: 0
; MemoryBound: 0
; FloatMode: 240
; IeeeMode: 1
; LDSByteSize: 0 bytes/workgroup (compile time only)
; SGPRBlocks: 0
; VGPRBlocks: 0
; NumSGPRsForWavesPerEU: 6
; NumVGPRsForWavesPerEU: 1
; AccumOffset: 4
; Occupancy: 8
; WaveLimiterHint : 0
; COMPUTE_PGM_RSRC2:SCRATCH_EN: 0
; COMPUTE_PGM_RSRC2:USER_SGPR: 2
; COMPUTE_PGM_RSRC2:TRAP_HANDLER: 0
; COMPUTE_PGM_RSRC2:TGID_X_EN: 1
; COMPUTE_PGM_RSRC2:TGID_Y_EN: 0
; COMPUTE_PGM_RSRC2:TGID_Z_EN: 0
; COMPUTE_PGM_RSRC2:TIDIG_COMP_CNT: 0
; COMPUTE_PGM_RSRC3_GFX90A:ACCUM_OFFSET: 0
; COMPUTE_PGM_RSRC3_GFX90A:TG_SPLIT: 0
	.section	.text._ZN7rocprim17ROCPRIM_400000_NS6detail17trampoline_kernelINS0_14default_configENS1_25transform_config_selectorIsLb0EEEZNS1_14transform_implILb0ES3_S5_NS0_18transform_iteratorINS0_17counting_iteratorImlEEZNS1_24adjacent_difference_implIS3_Lb1ELb0EPsSB_N6thrust23THRUST_200600_302600_NS5minusIsEEEE10hipError_tPvRmT2_T3_mT4_P12ihipStream_tbEUlmE_sEESB_NS0_8identityIvEEEESG_SJ_SK_mSL_SN_bEUlT_E_NS1_11comp_targetILNS1_3genE0ELNS1_11target_archE4294967295ELNS1_3gpuE0ELNS1_3repE0EEENS1_30default_config_static_selectorELNS0_4arch9wavefront6targetE1EEEvT1_,"axG",@progbits,_ZN7rocprim17ROCPRIM_400000_NS6detail17trampoline_kernelINS0_14default_configENS1_25transform_config_selectorIsLb0EEEZNS1_14transform_implILb0ES3_S5_NS0_18transform_iteratorINS0_17counting_iteratorImlEEZNS1_24adjacent_difference_implIS3_Lb1ELb0EPsSB_N6thrust23THRUST_200600_302600_NS5minusIsEEEE10hipError_tPvRmT2_T3_mT4_P12ihipStream_tbEUlmE_sEESB_NS0_8identityIvEEEESG_SJ_SK_mSL_SN_bEUlT_E_NS1_11comp_targetILNS1_3genE0ELNS1_11target_archE4294967295ELNS1_3gpuE0ELNS1_3repE0EEENS1_30default_config_static_selectorELNS0_4arch9wavefront6targetE1EEEvT1_,comdat
	.protected	_ZN7rocprim17ROCPRIM_400000_NS6detail17trampoline_kernelINS0_14default_configENS1_25transform_config_selectorIsLb0EEEZNS1_14transform_implILb0ES3_S5_NS0_18transform_iteratorINS0_17counting_iteratorImlEEZNS1_24adjacent_difference_implIS3_Lb1ELb0EPsSB_N6thrust23THRUST_200600_302600_NS5minusIsEEEE10hipError_tPvRmT2_T3_mT4_P12ihipStream_tbEUlmE_sEESB_NS0_8identityIvEEEESG_SJ_SK_mSL_SN_bEUlT_E_NS1_11comp_targetILNS1_3genE0ELNS1_11target_archE4294967295ELNS1_3gpuE0ELNS1_3repE0EEENS1_30default_config_static_selectorELNS0_4arch9wavefront6targetE1EEEvT1_ ; -- Begin function _ZN7rocprim17ROCPRIM_400000_NS6detail17trampoline_kernelINS0_14default_configENS1_25transform_config_selectorIsLb0EEEZNS1_14transform_implILb0ES3_S5_NS0_18transform_iteratorINS0_17counting_iteratorImlEEZNS1_24adjacent_difference_implIS3_Lb1ELb0EPsSB_N6thrust23THRUST_200600_302600_NS5minusIsEEEE10hipError_tPvRmT2_T3_mT4_P12ihipStream_tbEUlmE_sEESB_NS0_8identityIvEEEESG_SJ_SK_mSL_SN_bEUlT_E_NS1_11comp_targetILNS1_3genE0ELNS1_11target_archE4294967295ELNS1_3gpuE0ELNS1_3repE0EEENS1_30default_config_static_selectorELNS0_4arch9wavefront6targetE1EEEvT1_
	.globl	_ZN7rocprim17ROCPRIM_400000_NS6detail17trampoline_kernelINS0_14default_configENS1_25transform_config_selectorIsLb0EEEZNS1_14transform_implILb0ES3_S5_NS0_18transform_iteratorINS0_17counting_iteratorImlEEZNS1_24adjacent_difference_implIS3_Lb1ELb0EPsSB_N6thrust23THRUST_200600_302600_NS5minusIsEEEE10hipError_tPvRmT2_T3_mT4_P12ihipStream_tbEUlmE_sEESB_NS0_8identityIvEEEESG_SJ_SK_mSL_SN_bEUlT_E_NS1_11comp_targetILNS1_3genE0ELNS1_11target_archE4294967295ELNS1_3gpuE0ELNS1_3repE0EEENS1_30default_config_static_selectorELNS0_4arch9wavefront6targetE1EEEvT1_
	.p2align	8
	.type	_ZN7rocprim17ROCPRIM_400000_NS6detail17trampoline_kernelINS0_14default_configENS1_25transform_config_selectorIsLb0EEEZNS1_14transform_implILb0ES3_S5_NS0_18transform_iteratorINS0_17counting_iteratorImlEEZNS1_24adjacent_difference_implIS3_Lb1ELb0EPsSB_N6thrust23THRUST_200600_302600_NS5minusIsEEEE10hipError_tPvRmT2_T3_mT4_P12ihipStream_tbEUlmE_sEESB_NS0_8identityIvEEEESG_SJ_SK_mSL_SN_bEUlT_E_NS1_11comp_targetILNS1_3genE0ELNS1_11target_archE4294967295ELNS1_3gpuE0ELNS1_3repE0EEENS1_30default_config_static_selectorELNS0_4arch9wavefront6targetE1EEEvT1_,@function
_ZN7rocprim17ROCPRIM_400000_NS6detail17trampoline_kernelINS0_14default_configENS1_25transform_config_selectorIsLb0EEEZNS1_14transform_implILb0ES3_S5_NS0_18transform_iteratorINS0_17counting_iteratorImlEEZNS1_24adjacent_difference_implIS3_Lb1ELb0EPsSB_N6thrust23THRUST_200600_302600_NS5minusIsEEEE10hipError_tPvRmT2_T3_mT4_P12ihipStream_tbEUlmE_sEESB_NS0_8identityIvEEEESG_SJ_SK_mSL_SN_bEUlT_E_NS1_11comp_targetILNS1_3genE0ELNS1_11target_archE4294967295ELNS1_3gpuE0ELNS1_3repE0EEENS1_30default_config_static_selectorELNS0_4arch9wavefront6targetE1EEEvT1_: ; @_ZN7rocprim17ROCPRIM_400000_NS6detail17trampoline_kernelINS0_14default_configENS1_25transform_config_selectorIsLb0EEEZNS1_14transform_implILb0ES3_S5_NS0_18transform_iteratorINS0_17counting_iteratorImlEEZNS1_24adjacent_difference_implIS3_Lb1ELb0EPsSB_N6thrust23THRUST_200600_302600_NS5minusIsEEEE10hipError_tPvRmT2_T3_mT4_P12ihipStream_tbEUlmE_sEESB_NS0_8identityIvEEEESG_SJ_SK_mSL_SN_bEUlT_E_NS1_11comp_targetILNS1_3genE0ELNS1_11target_archE4294967295ELNS1_3gpuE0ELNS1_3repE0EEENS1_30default_config_static_selectorELNS0_4arch9wavefront6targetE1EEEvT1_
; %bb.0:
	.section	.rodata,"a",@progbits
	.p2align	6, 0x0
	.amdhsa_kernel _ZN7rocprim17ROCPRIM_400000_NS6detail17trampoline_kernelINS0_14default_configENS1_25transform_config_selectorIsLb0EEEZNS1_14transform_implILb0ES3_S5_NS0_18transform_iteratorINS0_17counting_iteratorImlEEZNS1_24adjacent_difference_implIS3_Lb1ELb0EPsSB_N6thrust23THRUST_200600_302600_NS5minusIsEEEE10hipError_tPvRmT2_T3_mT4_P12ihipStream_tbEUlmE_sEESB_NS0_8identityIvEEEESG_SJ_SK_mSL_SN_bEUlT_E_NS1_11comp_targetILNS1_3genE0ELNS1_11target_archE4294967295ELNS1_3gpuE0ELNS1_3repE0EEENS1_30default_config_static_selectorELNS0_4arch9wavefront6targetE1EEEvT1_
		.amdhsa_group_segment_fixed_size 0
		.amdhsa_private_segment_fixed_size 0
		.amdhsa_kernarg_size 56
		.amdhsa_user_sgpr_count 2
		.amdhsa_user_sgpr_dispatch_ptr 0
		.amdhsa_user_sgpr_queue_ptr 0
		.amdhsa_user_sgpr_kernarg_segment_ptr 1
		.amdhsa_user_sgpr_dispatch_id 0
		.amdhsa_user_sgpr_kernarg_preload_length 0
		.amdhsa_user_sgpr_kernarg_preload_offset 0
		.amdhsa_user_sgpr_private_segment_size 0
		.amdhsa_uses_dynamic_stack 0
		.amdhsa_enable_private_segment 0
		.amdhsa_system_sgpr_workgroup_id_x 1
		.amdhsa_system_sgpr_workgroup_id_y 0
		.amdhsa_system_sgpr_workgroup_id_z 0
		.amdhsa_system_sgpr_workgroup_info 0
		.amdhsa_system_vgpr_workitem_id 0
		.amdhsa_next_free_vgpr 1
		.amdhsa_next_free_sgpr 0
		.amdhsa_accum_offset 4
		.amdhsa_reserve_vcc 0
		.amdhsa_float_round_mode_32 0
		.amdhsa_float_round_mode_16_64 0
		.amdhsa_float_denorm_mode_32 3
		.amdhsa_float_denorm_mode_16_64 3
		.amdhsa_dx10_clamp 1
		.amdhsa_ieee_mode 1
		.amdhsa_fp16_overflow 0
		.amdhsa_tg_split 0
		.amdhsa_exception_fp_ieee_invalid_op 0
		.amdhsa_exception_fp_denorm_src 0
		.amdhsa_exception_fp_ieee_div_zero 0
		.amdhsa_exception_fp_ieee_overflow 0
		.amdhsa_exception_fp_ieee_underflow 0
		.amdhsa_exception_fp_ieee_inexact 0
		.amdhsa_exception_int_div_zero 0
	.end_amdhsa_kernel
	.section	.text._ZN7rocprim17ROCPRIM_400000_NS6detail17trampoline_kernelINS0_14default_configENS1_25transform_config_selectorIsLb0EEEZNS1_14transform_implILb0ES3_S5_NS0_18transform_iteratorINS0_17counting_iteratorImlEEZNS1_24adjacent_difference_implIS3_Lb1ELb0EPsSB_N6thrust23THRUST_200600_302600_NS5minusIsEEEE10hipError_tPvRmT2_T3_mT4_P12ihipStream_tbEUlmE_sEESB_NS0_8identityIvEEEESG_SJ_SK_mSL_SN_bEUlT_E_NS1_11comp_targetILNS1_3genE0ELNS1_11target_archE4294967295ELNS1_3gpuE0ELNS1_3repE0EEENS1_30default_config_static_selectorELNS0_4arch9wavefront6targetE1EEEvT1_,"axG",@progbits,_ZN7rocprim17ROCPRIM_400000_NS6detail17trampoline_kernelINS0_14default_configENS1_25transform_config_selectorIsLb0EEEZNS1_14transform_implILb0ES3_S5_NS0_18transform_iteratorINS0_17counting_iteratorImlEEZNS1_24adjacent_difference_implIS3_Lb1ELb0EPsSB_N6thrust23THRUST_200600_302600_NS5minusIsEEEE10hipError_tPvRmT2_T3_mT4_P12ihipStream_tbEUlmE_sEESB_NS0_8identityIvEEEESG_SJ_SK_mSL_SN_bEUlT_E_NS1_11comp_targetILNS1_3genE0ELNS1_11target_archE4294967295ELNS1_3gpuE0ELNS1_3repE0EEENS1_30default_config_static_selectorELNS0_4arch9wavefront6targetE1EEEvT1_,comdat
.Lfunc_end60:
	.size	_ZN7rocprim17ROCPRIM_400000_NS6detail17trampoline_kernelINS0_14default_configENS1_25transform_config_selectorIsLb0EEEZNS1_14transform_implILb0ES3_S5_NS0_18transform_iteratorINS0_17counting_iteratorImlEEZNS1_24adjacent_difference_implIS3_Lb1ELb0EPsSB_N6thrust23THRUST_200600_302600_NS5minusIsEEEE10hipError_tPvRmT2_T3_mT4_P12ihipStream_tbEUlmE_sEESB_NS0_8identityIvEEEESG_SJ_SK_mSL_SN_bEUlT_E_NS1_11comp_targetILNS1_3genE0ELNS1_11target_archE4294967295ELNS1_3gpuE0ELNS1_3repE0EEENS1_30default_config_static_selectorELNS0_4arch9wavefront6targetE1EEEvT1_, .Lfunc_end60-_ZN7rocprim17ROCPRIM_400000_NS6detail17trampoline_kernelINS0_14default_configENS1_25transform_config_selectorIsLb0EEEZNS1_14transform_implILb0ES3_S5_NS0_18transform_iteratorINS0_17counting_iteratorImlEEZNS1_24adjacent_difference_implIS3_Lb1ELb0EPsSB_N6thrust23THRUST_200600_302600_NS5minusIsEEEE10hipError_tPvRmT2_T3_mT4_P12ihipStream_tbEUlmE_sEESB_NS0_8identityIvEEEESG_SJ_SK_mSL_SN_bEUlT_E_NS1_11comp_targetILNS1_3genE0ELNS1_11target_archE4294967295ELNS1_3gpuE0ELNS1_3repE0EEENS1_30default_config_static_selectorELNS0_4arch9wavefront6targetE1EEEvT1_
                                        ; -- End function
	.section	.AMDGPU.csdata,"",@progbits
; Kernel info:
; codeLenInByte = 0
; NumSgprs: 6
; NumVgprs: 0
; NumAgprs: 0
; TotalNumVgprs: 0
; ScratchSize: 0
; MemoryBound: 0
; FloatMode: 240
; IeeeMode: 1
; LDSByteSize: 0 bytes/workgroup (compile time only)
; SGPRBlocks: 0
; VGPRBlocks: 0
; NumSGPRsForWavesPerEU: 6
; NumVGPRsForWavesPerEU: 1
; AccumOffset: 4
; Occupancy: 8
; WaveLimiterHint : 0
; COMPUTE_PGM_RSRC2:SCRATCH_EN: 0
; COMPUTE_PGM_RSRC2:USER_SGPR: 2
; COMPUTE_PGM_RSRC2:TRAP_HANDLER: 0
; COMPUTE_PGM_RSRC2:TGID_X_EN: 1
; COMPUTE_PGM_RSRC2:TGID_Y_EN: 0
; COMPUTE_PGM_RSRC2:TGID_Z_EN: 0
; COMPUTE_PGM_RSRC2:TIDIG_COMP_CNT: 0
; COMPUTE_PGM_RSRC3_GFX90A:ACCUM_OFFSET: 0
; COMPUTE_PGM_RSRC3_GFX90A:TG_SPLIT: 0
	.section	.text._ZN7rocprim17ROCPRIM_400000_NS6detail17trampoline_kernelINS0_14default_configENS1_25transform_config_selectorIsLb0EEEZNS1_14transform_implILb0ES3_S5_NS0_18transform_iteratorINS0_17counting_iteratorImlEEZNS1_24adjacent_difference_implIS3_Lb1ELb0EPsSB_N6thrust23THRUST_200600_302600_NS5minusIsEEEE10hipError_tPvRmT2_T3_mT4_P12ihipStream_tbEUlmE_sEESB_NS0_8identityIvEEEESG_SJ_SK_mSL_SN_bEUlT_E_NS1_11comp_targetILNS1_3genE5ELNS1_11target_archE942ELNS1_3gpuE9ELNS1_3repE0EEENS1_30default_config_static_selectorELNS0_4arch9wavefront6targetE1EEEvT1_,"axG",@progbits,_ZN7rocprim17ROCPRIM_400000_NS6detail17trampoline_kernelINS0_14default_configENS1_25transform_config_selectorIsLb0EEEZNS1_14transform_implILb0ES3_S5_NS0_18transform_iteratorINS0_17counting_iteratorImlEEZNS1_24adjacent_difference_implIS3_Lb1ELb0EPsSB_N6thrust23THRUST_200600_302600_NS5minusIsEEEE10hipError_tPvRmT2_T3_mT4_P12ihipStream_tbEUlmE_sEESB_NS0_8identityIvEEEESG_SJ_SK_mSL_SN_bEUlT_E_NS1_11comp_targetILNS1_3genE5ELNS1_11target_archE942ELNS1_3gpuE9ELNS1_3repE0EEENS1_30default_config_static_selectorELNS0_4arch9wavefront6targetE1EEEvT1_,comdat
	.protected	_ZN7rocprim17ROCPRIM_400000_NS6detail17trampoline_kernelINS0_14default_configENS1_25transform_config_selectorIsLb0EEEZNS1_14transform_implILb0ES3_S5_NS0_18transform_iteratorINS0_17counting_iteratorImlEEZNS1_24adjacent_difference_implIS3_Lb1ELb0EPsSB_N6thrust23THRUST_200600_302600_NS5minusIsEEEE10hipError_tPvRmT2_T3_mT4_P12ihipStream_tbEUlmE_sEESB_NS0_8identityIvEEEESG_SJ_SK_mSL_SN_bEUlT_E_NS1_11comp_targetILNS1_3genE5ELNS1_11target_archE942ELNS1_3gpuE9ELNS1_3repE0EEENS1_30default_config_static_selectorELNS0_4arch9wavefront6targetE1EEEvT1_ ; -- Begin function _ZN7rocprim17ROCPRIM_400000_NS6detail17trampoline_kernelINS0_14default_configENS1_25transform_config_selectorIsLb0EEEZNS1_14transform_implILb0ES3_S5_NS0_18transform_iteratorINS0_17counting_iteratorImlEEZNS1_24adjacent_difference_implIS3_Lb1ELb0EPsSB_N6thrust23THRUST_200600_302600_NS5minusIsEEEE10hipError_tPvRmT2_T3_mT4_P12ihipStream_tbEUlmE_sEESB_NS0_8identityIvEEEESG_SJ_SK_mSL_SN_bEUlT_E_NS1_11comp_targetILNS1_3genE5ELNS1_11target_archE942ELNS1_3gpuE9ELNS1_3repE0EEENS1_30default_config_static_selectorELNS0_4arch9wavefront6targetE1EEEvT1_
	.globl	_ZN7rocprim17ROCPRIM_400000_NS6detail17trampoline_kernelINS0_14default_configENS1_25transform_config_selectorIsLb0EEEZNS1_14transform_implILb0ES3_S5_NS0_18transform_iteratorINS0_17counting_iteratorImlEEZNS1_24adjacent_difference_implIS3_Lb1ELb0EPsSB_N6thrust23THRUST_200600_302600_NS5minusIsEEEE10hipError_tPvRmT2_T3_mT4_P12ihipStream_tbEUlmE_sEESB_NS0_8identityIvEEEESG_SJ_SK_mSL_SN_bEUlT_E_NS1_11comp_targetILNS1_3genE5ELNS1_11target_archE942ELNS1_3gpuE9ELNS1_3repE0EEENS1_30default_config_static_selectorELNS0_4arch9wavefront6targetE1EEEvT1_
	.p2align	8
	.type	_ZN7rocprim17ROCPRIM_400000_NS6detail17trampoline_kernelINS0_14default_configENS1_25transform_config_selectorIsLb0EEEZNS1_14transform_implILb0ES3_S5_NS0_18transform_iteratorINS0_17counting_iteratorImlEEZNS1_24adjacent_difference_implIS3_Lb1ELb0EPsSB_N6thrust23THRUST_200600_302600_NS5minusIsEEEE10hipError_tPvRmT2_T3_mT4_P12ihipStream_tbEUlmE_sEESB_NS0_8identityIvEEEESG_SJ_SK_mSL_SN_bEUlT_E_NS1_11comp_targetILNS1_3genE5ELNS1_11target_archE942ELNS1_3gpuE9ELNS1_3repE0EEENS1_30default_config_static_selectorELNS0_4arch9wavefront6targetE1EEEvT1_,@function
_ZN7rocprim17ROCPRIM_400000_NS6detail17trampoline_kernelINS0_14default_configENS1_25transform_config_selectorIsLb0EEEZNS1_14transform_implILb0ES3_S5_NS0_18transform_iteratorINS0_17counting_iteratorImlEEZNS1_24adjacent_difference_implIS3_Lb1ELb0EPsSB_N6thrust23THRUST_200600_302600_NS5minusIsEEEE10hipError_tPvRmT2_T3_mT4_P12ihipStream_tbEUlmE_sEESB_NS0_8identityIvEEEESG_SJ_SK_mSL_SN_bEUlT_E_NS1_11comp_targetILNS1_3genE5ELNS1_11target_archE942ELNS1_3gpuE9ELNS1_3repE0EEENS1_30default_config_static_selectorELNS0_4arch9wavefront6targetE1EEEvT1_: ; @_ZN7rocprim17ROCPRIM_400000_NS6detail17trampoline_kernelINS0_14default_configENS1_25transform_config_selectorIsLb0EEEZNS1_14transform_implILb0ES3_S5_NS0_18transform_iteratorINS0_17counting_iteratorImlEEZNS1_24adjacent_difference_implIS3_Lb1ELb0EPsSB_N6thrust23THRUST_200600_302600_NS5minusIsEEEE10hipError_tPvRmT2_T3_mT4_P12ihipStream_tbEUlmE_sEESB_NS0_8identityIvEEEESG_SJ_SK_mSL_SN_bEUlT_E_NS1_11comp_targetILNS1_3genE5ELNS1_11target_archE942ELNS1_3gpuE9ELNS1_3repE0EEENS1_30default_config_static_selectorELNS0_4arch9wavefront6targetE1EEEvT1_
; %bb.0:
	s_load_dwordx4 s[4:7], s[0:1], 0x18
	s_load_dwordx2 s[8:9], s[0:1], 0x28
	s_load_dwordx4 s[12:15], s[0:1], 0x0
	s_load_dword s20, s[0:1], 0x10
	s_load_dword s3, s[0:1], 0x38
	s_waitcnt lgkmcnt(0)
	s_lshl_b64 s[0:1], s[4:5], 1
	s_add_u32 s26, s8, s0
	s_addc_u32 s27, s9, s1
	s_lshl_b32 s18, s2, 11
	s_add_i32 s3, s3, -1
	s_add_u32 s0, s12, s18
	s_addc_u32 s1, s13, 0
	s_add_u32 s22, s0, s4
	s_addc_u32 s23, s1, s5
	s_mov_b32 s19, 0
	s_cmp_lg_u32 s2, s3
	v_lshlrev_b32_e32 v6, 1, v0
	s_cbranch_scc0 .LBB61_2
; %bb.1:
	v_mov_b32_e32 v1, 0
	v_lshl_add_u64 v[2:3], s[22:23], 0, v[0:1]
	v_mad_u64_u32 v[4:5], s[0:1], v2, s20, 0
	v_mov_b32_e32 v2, v5
	v_mad_u64_u32 v[2:3], s[0:1], v3, s20, v[2:3]
	s_mov_b32 s21, s19
	v_mov_b32_e32 v5, v2
	v_lshl_add_u64 v[2:3], v[4:5], 1, s[14:15]
	s_lshl_b64 s[0:1], s[20:21], 9
	v_lshl_add_u64 v[4:5], v[2:3], 0, s[0:1]
	v_lshl_add_u64 v[8:9], v[4:5], 0, s[0:1]
	;; [unrolled: 1-line block ×4, first 2 shown]
	global_load_ushort v14, v[2:3], off
	global_load_ushort v15, v[4:5], off
	;; [unrolled: 1-line block ×5, first 2 shown]
	v_lshl_add_u64 v[2:3], v[12:13], 0, s[0:1]
	global_load_ushort v4, v[2:3], off
	v_lshl_add_u64 v[2:3], v[2:3], 0, s[0:1]
	global_load_ushort v5, v[2:3], off
	;; [unrolled: 2-line block ×3, first 2 shown]
	s_lshl_b64 s[2:3], s[18:19], 1
	s_add_u32 s2, s26, s2
	v_mov_b32_e32 v7, v1
	s_addc_u32 s3, s27, s3
	v_lshl_add_u64 v[8:9], s[2:3], 0, v[6:7]
	s_mov_b64 s[16:17], -1
	s_waitcnt vmcnt(7)
	global_store_short v6, v14, s[2:3]
	s_waitcnt vmcnt(7)
	global_store_short v6, v15, s[2:3] offset:512
	s_waitcnt vmcnt(7)
	global_store_short v6, v16, s[2:3] offset:1024
	;; [unrolled: 2-line block ×6, first 2 shown]
	s_cbranch_execz .LBB61_3
	s_branch .LBB61_32
.LBB61_2:
	s_mov_b64 s[16:17], 0
                                        ; implicit-def: $vgpr2
                                        ; implicit-def: $vgpr8_vgpr9
.LBB61_3:
	s_sub_i32 s21, s6, s18
	v_cmp_gt_u32_e32 vcc, s21, v0
                                        ; implicit-def: $vgpr2_vgpr3_vgpr4_vgpr5
	s_and_saveexec_b64 s[0:1], vcc
	s_cbranch_execz .LBB61_5
; %bb.4:
	v_mov_b32_e32 v1, 0
	s_waitcnt vmcnt(7)
	v_lshl_add_u64 v[2:3], s[22:23], 0, v[0:1]
	v_mad_u64_u32 v[4:5], s[2:3], v2, s20, 0
	v_mov_b32_e32 v2, v5
	v_mad_u64_u32 v[2:3], s[2:3], v3, s20, v[2:3]
	v_mov_b32_e32 v5, v2
	v_lshl_add_u64 v[2:3], v[4:5], 1, s[14:15]
	global_load_ushort v2, v[2:3], off
.LBB61_5:
	s_or_b64 exec, exec, s[0:1]
	v_or_b32_e32 v8, 0x100, v0
	v_cmp_gt_u32_e64 s[0:1], s21, v8
	s_and_saveexec_b64 s[2:3], s[0:1]
	s_cbranch_execz .LBB61_7
; %bb.6:
	v_mov_b32_e32 v9, 0
	v_lshl_add_u64 v[8:9], s[22:23], 0, v[8:9]
	v_mad_u64_u32 v[10:11], s[4:5], v8, s20, 0
	v_mov_b32_e32 v8, v11
	v_mad_u64_u32 v[8:9], s[4:5], v9, s20, v[8:9]
	v_mov_b32_e32 v11, v8
	v_lshl_add_u64 v[8:9], v[10:11], 1, s[14:15]
	global_load_ushort v1, v[8:9], off
	s_mov_b32 s4, 0x5040100
	s_waitcnt vmcnt(0)
	v_perm_b32 v2, v1, v2, s4
.LBB61_7:
	s_or_b64 exec, exec, s[2:3]
	v_or_b32_e32 v8, 0x200, v0
	v_cmp_gt_u32_e64 s[2:3], s21, v8
	s_and_saveexec_b64 s[4:5], s[2:3]
	s_cbranch_execz .LBB61_9
; %bb.8:
	v_mov_b32_e32 v9, 0
	v_lshl_add_u64 v[8:9], s[22:23], 0, v[8:9]
	v_mad_u64_u32 v[10:11], s[6:7], v8, s20, 0
	v_mov_b32_e32 v8, v11
	v_mad_u64_u32 v[8:9], s[6:7], v9, s20, v[8:9]
	v_mov_b32_e32 v11, v8
	v_lshl_add_u64 v[8:9], v[10:11], 1, s[14:15]
	global_load_ushort v1, v[8:9], off
	s_mov_b32 s6, 0xffff
	s_waitcnt vmcnt(0)
	v_bfi_b32 v3, s6, v1, v3
.LBB61_9:
	s_or_b64 exec, exec, s[4:5]
	v_or_b32_e32 v8, 0x300, v0
	v_cmp_gt_u32_e64 s[4:5], s21, v8
	s_and_saveexec_b64 s[6:7], s[4:5]
	s_cbranch_execz .LBB61_11
; %bb.10:
	v_mov_b32_e32 v9, 0
	v_lshl_add_u64 v[8:9], s[22:23], 0, v[8:9]
	v_mad_u64_u32 v[10:11], s[8:9], v8, s20, 0
	v_mov_b32_e32 v8, v11
	v_mad_u64_u32 v[8:9], s[8:9], v9, s20, v[8:9]
	v_mov_b32_e32 v11, v8
	v_lshl_add_u64 v[8:9], v[10:11], 1, s[14:15]
	global_load_ushort v1, v[8:9], off
	s_mov_b32 s8, 0x5040100
	s_waitcnt vmcnt(0)
	v_perm_b32 v3, v1, v3, s8
.LBB61_11:
	s_or_b64 exec, exec, s[6:7]
	v_or_b32_e32 v8, 0x400, v0
	v_cmp_gt_u32_e64 s[6:7], s21, v8
	s_and_saveexec_b64 s[8:9], s[6:7]
	s_cbranch_execz .LBB61_13
; %bb.12:
	v_mov_b32_e32 v9, 0
	v_lshl_add_u64 v[8:9], s[22:23], 0, v[8:9]
	v_mad_u64_u32 v[10:11], s[10:11], v8, s20, 0
	v_mov_b32_e32 v8, v11
	v_mad_u64_u32 v[8:9], s[10:11], v9, s20, v[8:9]
	v_mov_b32_e32 v11, v8
	v_lshl_add_u64 v[8:9], v[10:11], 1, s[14:15]
	global_load_ushort v1, v[8:9], off
	s_mov_b32 s10, 0xffff
	s_waitcnt vmcnt(0)
	v_bfi_b32 v4, s10, v1, v4
.LBB61_13:
	;; [unrolled: 36-line block ×3, first 2 shown]
	s_or_b64 exec, exec, s[12:13]
	v_or_b32_e32 v0, 0x700, v0
	v_cmp_gt_u32_e64 s[12:13], s21, v0
	s_and_saveexec_b64 s[24:25], s[12:13]
	s_cbranch_execz .LBB61_19
; %bb.18:
	v_mov_b32_e32 v1, 0
	v_lshl_add_u64 v[0:1], s[22:23], 0, v[0:1]
	v_mad_u64_u32 v[8:9], s[22:23], v0, s20, 0
	v_mov_b32_e32 v0, v9
	v_mad_u64_u32 v[0:1], s[20:21], v1, s20, v[0:1]
	v_mov_b32_e32 v9, v0
	v_lshl_add_u64 v[0:1], v[8:9], 1, s[14:15]
	global_load_ushort v0, v[0:1], off
	s_mov_b32 s14, 0x5040100
	s_waitcnt vmcnt(0)
	v_perm_b32 v5, v0, v5, s14
.LBB61_19:
	s_or_b64 exec, exec, s[24:25]
	s_lshl_b64 s[14:15], s[18:19], 1
	s_add_u32 s14, s26, s14
	s_addc_u32 s15, s27, s15
	v_mov_b32_e32 v7, 0
	v_lshl_add_u64 v[8:9], s[14:15], 0, v[6:7]
	s_and_saveexec_b64 s[14:15], vcc
	s_cbranch_execnz .LBB61_35
; %bb.20:
	s_or_b64 exec, exec, s[14:15]
	s_and_saveexec_b64 s[14:15], s[0:1]
	s_cbranch_execnz .LBB61_36
.LBB61_21:
	s_or_b64 exec, exec, s[14:15]
	s_mov_b32 s14, 0xffff
	s_and_saveexec_b64 s[0:1], s[2:3]
	s_cbranch_execz .LBB61_23
.LBB61_22:
	global_store_short v[8:9], v3, off offset:1024
.LBB61_23:
	s_or_b64 exec, exec, s[0:1]
	v_bfi_b32 v0, s14, v3, v3
	v_cndmask_b32_e64 v0, v0, v3, s[4:5]
	s_and_saveexec_b64 s[0:1], s[4:5]
	s_cbranch_execz .LBB61_25
; %bb.24:
	global_store_short_d16_hi v[8:9], v0, off offset:1536
.LBB61_25:
	s_or_b64 exec, exec, s[0:1]
	s_mov_b32 s2, 0xffff
	v_cndmask_b32_e64 v0, v4, v4, s[6:7]
	s_and_saveexec_b64 s[0:1], s[6:7]
	s_cbranch_execz .LBB61_27
; %bb.26:
	global_store_short v[8:9], v0, off offset:2048
.LBB61_27:
	s_or_b64 exec, exec, s[0:1]
	v_bfi_b32 v0, s2, v0, v4
	v_cndmask_b32_e64 v0, v0, v4, s[8:9]
	s_and_saveexec_b64 s[0:1], s[8:9]
	s_cbranch_execnz .LBB61_37
; %bb.28:
	s_or_b64 exec, exec, s[0:1]
	s_and_saveexec_b64 s[0:1], s[10:11]
	s_cbranch_execnz .LBB61_38
.LBB61_29:
	s_or_b64 exec, exec, s[0:1]
                                        ; implicit-def: $vgpr2
	s_and_saveexec_b64 s[0:1], s[12:13]
	s_cbranch_execz .LBB61_31
.LBB61_30:
	v_cndmask_b32_e64 v0, v5, v5, s[12:13]
	s_waitcnt vmcnt(0)
	v_lshrrev_b32_e32 v2, 16, v0
	s_or_b64 s[16:17], s[16:17], exec
.LBB61_31:
	s_or_b64 exec, exec, s[0:1]
.LBB61_32:
	s_and_saveexec_b64 s[0:1], s[16:17]
	s_cbranch_execnz .LBB61_34
; %bb.33:
	s_endpgm
.LBB61_34:
	s_waitcnt vmcnt(0)
	global_store_short v[8:9], v2, off offset:3584
	s_endpgm
.LBB61_35:
	s_waitcnt vmcnt(0)
	global_store_short v[8:9], v2, off
	s_or_b64 exec, exec, s[14:15]
	s_and_saveexec_b64 s[14:15], s[0:1]
	s_cbranch_execz .LBB61_21
.LBB61_36:
	s_waitcnt vmcnt(0)
	global_store_short_d16_hi v[8:9], v2, off offset:512
	s_or_b64 exec, exec, s[14:15]
	s_mov_b32 s14, 0xffff
	s_and_saveexec_b64 s[0:1], s[2:3]
	s_cbranch_execnz .LBB61_22
	s_branch .LBB61_23
.LBB61_37:
	global_store_short_d16_hi v[8:9], v0, off offset:2560
	s_or_b64 exec, exec, s[0:1]
	s_and_saveexec_b64 s[0:1], s[10:11]
	s_cbranch_execz .LBB61_29
.LBB61_38:
	v_cndmask_b32_e64 v0, v5, v5, s[10:11]
	global_store_short v[8:9], v0, off offset:3072
	s_or_b64 exec, exec, s[0:1]
                                        ; implicit-def: $vgpr2
	s_and_saveexec_b64 s[0:1], s[12:13]
	s_cbranch_execnz .LBB61_30
	s_branch .LBB61_31
	.section	.rodata,"a",@progbits
	.p2align	6, 0x0
	.amdhsa_kernel _ZN7rocprim17ROCPRIM_400000_NS6detail17trampoline_kernelINS0_14default_configENS1_25transform_config_selectorIsLb0EEEZNS1_14transform_implILb0ES3_S5_NS0_18transform_iteratorINS0_17counting_iteratorImlEEZNS1_24adjacent_difference_implIS3_Lb1ELb0EPsSB_N6thrust23THRUST_200600_302600_NS5minusIsEEEE10hipError_tPvRmT2_T3_mT4_P12ihipStream_tbEUlmE_sEESB_NS0_8identityIvEEEESG_SJ_SK_mSL_SN_bEUlT_E_NS1_11comp_targetILNS1_3genE5ELNS1_11target_archE942ELNS1_3gpuE9ELNS1_3repE0EEENS1_30default_config_static_selectorELNS0_4arch9wavefront6targetE1EEEvT1_
		.amdhsa_group_segment_fixed_size 0
		.amdhsa_private_segment_fixed_size 0
		.amdhsa_kernarg_size 312
		.amdhsa_user_sgpr_count 2
		.amdhsa_user_sgpr_dispatch_ptr 0
		.amdhsa_user_sgpr_queue_ptr 0
		.amdhsa_user_sgpr_kernarg_segment_ptr 1
		.amdhsa_user_sgpr_dispatch_id 0
		.amdhsa_user_sgpr_kernarg_preload_length 0
		.amdhsa_user_sgpr_kernarg_preload_offset 0
		.amdhsa_user_sgpr_private_segment_size 0
		.amdhsa_uses_dynamic_stack 0
		.amdhsa_enable_private_segment 0
		.amdhsa_system_sgpr_workgroup_id_x 1
		.amdhsa_system_sgpr_workgroup_id_y 0
		.amdhsa_system_sgpr_workgroup_id_z 0
		.amdhsa_system_sgpr_workgroup_info 0
		.amdhsa_system_vgpr_workitem_id 0
		.amdhsa_next_free_vgpr 19
		.amdhsa_next_free_sgpr 28
		.amdhsa_accum_offset 20
		.amdhsa_reserve_vcc 1
		.amdhsa_float_round_mode_32 0
		.amdhsa_float_round_mode_16_64 0
		.amdhsa_float_denorm_mode_32 3
		.amdhsa_float_denorm_mode_16_64 3
		.amdhsa_dx10_clamp 1
		.amdhsa_ieee_mode 1
		.amdhsa_fp16_overflow 0
		.amdhsa_tg_split 0
		.amdhsa_exception_fp_ieee_invalid_op 0
		.amdhsa_exception_fp_denorm_src 0
		.amdhsa_exception_fp_ieee_div_zero 0
		.amdhsa_exception_fp_ieee_overflow 0
		.amdhsa_exception_fp_ieee_underflow 0
		.amdhsa_exception_fp_ieee_inexact 0
		.amdhsa_exception_int_div_zero 0
	.end_amdhsa_kernel
	.section	.text._ZN7rocprim17ROCPRIM_400000_NS6detail17trampoline_kernelINS0_14default_configENS1_25transform_config_selectorIsLb0EEEZNS1_14transform_implILb0ES3_S5_NS0_18transform_iteratorINS0_17counting_iteratorImlEEZNS1_24adjacent_difference_implIS3_Lb1ELb0EPsSB_N6thrust23THRUST_200600_302600_NS5minusIsEEEE10hipError_tPvRmT2_T3_mT4_P12ihipStream_tbEUlmE_sEESB_NS0_8identityIvEEEESG_SJ_SK_mSL_SN_bEUlT_E_NS1_11comp_targetILNS1_3genE5ELNS1_11target_archE942ELNS1_3gpuE9ELNS1_3repE0EEENS1_30default_config_static_selectorELNS0_4arch9wavefront6targetE1EEEvT1_,"axG",@progbits,_ZN7rocprim17ROCPRIM_400000_NS6detail17trampoline_kernelINS0_14default_configENS1_25transform_config_selectorIsLb0EEEZNS1_14transform_implILb0ES3_S5_NS0_18transform_iteratorINS0_17counting_iteratorImlEEZNS1_24adjacent_difference_implIS3_Lb1ELb0EPsSB_N6thrust23THRUST_200600_302600_NS5minusIsEEEE10hipError_tPvRmT2_T3_mT4_P12ihipStream_tbEUlmE_sEESB_NS0_8identityIvEEEESG_SJ_SK_mSL_SN_bEUlT_E_NS1_11comp_targetILNS1_3genE5ELNS1_11target_archE942ELNS1_3gpuE9ELNS1_3repE0EEENS1_30default_config_static_selectorELNS0_4arch9wavefront6targetE1EEEvT1_,comdat
.Lfunc_end61:
	.size	_ZN7rocprim17ROCPRIM_400000_NS6detail17trampoline_kernelINS0_14default_configENS1_25transform_config_selectorIsLb0EEEZNS1_14transform_implILb0ES3_S5_NS0_18transform_iteratorINS0_17counting_iteratorImlEEZNS1_24adjacent_difference_implIS3_Lb1ELb0EPsSB_N6thrust23THRUST_200600_302600_NS5minusIsEEEE10hipError_tPvRmT2_T3_mT4_P12ihipStream_tbEUlmE_sEESB_NS0_8identityIvEEEESG_SJ_SK_mSL_SN_bEUlT_E_NS1_11comp_targetILNS1_3genE5ELNS1_11target_archE942ELNS1_3gpuE9ELNS1_3repE0EEENS1_30default_config_static_selectorELNS0_4arch9wavefront6targetE1EEEvT1_, .Lfunc_end61-_ZN7rocprim17ROCPRIM_400000_NS6detail17trampoline_kernelINS0_14default_configENS1_25transform_config_selectorIsLb0EEEZNS1_14transform_implILb0ES3_S5_NS0_18transform_iteratorINS0_17counting_iteratorImlEEZNS1_24adjacent_difference_implIS3_Lb1ELb0EPsSB_N6thrust23THRUST_200600_302600_NS5minusIsEEEE10hipError_tPvRmT2_T3_mT4_P12ihipStream_tbEUlmE_sEESB_NS0_8identityIvEEEESG_SJ_SK_mSL_SN_bEUlT_E_NS1_11comp_targetILNS1_3genE5ELNS1_11target_archE942ELNS1_3gpuE9ELNS1_3repE0EEENS1_30default_config_static_selectorELNS0_4arch9wavefront6targetE1EEEvT1_
                                        ; -- End function
	.section	.AMDGPU.csdata,"",@progbits
; Kernel info:
; codeLenInByte = 1528
; NumSgprs: 34
; NumVgprs: 19
; NumAgprs: 0
; TotalNumVgprs: 19
; ScratchSize: 0
; MemoryBound: 0
; FloatMode: 240
; IeeeMode: 1
; LDSByteSize: 0 bytes/workgroup (compile time only)
; SGPRBlocks: 4
; VGPRBlocks: 2
; NumSGPRsForWavesPerEU: 34
; NumVGPRsForWavesPerEU: 19
; AccumOffset: 20
; Occupancy: 8
; WaveLimiterHint : 1
; COMPUTE_PGM_RSRC2:SCRATCH_EN: 0
; COMPUTE_PGM_RSRC2:USER_SGPR: 2
; COMPUTE_PGM_RSRC2:TRAP_HANDLER: 0
; COMPUTE_PGM_RSRC2:TGID_X_EN: 1
; COMPUTE_PGM_RSRC2:TGID_Y_EN: 0
; COMPUTE_PGM_RSRC2:TGID_Z_EN: 0
; COMPUTE_PGM_RSRC2:TIDIG_COMP_CNT: 0
; COMPUTE_PGM_RSRC3_GFX90A:ACCUM_OFFSET: 4
; COMPUTE_PGM_RSRC3_GFX90A:TG_SPLIT: 0
	.section	.text._ZN7rocprim17ROCPRIM_400000_NS6detail17trampoline_kernelINS0_14default_configENS1_25transform_config_selectorIsLb0EEEZNS1_14transform_implILb0ES3_S5_NS0_18transform_iteratorINS0_17counting_iteratorImlEEZNS1_24adjacent_difference_implIS3_Lb1ELb0EPsSB_N6thrust23THRUST_200600_302600_NS5minusIsEEEE10hipError_tPvRmT2_T3_mT4_P12ihipStream_tbEUlmE_sEESB_NS0_8identityIvEEEESG_SJ_SK_mSL_SN_bEUlT_E_NS1_11comp_targetILNS1_3genE4ELNS1_11target_archE910ELNS1_3gpuE8ELNS1_3repE0EEENS1_30default_config_static_selectorELNS0_4arch9wavefront6targetE1EEEvT1_,"axG",@progbits,_ZN7rocprim17ROCPRIM_400000_NS6detail17trampoline_kernelINS0_14default_configENS1_25transform_config_selectorIsLb0EEEZNS1_14transform_implILb0ES3_S5_NS0_18transform_iteratorINS0_17counting_iteratorImlEEZNS1_24adjacent_difference_implIS3_Lb1ELb0EPsSB_N6thrust23THRUST_200600_302600_NS5minusIsEEEE10hipError_tPvRmT2_T3_mT4_P12ihipStream_tbEUlmE_sEESB_NS0_8identityIvEEEESG_SJ_SK_mSL_SN_bEUlT_E_NS1_11comp_targetILNS1_3genE4ELNS1_11target_archE910ELNS1_3gpuE8ELNS1_3repE0EEENS1_30default_config_static_selectorELNS0_4arch9wavefront6targetE1EEEvT1_,comdat
	.protected	_ZN7rocprim17ROCPRIM_400000_NS6detail17trampoline_kernelINS0_14default_configENS1_25transform_config_selectorIsLb0EEEZNS1_14transform_implILb0ES3_S5_NS0_18transform_iteratorINS0_17counting_iteratorImlEEZNS1_24adjacent_difference_implIS3_Lb1ELb0EPsSB_N6thrust23THRUST_200600_302600_NS5minusIsEEEE10hipError_tPvRmT2_T3_mT4_P12ihipStream_tbEUlmE_sEESB_NS0_8identityIvEEEESG_SJ_SK_mSL_SN_bEUlT_E_NS1_11comp_targetILNS1_3genE4ELNS1_11target_archE910ELNS1_3gpuE8ELNS1_3repE0EEENS1_30default_config_static_selectorELNS0_4arch9wavefront6targetE1EEEvT1_ ; -- Begin function _ZN7rocprim17ROCPRIM_400000_NS6detail17trampoline_kernelINS0_14default_configENS1_25transform_config_selectorIsLb0EEEZNS1_14transform_implILb0ES3_S5_NS0_18transform_iteratorINS0_17counting_iteratorImlEEZNS1_24adjacent_difference_implIS3_Lb1ELb0EPsSB_N6thrust23THRUST_200600_302600_NS5minusIsEEEE10hipError_tPvRmT2_T3_mT4_P12ihipStream_tbEUlmE_sEESB_NS0_8identityIvEEEESG_SJ_SK_mSL_SN_bEUlT_E_NS1_11comp_targetILNS1_3genE4ELNS1_11target_archE910ELNS1_3gpuE8ELNS1_3repE0EEENS1_30default_config_static_selectorELNS0_4arch9wavefront6targetE1EEEvT1_
	.globl	_ZN7rocprim17ROCPRIM_400000_NS6detail17trampoline_kernelINS0_14default_configENS1_25transform_config_selectorIsLb0EEEZNS1_14transform_implILb0ES3_S5_NS0_18transform_iteratorINS0_17counting_iteratorImlEEZNS1_24adjacent_difference_implIS3_Lb1ELb0EPsSB_N6thrust23THRUST_200600_302600_NS5minusIsEEEE10hipError_tPvRmT2_T3_mT4_P12ihipStream_tbEUlmE_sEESB_NS0_8identityIvEEEESG_SJ_SK_mSL_SN_bEUlT_E_NS1_11comp_targetILNS1_3genE4ELNS1_11target_archE910ELNS1_3gpuE8ELNS1_3repE0EEENS1_30default_config_static_selectorELNS0_4arch9wavefront6targetE1EEEvT1_
	.p2align	8
	.type	_ZN7rocprim17ROCPRIM_400000_NS6detail17trampoline_kernelINS0_14default_configENS1_25transform_config_selectorIsLb0EEEZNS1_14transform_implILb0ES3_S5_NS0_18transform_iteratorINS0_17counting_iteratorImlEEZNS1_24adjacent_difference_implIS3_Lb1ELb0EPsSB_N6thrust23THRUST_200600_302600_NS5minusIsEEEE10hipError_tPvRmT2_T3_mT4_P12ihipStream_tbEUlmE_sEESB_NS0_8identityIvEEEESG_SJ_SK_mSL_SN_bEUlT_E_NS1_11comp_targetILNS1_3genE4ELNS1_11target_archE910ELNS1_3gpuE8ELNS1_3repE0EEENS1_30default_config_static_selectorELNS0_4arch9wavefront6targetE1EEEvT1_,@function
_ZN7rocprim17ROCPRIM_400000_NS6detail17trampoline_kernelINS0_14default_configENS1_25transform_config_selectorIsLb0EEEZNS1_14transform_implILb0ES3_S5_NS0_18transform_iteratorINS0_17counting_iteratorImlEEZNS1_24adjacent_difference_implIS3_Lb1ELb0EPsSB_N6thrust23THRUST_200600_302600_NS5minusIsEEEE10hipError_tPvRmT2_T3_mT4_P12ihipStream_tbEUlmE_sEESB_NS0_8identityIvEEEESG_SJ_SK_mSL_SN_bEUlT_E_NS1_11comp_targetILNS1_3genE4ELNS1_11target_archE910ELNS1_3gpuE8ELNS1_3repE0EEENS1_30default_config_static_selectorELNS0_4arch9wavefront6targetE1EEEvT1_: ; @_ZN7rocprim17ROCPRIM_400000_NS6detail17trampoline_kernelINS0_14default_configENS1_25transform_config_selectorIsLb0EEEZNS1_14transform_implILb0ES3_S5_NS0_18transform_iteratorINS0_17counting_iteratorImlEEZNS1_24adjacent_difference_implIS3_Lb1ELb0EPsSB_N6thrust23THRUST_200600_302600_NS5minusIsEEEE10hipError_tPvRmT2_T3_mT4_P12ihipStream_tbEUlmE_sEESB_NS0_8identityIvEEEESG_SJ_SK_mSL_SN_bEUlT_E_NS1_11comp_targetILNS1_3genE4ELNS1_11target_archE910ELNS1_3gpuE8ELNS1_3repE0EEENS1_30default_config_static_selectorELNS0_4arch9wavefront6targetE1EEEvT1_
; %bb.0:
	.section	.rodata,"a",@progbits
	.p2align	6, 0x0
	.amdhsa_kernel _ZN7rocprim17ROCPRIM_400000_NS6detail17trampoline_kernelINS0_14default_configENS1_25transform_config_selectorIsLb0EEEZNS1_14transform_implILb0ES3_S5_NS0_18transform_iteratorINS0_17counting_iteratorImlEEZNS1_24adjacent_difference_implIS3_Lb1ELb0EPsSB_N6thrust23THRUST_200600_302600_NS5minusIsEEEE10hipError_tPvRmT2_T3_mT4_P12ihipStream_tbEUlmE_sEESB_NS0_8identityIvEEEESG_SJ_SK_mSL_SN_bEUlT_E_NS1_11comp_targetILNS1_3genE4ELNS1_11target_archE910ELNS1_3gpuE8ELNS1_3repE0EEENS1_30default_config_static_selectorELNS0_4arch9wavefront6targetE1EEEvT1_
		.amdhsa_group_segment_fixed_size 0
		.amdhsa_private_segment_fixed_size 0
		.amdhsa_kernarg_size 56
		.amdhsa_user_sgpr_count 2
		.amdhsa_user_sgpr_dispatch_ptr 0
		.amdhsa_user_sgpr_queue_ptr 0
		.amdhsa_user_sgpr_kernarg_segment_ptr 1
		.amdhsa_user_sgpr_dispatch_id 0
		.amdhsa_user_sgpr_kernarg_preload_length 0
		.amdhsa_user_sgpr_kernarg_preload_offset 0
		.amdhsa_user_sgpr_private_segment_size 0
		.amdhsa_uses_dynamic_stack 0
		.amdhsa_enable_private_segment 0
		.amdhsa_system_sgpr_workgroup_id_x 1
		.amdhsa_system_sgpr_workgroup_id_y 0
		.amdhsa_system_sgpr_workgroup_id_z 0
		.amdhsa_system_sgpr_workgroup_info 0
		.amdhsa_system_vgpr_workitem_id 0
		.amdhsa_next_free_vgpr 1
		.amdhsa_next_free_sgpr 0
		.amdhsa_accum_offset 4
		.amdhsa_reserve_vcc 0
		.amdhsa_float_round_mode_32 0
		.amdhsa_float_round_mode_16_64 0
		.amdhsa_float_denorm_mode_32 3
		.amdhsa_float_denorm_mode_16_64 3
		.amdhsa_dx10_clamp 1
		.amdhsa_ieee_mode 1
		.amdhsa_fp16_overflow 0
		.amdhsa_tg_split 0
		.amdhsa_exception_fp_ieee_invalid_op 0
		.amdhsa_exception_fp_denorm_src 0
		.amdhsa_exception_fp_ieee_div_zero 0
		.amdhsa_exception_fp_ieee_overflow 0
		.amdhsa_exception_fp_ieee_underflow 0
		.amdhsa_exception_fp_ieee_inexact 0
		.amdhsa_exception_int_div_zero 0
	.end_amdhsa_kernel
	.section	.text._ZN7rocprim17ROCPRIM_400000_NS6detail17trampoline_kernelINS0_14default_configENS1_25transform_config_selectorIsLb0EEEZNS1_14transform_implILb0ES3_S5_NS0_18transform_iteratorINS0_17counting_iteratorImlEEZNS1_24adjacent_difference_implIS3_Lb1ELb0EPsSB_N6thrust23THRUST_200600_302600_NS5minusIsEEEE10hipError_tPvRmT2_T3_mT4_P12ihipStream_tbEUlmE_sEESB_NS0_8identityIvEEEESG_SJ_SK_mSL_SN_bEUlT_E_NS1_11comp_targetILNS1_3genE4ELNS1_11target_archE910ELNS1_3gpuE8ELNS1_3repE0EEENS1_30default_config_static_selectorELNS0_4arch9wavefront6targetE1EEEvT1_,"axG",@progbits,_ZN7rocprim17ROCPRIM_400000_NS6detail17trampoline_kernelINS0_14default_configENS1_25transform_config_selectorIsLb0EEEZNS1_14transform_implILb0ES3_S5_NS0_18transform_iteratorINS0_17counting_iteratorImlEEZNS1_24adjacent_difference_implIS3_Lb1ELb0EPsSB_N6thrust23THRUST_200600_302600_NS5minusIsEEEE10hipError_tPvRmT2_T3_mT4_P12ihipStream_tbEUlmE_sEESB_NS0_8identityIvEEEESG_SJ_SK_mSL_SN_bEUlT_E_NS1_11comp_targetILNS1_3genE4ELNS1_11target_archE910ELNS1_3gpuE8ELNS1_3repE0EEENS1_30default_config_static_selectorELNS0_4arch9wavefront6targetE1EEEvT1_,comdat
.Lfunc_end62:
	.size	_ZN7rocprim17ROCPRIM_400000_NS6detail17trampoline_kernelINS0_14default_configENS1_25transform_config_selectorIsLb0EEEZNS1_14transform_implILb0ES3_S5_NS0_18transform_iteratorINS0_17counting_iteratorImlEEZNS1_24adjacent_difference_implIS3_Lb1ELb0EPsSB_N6thrust23THRUST_200600_302600_NS5minusIsEEEE10hipError_tPvRmT2_T3_mT4_P12ihipStream_tbEUlmE_sEESB_NS0_8identityIvEEEESG_SJ_SK_mSL_SN_bEUlT_E_NS1_11comp_targetILNS1_3genE4ELNS1_11target_archE910ELNS1_3gpuE8ELNS1_3repE0EEENS1_30default_config_static_selectorELNS0_4arch9wavefront6targetE1EEEvT1_, .Lfunc_end62-_ZN7rocprim17ROCPRIM_400000_NS6detail17trampoline_kernelINS0_14default_configENS1_25transform_config_selectorIsLb0EEEZNS1_14transform_implILb0ES3_S5_NS0_18transform_iteratorINS0_17counting_iteratorImlEEZNS1_24adjacent_difference_implIS3_Lb1ELb0EPsSB_N6thrust23THRUST_200600_302600_NS5minusIsEEEE10hipError_tPvRmT2_T3_mT4_P12ihipStream_tbEUlmE_sEESB_NS0_8identityIvEEEESG_SJ_SK_mSL_SN_bEUlT_E_NS1_11comp_targetILNS1_3genE4ELNS1_11target_archE910ELNS1_3gpuE8ELNS1_3repE0EEENS1_30default_config_static_selectorELNS0_4arch9wavefront6targetE1EEEvT1_
                                        ; -- End function
	.section	.AMDGPU.csdata,"",@progbits
; Kernel info:
; codeLenInByte = 0
; NumSgprs: 6
; NumVgprs: 0
; NumAgprs: 0
; TotalNumVgprs: 0
; ScratchSize: 0
; MemoryBound: 0
; FloatMode: 240
; IeeeMode: 1
; LDSByteSize: 0 bytes/workgroup (compile time only)
; SGPRBlocks: 0
; VGPRBlocks: 0
; NumSGPRsForWavesPerEU: 6
; NumVGPRsForWavesPerEU: 1
; AccumOffset: 4
; Occupancy: 8
; WaveLimiterHint : 0
; COMPUTE_PGM_RSRC2:SCRATCH_EN: 0
; COMPUTE_PGM_RSRC2:USER_SGPR: 2
; COMPUTE_PGM_RSRC2:TRAP_HANDLER: 0
; COMPUTE_PGM_RSRC2:TGID_X_EN: 1
; COMPUTE_PGM_RSRC2:TGID_Y_EN: 0
; COMPUTE_PGM_RSRC2:TGID_Z_EN: 0
; COMPUTE_PGM_RSRC2:TIDIG_COMP_CNT: 0
; COMPUTE_PGM_RSRC3_GFX90A:ACCUM_OFFSET: 0
; COMPUTE_PGM_RSRC3_GFX90A:TG_SPLIT: 0
	.section	.text._ZN7rocprim17ROCPRIM_400000_NS6detail17trampoline_kernelINS0_14default_configENS1_25transform_config_selectorIsLb0EEEZNS1_14transform_implILb0ES3_S5_NS0_18transform_iteratorINS0_17counting_iteratorImlEEZNS1_24adjacent_difference_implIS3_Lb1ELb0EPsSB_N6thrust23THRUST_200600_302600_NS5minusIsEEEE10hipError_tPvRmT2_T3_mT4_P12ihipStream_tbEUlmE_sEESB_NS0_8identityIvEEEESG_SJ_SK_mSL_SN_bEUlT_E_NS1_11comp_targetILNS1_3genE3ELNS1_11target_archE908ELNS1_3gpuE7ELNS1_3repE0EEENS1_30default_config_static_selectorELNS0_4arch9wavefront6targetE1EEEvT1_,"axG",@progbits,_ZN7rocprim17ROCPRIM_400000_NS6detail17trampoline_kernelINS0_14default_configENS1_25transform_config_selectorIsLb0EEEZNS1_14transform_implILb0ES3_S5_NS0_18transform_iteratorINS0_17counting_iteratorImlEEZNS1_24adjacent_difference_implIS3_Lb1ELb0EPsSB_N6thrust23THRUST_200600_302600_NS5minusIsEEEE10hipError_tPvRmT2_T3_mT4_P12ihipStream_tbEUlmE_sEESB_NS0_8identityIvEEEESG_SJ_SK_mSL_SN_bEUlT_E_NS1_11comp_targetILNS1_3genE3ELNS1_11target_archE908ELNS1_3gpuE7ELNS1_3repE0EEENS1_30default_config_static_selectorELNS0_4arch9wavefront6targetE1EEEvT1_,comdat
	.protected	_ZN7rocprim17ROCPRIM_400000_NS6detail17trampoline_kernelINS0_14default_configENS1_25transform_config_selectorIsLb0EEEZNS1_14transform_implILb0ES3_S5_NS0_18transform_iteratorINS0_17counting_iteratorImlEEZNS1_24adjacent_difference_implIS3_Lb1ELb0EPsSB_N6thrust23THRUST_200600_302600_NS5minusIsEEEE10hipError_tPvRmT2_T3_mT4_P12ihipStream_tbEUlmE_sEESB_NS0_8identityIvEEEESG_SJ_SK_mSL_SN_bEUlT_E_NS1_11comp_targetILNS1_3genE3ELNS1_11target_archE908ELNS1_3gpuE7ELNS1_3repE0EEENS1_30default_config_static_selectorELNS0_4arch9wavefront6targetE1EEEvT1_ ; -- Begin function _ZN7rocprim17ROCPRIM_400000_NS6detail17trampoline_kernelINS0_14default_configENS1_25transform_config_selectorIsLb0EEEZNS1_14transform_implILb0ES3_S5_NS0_18transform_iteratorINS0_17counting_iteratorImlEEZNS1_24adjacent_difference_implIS3_Lb1ELb0EPsSB_N6thrust23THRUST_200600_302600_NS5minusIsEEEE10hipError_tPvRmT2_T3_mT4_P12ihipStream_tbEUlmE_sEESB_NS0_8identityIvEEEESG_SJ_SK_mSL_SN_bEUlT_E_NS1_11comp_targetILNS1_3genE3ELNS1_11target_archE908ELNS1_3gpuE7ELNS1_3repE0EEENS1_30default_config_static_selectorELNS0_4arch9wavefront6targetE1EEEvT1_
	.globl	_ZN7rocprim17ROCPRIM_400000_NS6detail17trampoline_kernelINS0_14default_configENS1_25transform_config_selectorIsLb0EEEZNS1_14transform_implILb0ES3_S5_NS0_18transform_iteratorINS0_17counting_iteratorImlEEZNS1_24adjacent_difference_implIS3_Lb1ELb0EPsSB_N6thrust23THRUST_200600_302600_NS5minusIsEEEE10hipError_tPvRmT2_T3_mT4_P12ihipStream_tbEUlmE_sEESB_NS0_8identityIvEEEESG_SJ_SK_mSL_SN_bEUlT_E_NS1_11comp_targetILNS1_3genE3ELNS1_11target_archE908ELNS1_3gpuE7ELNS1_3repE0EEENS1_30default_config_static_selectorELNS0_4arch9wavefront6targetE1EEEvT1_
	.p2align	8
	.type	_ZN7rocprim17ROCPRIM_400000_NS6detail17trampoline_kernelINS0_14default_configENS1_25transform_config_selectorIsLb0EEEZNS1_14transform_implILb0ES3_S5_NS0_18transform_iteratorINS0_17counting_iteratorImlEEZNS1_24adjacent_difference_implIS3_Lb1ELb0EPsSB_N6thrust23THRUST_200600_302600_NS5minusIsEEEE10hipError_tPvRmT2_T3_mT4_P12ihipStream_tbEUlmE_sEESB_NS0_8identityIvEEEESG_SJ_SK_mSL_SN_bEUlT_E_NS1_11comp_targetILNS1_3genE3ELNS1_11target_archE908ELNS1_3gpuE7ELNS1_3repE0EEENS1_30default_config_static_selectorELNS0_4arch9wavefront6targetE1EEEvT1_,@function
_ZN7rocprim17ROCPRIM_400000_NS6detail17trampoline_kernelINS0_14default_configENS1_25transform_config_selectorIsLb0EEEZNS1_14transform_implILb0ES3_S5_NS0_18transform_iteratorINS0_17counting_iteratorImlEEZNS1_24adjacent_difference_implIS3_Lb1ELb0EPsSB_N6thrust23THRUST_200600_302600_NS5minusIsEEEE10hipError_tPvRmT2_T3_mT4_P12ihipStream_tbEUlmE_sEESB_NS0_8identityIvEEEESG_SJ_SK_mSL_SN_bEUlT_E_NS1_11comp_targetILNS1_3genE3ELNS1_11target_archE908ELNS1_3gpuE7ELNS1_3repE0EEENS1_30default_config_static_selectorELNS0_4arch9wavefront6targetE1EEEvT1_: ; @_ZN7rocprim17ROCPRIM_400000_NS6detail17trampoline_kernelINS0_14default_configENS1_25transform_config_selectorIsLb0EEEZNS1_14transform_implILb0ES3_S5_NS0_18transform_iteratorINS0_17counting_iteratorImlEEZNS1_24adjacent_difference_implIS3_Lb1ELb0EPsSB_N6thrust23THRUST_200600_302600_NS5minusIsEEEE10hipError_tPvRmT2_T3_mT4_P12ihipStream_tbEUlmE_sEESB_NS0_8identityIvEEEESG_SJ_SK_mSL_SN_bEUlT_E_NS1_11comp_targetILNS1_3genE3ELNS1_11target_archE908ELNS1_3gpuE7ELNS1_3repE0EEENS1_30default_config_static_selectorELNS0_4arch9wavefront6targetE1EEEvT1_
; %bb.0:
	.section	.rodata,"a",@progbits
	.p2align	6, 0x0
	.amdhsa_kernel _ZN7rocprim17ROCPRIM_400000_NS6detail17trampoline_kernelINS0_14default_configENS1_25transform_config_selectorIsLb0EEEZNS1_14transform_implILb0ES3_S5_NS0_18transform_iteratorINS0_17counting_iteratorImlEEZNS1_24adjacent_difference_implIS3_Lb1ELb0EPsSB_N6thrust23THRUST_200600_302600_NS5minusIsEEEE10hipError_tPvRmT2_T3_mT4_P12ihipStream_tbEUlmE_sEESB_NS0_8identityIvEEEESG_SJ_SK_mSL_SN_bEUlT_E_NS1_11comp_targetILNS1_3genE3ELNS1_11target_archE908ELNS1_3gpuE7ELNS1_3repE0EEENS1_30default_config_static_selectorELNS0_4arch9wavefront6targetE1EEEvT1_
		.amdhsa_group_segment_fixed_size 0
		.amdhsa_private_segment_fixed_size 0
		.amdhsa_kernarg_size 56
		.amdhsa_user_sgpr_count 2
		.amdhsa_user_sgpr_dispatch_ptr 0
		.amdhsa_user_sgpr_queue_ptr 0
		.amdhsa_user_sgpr_kernarg_segment_ptr 1
		.amdhsa_user_sgpr_dispatch_id 0
		.amdhsa_user_sgpr_kernarg_preload_length 0
		.amdhsa_user_sgpr_kernarg_preload_offset 0
		.amdhsa_user_sgpr_private_segment_size 0
		.amdhsa_uses_dynamic_stack 0
		.amdhsa_enable_private_segment 0
		.amdhsa_system_sgpr_workgroup_id_x 1
		.amdhsa_system_sgpr_workgroup_id_y 0
		.amdhsa_system_sgpr_workgroup_id_z 0
		.amdhsa_system_sgpr_workgroup_info 0
		.amdhsa_system_vgpr_workitem_id 0
		.amdhsa_next_free_vgpr 1
		.amdhsa_next_free_sgpr 0
		.amdhsa_accum_offset 4
		.amdhsa_reserve_vcc 0
		.amdhsa_float_round_mode_32 0
		.amdhsa_float_round_mode_16_64 0
		.amdhsa_float_denorm_mode_32 3
		.amdhsa_float_denorm_mode_16_64 3
		.amdhsa_dx10_clamp 1
		.amdhsa_ieee_mode 1
		.amdhsa_fp16_overflow 0
		.amdhsa_tg_split 0
		.amdhsa_exception_fp_ieee_invalid_op 0
		.amdhsa_exception_fp_denorm_src 0
		.amdhsa_exception_fp_ieee_div_zero 0
		.amdhsa_exception_fp_ieee_overflow 0
		.amdhsa_exception_fp_ieee_underflow 0
		.amdhsa_exception_fp_ieee_inexact 0
		.amdhsa_exception_int_div_zero 0
	.end_amdhsa_kernel
	.section	.text._ZN7rocprim17ROCPRIM_400000_NS6detail17trampoline_kernelINS0_14default_configENS1_25transform_config_selectorIsLb0EEEZNS1_14transform_implILb0ES3_S5_NS0_18transform_iteratorINS0_17counting_iteratorImlEEZNS1_24adjacent_difference_implIS3_Lb1ELb0EPsSB_N6thrust23THRUST_200600_302600_NS5minusIsEEEE10hipError_tPvRmT2_T3_mT4_P12ihipStream_tbEUlmE_sEESB_NS0_8identityIvEEEESG_SJ_SK_mSL_SN_bEUlT_E_NS1_11comp_targetILNS1_3genE3ELNS1_11target_archE908ELNS1_3gpuE7ELNS1_3repE0EEENS1_30default_config_static_selectorELNS0_4arch9wavefront6targetE1EEEvT1_,"axG",@progbits,_ZN7rocprim17ROCPRIM_400000_NS6detail17trampoline_kernelINS0_14default_configENS1_25transform_config_selectorIsLb0EEEZNS1_14transform_implILb0ES3_S5_NS0_18transform_iteratorINS0_17counting_iteratorImlEEZNS1_24adjacent_difference_implIS3_Lb1ELb0EPsSB_N6thrust23THRUST_200600_302600_NS5minusIsEEEE10hipError_tPvRmT2_T3_mT4_P12ihipStream_tbEUlmE_sEESB_NS0_8identityIvEEEESG_SJ_SK_mSL_SN_bEUlT_E_NS1_11comp_targetILNS1_3genE3ELNS1_11target_archE908ELNS1_3gpuE7ELNS1_3repE0EEENS1_30default_config_static_selectorELNS0_4arch9wavefront6targetE1EEEvT1_,comdat
.Lfunc_end63:
	.size	_ZN7rocprim17ROCPRIM_400000_NS6detail17trampoline_kernelINS0_14default_configENS1_25transform_config_selectorIsLb0EEEZNS1_14transform_implILb0ES3_S5_NS0_18transform_iteratorINS0_17counting_iteratorImlEEZNS1_24adjacent_difference_implIS3_Lb1ELb0EPsSB_N6thrust23THRUST_200600_302600_NS5minusIsEEEE10hipError_tPvRmT2_T3_mT4_P12ihipStream_tbEUlmE_sEESB_NS0_8identityIvEEEESG_SJ_SK_mSL_SN_bEUlT_E_NS1_11comp_targetILNS1_3genE3ELNS1_11target_archE908ELNS1_3gpuE7ELNS1_3repE0EEENS1_30default_config_static_selectorELNS0_4arch9wavefront6targetE1EEEvT1_, .Lfunc_end63-_ZN7rocprim17ROCPRIM_400000_NS6detail17trampoline_kernelINS0_14default_configENS1_25transform_config_selectorIsLb0EEEZNS1_14transform_implILb0ES3_S5_NS0_18transform_iteratorINS0_17counting_iteratorImlEEZNS1_24adjacent_difference_implIS3_Lb1ELb0EPsSB_N6thrust23THRUST_200600_302600_NS5minusIsEEEE10hipError_tPvRmT2_T3_mT4_P12ihipStream_tbEUlmE_sEESB_NS0_8identityIvEEEESG_SJ_SK_mSL_SN_bEUlT_E_NS1_11comp_targetILNS1_3genE3ELNS1_11target_archE908ELNS1_3gpuE7ELNS1_3repE0EEENS1_30default_config_static_selectorELNS0_4arch9wavefront6targetE1EEEvT1_
                                        ; -- End function
	.section	.AMDGPU.csdata,"",@progbits
; Kernel info:
; codeLenInByte = 0
; NumSgprs: 6
; NumVgprs: 0
; NumAgprs: 0
; TotalNumVgprs: 0
; ScratchSize: 0
; MemoryBound: 0
; FloatMode: 240
; IeeeMode: 1
; LDSByteSize: 0 bytes/workgroup (compile time only)
; SGPRBlocks: 0
; VGPRBlocks: 0
; NumSGPRsForWavesPerEU: 6
; NumVGPRsForWavesPerEU: 1
; AccumOffset: 4
; Occupancy: 8
; WaveLimiterHint : 0
; COMPUTE_PGM_RSRC2:SCRATCH_EN: 0
; COMPUTE_PGM_RSRC2:USER_SGPR: 2
; COMPUTE_PGM_RSRC2:TRAP_HANDLER: 0
; COMPUTE_PGM_RSRC2:TGID_X_EN: 1
; COMPUTE_PGM_RSRC2:TGID_Y_EN: 0
; COMPUTE_PGM_RSRC2:TGID_Z_EN: 0
; COMPUTE_PGM_RSRC2:TIDIG_COMP_CNT: 0
; COMPUTE_PGM_RSRC3_GFX90A:ACCUM_OFFSET: 0
; COMPUTE_PGM_RSRC3_GFX90A:TG_SPLIT: 0
	.section	.text._ZN7rocprim17ROCPRIM_400000_NS6detail17trampoline_kernelINS0_14default_configENS1_25transform_config_selectorIsLb0EEEZNS1_14transform_implILb0ES3_S5_NS0_18transform_iteratorINS0_17counting_iteratorImlEEZNS1_24adjacent_difference_implIS3_Lb1ELb0EPsSB_N6thrust23THRUST_200600_302600_NS5minusIsEEEE10hipError_tPvRmT2_T3_mT4_P12ihipStream_tbEUlmE_sEESB_NS0_8identityIvEEEESG_SJ_SK_mSL_SN_bEUlT_E_NS1_11comp_targetILNS1_3genE2ELNS1_11target_archE906ELNS1_3gpuE6ELNS1_3repE0EEENS1_30default_config_static_selectorELNS0_4arch9wavefront6targetE1EEEvT1_,"axG",@progbits,_ZN7rocprim17ROCPRIM_400000_NS6detail17trampoline_kernelINS0_14default_configENS1_25transform_config_selectorIsLb0EEEZNS1_14transform_implILb0ES3_S5_NS0_18transform_iteratorINS0_17counting_iteratorImlEEZNS1_24adjacent_difference_implIS3_Lb1ELb0EPsSB_N6thrust23THRUST_200600_302600_NS5minusIsEEEE10hipError_tPvRmT2_T3_mT4_P12ihipStream_tbEUlmE_sEESB_NS0_8identityIvEEEESG_SJ_SK_mSL_SN_bEUlT_E_NS1_11comp_targetILNS1_3genE2ELNS1_11target_archE906ELNS1_3gpuE6ELNS1_3repE0EEENS1_30default_config_static_selectorELNS0_4arch9wavefront6targetE1EEEvT1_,comdat
	.protected	_ZN7rocprim17ROCPRIM_400000_NS6detail17trampoline_kernelINS0_14default_configENS1_25transform_config_selectorIsLb0EEEZNS1_14transform_implILb0ES3_S5_NS0_18transform_iteratorINS0_17counting_iteratorImlEEZNS1_24adjacent_difference_implIS3_Lb1ELb0EPsSB_N6thrust23THRUST_200600_302600_NS5minusIsEEEE10hipError_tPvRmT2_T3_mT4_P12ihipStream_tbEUlmE_sEESB_NS0_8identityIvEEEESG_SJ_SK_mSL_SN_bEUlT_E_NS1_11comp_targetILNS1_3genE2ELNS1_11target_archE906ELNS1_3gpuE6ELNS1_3repE0EEENS1_30default_config_static_selectorELNS0_4arch9wavefront6targetE1EEEvT1_ ; -- Begin function _ZN7rocprim17ROCPRIM_400000_NS6detail17trampoline_kernelINS0_14default_configENS1_25transform_config_selectorIsLb0EEEZNS1_14transform_implILb0ES3_S5_NS0_18transform_iteratorINS0_17counting_iteratorImlEEZNS1_24adjacent_difference_implIS3_Lb1ELb0EPsSB_N6thrust23THRUST_200600_302600_NS5minusIsEEEE10hipError_tPvRmT2_T3_mT4_P12ihipStream_tbEUlmE_sEESB_NS0_8identityIvEEEESG_SJ_SK_mSL_SN_bEUlT_E_NS1_11comp_targetILNS1_3genE2ELNS1_11target_archE906ELNS1_3gpuE6ELNS1_3repE0EEENS1_30default_config_static_selectorELNS0_4arch9wavefront6targetE1EEEvT1_
	.globl	_ZN7rocprim17ROCPRIM_400000_NS6detail17trampoline_kernelINS0_14default_configENS1_25transform_config_selectorIsLb0EEEZNS1_14transform_implILb0ES3_S5_NS0_18transform_iteratorINS0_17counting_iteratorImlEEZNS1_24adjacent_difference_implIS3_Lb1ELb0EPsSB_N6thrust23THRUST_200600_302600_NS5minusIsEEEE10hipError_tPvRmT2_T3_mT4_P12ihipStream_tbEUlmE_sEESB_NS0_8identityIvEEEESG_SJ_SK_mSL_SN_bEUlT_E_NS1_11comp_targetILNS1_3genE2ELNS1_11target_archE906ELNS1_3gpuE6ELNS1_3repE0EEENS1_30default_config_static_selectorELNS0_4arch9wavefront6targetE1EEEvT1_
	.p2align	8
	.type	_ZN7rocprim17ROCPRIM_400000_NS6detail17trampoline_kernelINS0_14default_configENS1_25transform_config_selectorIsLb0EEEZNS1_14transform_implILb0ES3_S5_NS0_18transform_iteratorINS0_17counting_iteratorImlEEZNS1_24adjacent_difference_implIS3_Lb1ELb0EPsSB_N6thrust23THRUST_200600_302600_NS5minusIsEEEE10hipError_tPvRmT2_T3_mT4_P12ihipStream_tbEUlmE_sEESB_NS0_8identityIvEEEESG_SJ_SK_mSL_SN_bEUlT_E_NS1_11comp_targetILNS1_3genE2ELNS1_11target_archE906ELNS1_3gpuE6ELNS1_3repE0EEENS1_30default_config_static_selectorELNS0_4arch9wavefront6targetE1EEEvT1_,@function
_ZN7rocprim17ROCPRIM_400000_NS6detail17trampoline_kernelINS0_14default_configENS1_25transform_config_selectorIsLb0EEEZNS1_14transform_implILb0ES3_S5_NS0_18transform_iteratorINS0_17counting_iteratorImlEEZNS1_24adjacent_difference_implIS3_Lb1ELb0EPsSB_N6thrust23THRUST_200600_302600_NS5minusIsEEEE10hipError_tPvRmT2_T3_mT4_P12ihipStream_tbEUlmE_sEESB_NS0_8identityIvEEEESG_SJ_SK_mSL_SN_bEUlT_E_NS1_11comp_targetILNS1_3genE2ELNS1_11target_archE906ELNS1_3gpuE6ELNS1_3repE0EEENS1_30default_config_static_selectorELNS0_4arch9wavefront6targetE1EEEvT1_: ; @_ZN7rocprim17ROCPRIM_400000_NS6detail17trampoline_kernelINS0_14default_configENS1_25transform_config_selectorIsLb0EEEZNS1_14transform_implILb0ES3_S5_NS0_18transform_iteratorINS0_17counting_iteratorImlEEZNS1_24adjacent_difference_implIS3_Lb1ELb0EPsSB_N6thrust23THRUST_200600_302600_NS5minusIsEEEE10hipError_tPvRmT2_T3_mT4_P12ihipStream_tbEUlmE_sEESB_NS0_8identityIvEEEESG_SJ_SK_mSL_SN_bEUlT_E_NS1_11comp_targetILNS1_3genE2ELNS1_11target_archE906ELNS1_3gpuE6ELNS1_3repE0EEENS1_30default_config_static_selectorELNS0_4arch9wavefront6targetE1EEEvT1_
; %bb.0:
	.section	.rodata,"a",@progbits
	.p2align	6, 0x0
	.amdhsa_kernel _ZN7rocprim17ROCPRIM_400000_NS6detail17trampoline_kernelINS0_14default_configENS1_25transform_config_selectorIsLb0EEEZNS1_14transform_implILb0ES3_S5_NS0_18transform_iteratorINS0_17counting_iteratorImlEEZNS1_24adjacent_difference_implIS3_Lb1ELb0EPsSB_N6thrust23THRUST_200600_302600_NS5minusIsEEEE10hipError_tPvRmT2_T3_mT4_P12ihipStream_tbEUlmE_sEESB_NS0_8identityIvEEEESG_SJ_SK_mSL_SN_bEUlT_E_NS1_11comp_targetILNS1_3genE2ELNS1_11target_archE906ELNS1_3gpuE6ELNS1_3repE0EEENS1_30default_config_static_selectorELNS0_4arch9wavefront6targetE1EEEvT1_
		.amdhsa_group_segment_fixed_size 0
		.amdhsa_private_segment_fixed_size 0
		.amdhsa_kernarg_size 56
		.amdhsa_user_sgpr_count 2
		.amdhsa_user_sgpr_dispatch_ptr 0
		.amdhsa_user_sgpr_queue_ptr 0
		.amdhsa_user_sgpr_kernarg_segment_ptr 1
		.amdhsa_user_sgpr_dispatch_id 0
		.amdhsa_user_sgpr_kernarg_preload_length 0
		.amdhsa_user_sgpr_kernarg_preload_offset 0
		.amdhsa_user_sgpr_private_segment_size 0
		.amdhsa_uses_dynamic_stack 0
		.amdhsa_enable_private_segment 0
		.amdhsa_system_sgpr_workgroup_id_x 1
		.amdhsa_system_sgpr_workgroup_id_y 0
		.amdhsa_system_sgpr_workgroup_id_z 0
		.amdhsa_system_sgpr_workgroup_info 0
		.amdhsa_system_vgpr_workitem_id 0
		.amdhsa_next_free_vgpr 1
		.amdhsa_next_free_sgpr 0
		.amdhsa_accum_offset 4
		.amdhsa_reserve_vcc 0
		.amdhsa_float_round_mode_32 0
		.amdhsa_float_round_mode_16_64 0
		.amdhsa_float_denorm_mode_32 3
		.amdhsa_float_denorm_mode_16_64 3
		.amdhsa_dx10_clamp 1
		.amdhsa_ieee_mode 1
		.amdhsa_fp16_overflow 0
		.amdhsa_tg_split 0
		.amdhsa_exception_fp_ieee_invalid_op 0
		.amdhsa_exception_fp_denorm_src 0
		.amdhsa_exception_fp_ieee_div_zero 0
		.amdhsa_exception_fp_ieee_overflow 0
		.amdhsa_exception_fp_ieee_underflow 0
		.amdhsa_exception_fp_ieee_inexact 0
		.amdhsa_exception_int_div_zero 0
	.end_amdhsa_kernel
	.section	.text._ZN7rocprim17ROCPRIM_400000_NS6detail17trampoline_kernelINS0_14default_configENS1_25transform_config_selectorIsLb0EEEZNS1_14transform_implILb0ES3_S5_NS0_18transform_iteratorINS0_17counting_iteratorImlEEZNS1_24adjacent_difference_implIS3_Lb1ELb0EPsSB_N6thrust23THRUST_200600_302600_NS5minusIsEEEE10hipError_tPvRmT2_T3_mT4_P12ihipStream_tbEUlmE_sEESB_NS0_8identityIvEEEESG_SJ_SK_mSL_SN_bEUlT_E_NS1_11comp_targetILNS1_3genE2ELNS1_11target_archE906ELNS1_3gpuE6ELNS1_3repE0EEENS1_30default_config_static_selectorELNS0_4arch9wavefront6targetE1EEEvT1_,"axG",@progbits,_ZN7rocprim17ROCPRIM_400000_NS6detail17trampoline_kernelINS0_14default_configENS1_25transform_config_selectorIsLb0EEEZNS1_14transform_implILb0ES3_S5_NS0_18transform_iteratorINS0_17counting_iteratorImlEEZNS1_24adjacent_difference_implIS3_Lb1ELb0EPsSB_N6thrust23THRUST_200600_302600_NS5minusIsEEEE10hipError_tPvRmT2_T3_mT4_P12ihipStream_tbEUlmE_sEESB_NS0_8identityIvEEEESG_SJ_SK_mSL_SN_bEUlT_E_NS1_11comp_targetILNS1_3genE2ELNS1_11target_archE906ELNS1_3gpuE6ELNS1_3repE0EEENS1_30default_config_static_selectorELNS0_4arch9wavefront6targetE1EEEvT1_,comdat
.Lfunc_end64:
	.size	_ZN7rocprim17ROCPRIM_400000_NS6detail17trampoline_kernelINS0_14default_configENS1_25transform_config_selectorIsLb0EEEZNS1_14transform_implILb0ES3_S5_NS0_18transform_iteratorINS0_17counting_iteratorImlEEZNS1_24adjacent_difference_implIS3_Lb1ELb0EPsSB_N6thrust23THRUST_200600_302600_NS5minusIsEEEE10hipError_tPvRmT2_T3_mT4_P12ihipStream_tbEUlmE_sEESB_NS0_8identityIvEEEESG_SJ_SK_mSL_SN_bEUlT_E_NS1_11comp_targetILNS1_3genE2ELNS1_11target_archE906ELNS1_3gpuE6ELNS1_3repE0EEENS1_30default_config_static_selectorELNS0_4arch9wavefront6targetE1EEEvT1_, .Lfunc_end64-_ZN7rocprim17ROCPRIM_400000_NS6detail17trampoline_kernelINS0_14default_configENS1_25transform_config_selectorIsLb0EEEZNS1_14transform_implILb0ES3_S5_NS0_18transform_iteratorINS0_17counting_iteratorImlEEZNS1_24adjacent_difference_implIS3_Lb1ELb0EPsSB_N6thrust23THRUST_200600_302600_NS5minusIsEEEE10hipError_tPvRmT2_T3_mT4_P12ihipStream_tbEUlmE_sEESB_NS0_8identityIvEEEESG_SJ_SK_mSL_SN_bEUlT_E_NS1_11comp_targetILNS1_3genE2ELNS1_11target_archE906ELNS1_3gpuE6ELNS1_3repE0EEENS1_30default_config_static_selectorELNS0_4arch9wavefront6targetE1EEEvT1_
                                        ; -- End function
	.section	.AMDGPU.csdata,"",@progbits
; Kernel info:
; codeLenInByte = 0
; NumSgprs: 6
; NumVgprs: 0
; NumAgprs: 0
; TotalNumVgprs: 0
; ScratchSize: 0
; MemoryBound: 0
; FloatMode: 240
; IeeeMode: 1
; LDSByteSize: 0 bytes/workgroup (compile time only)
; SGPRBlocks: 0
; VGPRBlocks: 0
; NumSGPRsForWavesPerEU: 6
; NumVGPRsForWavesPerEU: 1
; AccumOffset: 4
; Occupancy: 8
; WaveLimiterHint : 0
; COMPUTE_PGM_RSRC2:SCRATCH_EN: 0
; COMPUTE_PGM_RSRC2:USER_SGPR: 2
; COMPUTE_PGM_RSRC2:TRAP_HANDLER: 0
; COMPUTE_PGM_RSRC2:TGID_X_EN: 1
; COMPUTE_PGM_RSRC2:TGID_Y_EN: 0
; COMPUTE_PGM_RSRC2:TGID_Z_EN: 0
; COMPUTE_PGM_RSRC2:TIDIG_COMP_CNT: 0
; COMPUTE_PGM_RSRC3_GFX90A:ACCUM_OFFSET: 0
; COMPUTE_PGM_RSRC3_GFX90A:TG_SPLIT: 0
	.section	.text._ZN7rocprim17ROCPRIM_400000_NS6detail17trampoline_kernelINS0_14default_configENS1_25transform_config_selectorIsLb0EEEZNS1_14transform_implILb0ES3_S5_NS0_18transform_iteratorINS0_17counting_iteratorImlEEZNS1_24adjacent_difference_implIS3_Lb1ELb0EPsSB_N6thrust23THRUST_200600_302600_NS5minusIsEEEE10hipError_tPvRmT2_T3_mT4_P12ihipStream_tbEUlmE_sEESB_NS0_8identityIvEEEESG_SJ_SK_mSL_SN_bEUlT_E_NS1_11comp_targetILNS1_3genE10ELNS1_11target_archE1201ELNS1_3gpuE5ELNS1_3repE0EEENS1_30default_config_static_selectorELNS0_4arch9wavefront6targetE1EEEvT1_,"axG",@progbits,_ZN7rocprim17ROCPRIM_400000_NS6detail17trampoline_kernelINS0_14default_configENS1_25transform_config_selectorIsLb0EEEZNS1_14transform_implILb0ES3_S5_NS0_18transform_iteratorINS0_17counting_iteratorImlEEZNS1_24adjacent_difference_implIS3_Lb1ELb0EPsSB_N6thrust23THRUST_200600_302600_NS5minusIsEEEE10hipError_tPvRmT2_T3_mT4_P12ihipStream_tbEUlmE_sEESB_NS0_8identityIvEEEESG_SJ_SK_mSL_SN_bEUlT_E_NS1_11comp_targetILNS1_3genE10ELNS1_11target_archE1201ELNS1_3gpuE5ELNS1_3repE0EEENS1_30default_config_static_selectorELNS0_4arch9wavefront6targetE1EEEvT1_,comdat
	.protected	_ZN7rocprim17ROCPRIM_400000_NS6detail17trampoline_kernelINS0_14default_configENS1_25transform_config_selectorIsLb0EEEZNS1_14transform_implILb0ES3_S5_NS0_18transform_iteratorINS0_17counting_iteratorImlEEZNS1_24adjacent_difference_implIS3_Lb1ELb0EPsSB_N6thrust23THRUST_200600_302600_NS5minusIsEEEE10hipError_tPvRmT2_T3_mT4_P12ihipStream_tbEUlmE_sEESB_NS0_8identityIvEEEESG_SJ_SK_mSL_SN_bEUlT_E_NS1_11comp_targetILNS1_3genE10ELNS1_11target_archE1201ELNS1_3gpuE5ELNS1_3repE0EEENS1_30default_config_static_selectorELNS0_4arch9wavefront6targetE1EEEvT1_ ; -- Begin function _ZN7rocprim17ROCPRIM_400000_NS6detail17trampoline_kernelINS0_14default_configENS1_25transform_config_selectorIsLb0EEEZNS1_14transform_implILb0ES3_S5_NS0_18transform_iteratorINS0_17counting_iteratorImlEEZNS1_24adjacent_difference_implIS3_Lb1ELb0EPsSB_N6thrust23THRUST_200600_302600_NS5minusIsEEEE10hipError_tPvRmT2_T3_mT4_P12ihipStream_tbEUlmE_sEESB_NS0_8identityIvEEEESG_SJ_SK_mSL_SN_bEUlT_E_NS1_11comp_targetILNS1_3genE10ELNS1_11target_archE1201ELNS1_3gpuE5ELNS1_3repE0EEENS1_30default_config_static_selectorELNS0_4arch9wavefront6targetE1EEEvT1_
	.globl	_ZN7rocprim17ROCPRIM_400000_NS6detail17trampoline_kernelINS0_14default_configENS1_25transform_config_selectorIsLb0EEEZNS1_14transform_implILb0ES3_S5_NS0_18transform_iteratorINS0_17counting_iteratorImlEEZNS1_24adjacent_difference_implIS3_Lb1ELb0EPsSB_N6thrust23THRUST_200600_302600_NS5minusIsEEEE10hipError_tPvRmT2_T3_mT4_P12ihipStream_tbEUlmE_sEESB_NS0_8identityIvEEEESG_SJ_SK_mSL_SN_bEUlT_E_NS1_11comp_targetILNS1_3genE10ELNS1_11target_archE1201ELNS1_3gpuE5ELNS1_3repE0EEENS1_30default_config_static_selectorELNS0_4arch9wavefront6targetE1EEEvT1_
	.p2align	8
	.type	_ZN7rocprim17ROCPRIM_400000_NS6detail17trampoline_kernelINS0_14default_configENS1_25transform_config_selectorIsLb0EEEZNS1_14transform_implILb0ES3_S5_NS0_18transform_iteratorINS0_17counting_iteratorImlEEZNS1_24adjacent_difference_implIS3_Lb1ELb0EPsSB_N6thrust23THRUST_200600_302600_NS5minusIsEEEE10hipError_tPvRmT2_T3_mT4_P12ihipStream_tbEUlmE_sEESB_NS0_8identityIvEEEESG_SJ_SK_mSL_SN_bEUlT_E_NS1_11comp_targetILNS1_3genE10ELNS1_11target_archE1201ELNS1_3gpuE5ELNS1_3repE0EEENS1_30default_config_static_selectorELNS0_4arch9wavefront6targetE1EEEvT1_,@function
_ZN7rocprim17ROCPRIM_400000_NS6detail17trampoline_kernelINS0_14default_configENS1_25transform_config_selectorIsLb0EEEZNS1_14transform_implILb0ES3_S5_NS0_18transform_iteratorINS0_17counting_iteratorImlEEZNS1_24adjacent_difference_implIS3_Lb1ELb0EPsSB_N6thrust23THRUST_200600_302600_NS5minusIsEEEE10hipError_tPvRmT2_T3_mT4_P12ihipStream_tbEUlmE_sEESB_NS0_8identityIvEEEESG_SJ_SK_mSL_SN_bEUlT_E_NS1_11comp_targetILNS1_3genE10ELNS1_11target_archE1201ELNS1_3gpuE5ELNS1_3repE0EEENS1_30default_config_static_selectorELNS0_4arch9wavefront6targetE1EEEvT1_: ; @_ZN7rocprim17ROCPRIM_400000_NS6detail17trampoline_kernelINS0_14default_configENS1_25transform_config_selectorIsLb0EEEZNS1_14transform_implILb0ES3_S5_NS0_18transform_iteratorINS0_17counting_iteratorImlEEZNS1_24adjacent_difference_implIS3_Lb1ELb0EPsSB_N6thrust23THRUST_200600_302600_NS5minusIsEEEE10hipError_tPvRmT2_T3_mT4_P12ihipStream_tbEUlmE_sEESB_NS0_8identityIvEEEESG_SJ_SK_mSL_SN_bEUlT_E_NS1_11comp_targetILNS1_3genE10ELNS1_11target_archE1201ELNS1_3gpuE5ELNS1_3repE0EEENS1_30default_config_static_selectorELNS0_4arch9wavefront6targetE1EEEvT1_
; %bb.0:
	.section	.rodata,"a",@progbits
	.p2align	6, 0x0
	.amdhsa_kernel _ZN7rocprim17ROCPRIM_400000_NS6detail17trampoline_kernelINS0_14default_configENS1_25transform_config_selectorIsLb0EEEZNS1_14transform_implILb0ES3_S5_NS0_18transform_iteratorINS0_17counting_iteratorImlEEZNS1_24adjacent_difference_implIS3_Lb1ELb0EPsSB_N6thrust23THRUST_200600_302600_NS5minusIsEEEE10hipError_tPvRmT2_T3_mT4_P12ihipStream_tbEUlmE_sEESB_NS0_8identityIvEEEESG_SJ_SK_mSL_SN_bEUlT_E_NS1_11comp_targetILNS1_3genE10ELNS1_11target_archE1201ELNS1_3gpuE5ELNS1_3repE0EEENS1_30default_config_static_selectorELNS0_4arch9wavefront6targetE1EEEvT1_
		.amdhsa_group_segment_fixed_size 0
		.amdhsa_private_segment_fixed_size 0
		.amdhsa_kernarg_size 56
		.amdhsa_user_sgpr_count 2
		.amdhsa_user_sgpr_dispatch_ptr 0
		.amdhsa_user_sgpr_queue_ptr 0
		.amdhsa_user_sgpr_kernarg_segment_ptr 1
		.amdhsa_user_sgpr_dispatch_id 0
		.amdhsa_user_sgpr_kernarg_preload_length 0
		.amdhsa_user_sgpr_kernarg_preload_offset 0
		.amdhsa_user_sgpr_private_segment_size 0
		.amdhsa_uses_dynamic_stack 0
		.amdhsa_enable_private_segment 0
		.amdhsa_system_sgpr_workgroup_id_x 1
		.amdhsa_system_sgpr_workgroup_id_y 0
		.amdhsa_system_sgpr_workgroup_id_z 0
		.amdhsa_system_sgpr_workgroup_info 0
		.amdhsa_system_vgpr_workitem_id 0
		.amdhsa_next_free_vgpr 1
		.amdhsa_next_free_sgpr 0
		.amdhsa_accum_offset 4
		.amdhsa_reserve_vcc 0
		.amdhsa_float_round_mode_32 0
		.amdhsa_float_round_mode_16_64 0
		.amdhsa_float_denorm_mode_32 3
		.amdhsa_float_denorm_mode_16_64 3
		.amdhsa_dx10_clamp 1
		.amdhsa_ieee_mode 1
		.amdhsa_fp16_overflow 0
		.amdhsa_tg_split 0
		.amdhsa_exception_fp_ieee_invalid_op 0
		.amdhsa_exception_fp_denorm_src 0
		.amdhsa_exception_fp_ieee_div_zero 0
		.amdhsa_exception_fp_ieee_overflow 0
		.amdhsa_exception_fp_ieee_underflow 0
		.amdhsa_exception_fp_ieee_inexact 0
		.amdhsa_exception_int_div_zero 0
	.end_amdhsa_kernel
	.section	.text._ZN7rocprim17ROCPRIM_400000_NS6detail17trampoline_kernelINS0_14default_configENS1_25transform_config_selectorIsLb0EEEZNS1_14transform_implILb0ES3_S5_NS0_18transform_iteratorINS0_17counting_iteratorImlEEZNS1_24adjacent_difference_implIS3_Lb1ELb0EPsSB_N6thrust23THRUST_200600_302600_NS5minusIsEEEE10hipError_tPvRmT2_T3_mT4_P12ihipStream_tbEUlmE_sEESB_NS0_8identityIvEEEESG_SJ_SK_mSL_SN_bEUlT_E_NS1_11comp_targetILNS1_3genE10ELNS1_11target_archE1201ELNS1_3gpuE5ELNS1_3repE0EEENS1_30default_config_static_selectorELNS0_4arch9wavefront6targetE1EEEvT1_,"axG",@progbits,_ZN7rocprim17ROCPRIM_400000_NS6detail17trampoline_kernelINS0_14default_configENS1_25transform_config_selectorIsLb0EEEZNS1_14transform_implILb0ES3_S5_NS0_18transform_iteratorINS0_17counting_iteratorImlEEZNS1_24adjacent_difference_implIS3_Lb1ELb0EPsSB_N6thrust23THRUST_200600_302600_NS5minusIsEEEE10hipError_tPvRmT2_T3_mT4_P12ihipStream_tbEUlmE_sEESB_NS0_8identityIvEEEESG_SJ_SK_mSL_SN_bEUlT_E_NS1_11comp_targetILNS1_3genE10ELNS1_11target_archE1201ELNS1_3gpuE5ELNS1_3repE0EEENS1_30default_config_static_selectorELNS0_4arch9wavefront6targetE1EEEvT1_,comdat
.Lfunc_end65:
	.size	_ZN7rocprim17ROCPRIM_400000_NS6detail17trampoline_kernelINS0_14default_configENS1_25transform_config_selectorIsLb0EEEZNS1_14transform_implILb0ES3_S5_NS0_18transform_iteratorINS0_17counting_iteratorImlEEZNS1_24adjacent_difference_implIS3_Lb1ELb0EPsSB_N6thrust23THRUST_200600_302600_NS5minusIsEEEE10hipError_tPvRmT2_T3_mT4_P12ihipStream_tbEUlmE_sEESB_NS0_8identityIvEEEESG_SJ_SK_mSL_SN_bEUlT_E_NS1_11comp_targetILNS1_3genE10ELNS1_11target_archE1201ELNS1_3gpuE5ELNS1_3repE0EEENS1_30default_config_static_selectorELNS0_4arch9wavefront6targetE1EEEvT1_, .Lfunc_end65-_ZN7rocprim17ROCPRIM_400000_NS6detail17trampoline_kernelINS0_14default_configENS1_25transform_config_selectorIsLb0EEEZNS1_14transform_implILb0ES3_S5_NS0_18transform_iteratorINS0_17counting_iteratorImlEEZNS1_24adjacent_difference_implIS3_Lb1ELb0EPsSB_N6thrust23THRUST_200600_302600_NS5minusIsEEEE10hipError_tPvRmT2_T3_mT4_P12ihipStream_tbEUlmE_sEESB_NS0_8identityIvEEEESG_SJ_SK_mSL_SN_bEUlT_E_NS1_11comp_targetILNS1_3genE10ELNS1_11target_archE1201ELNS1_3gpuE5ELNS1_3repE0EEENS1_30default_config_static_selectorELNS0_4arch9wavefront6targetE1EEEvT1_
                                        ; -- End function
	.section	.AMDGPU.csdata,"",@progbits
; Kernel info:
; codeLenInByte = 0
; NumSgprs: 6
; NumVgprs: 0
; NumAgprs: 0
; TotalNumVgprs: 0
; ScratchSize: 0
; MemoryBound: 0
; FloatMode: 240
; IeeeMode: 1
; LDSByteSize: 0 bytes/workgroup (compile time only)
; SGPRBlocks: 0
; VGPRBlocks: 0
; NumSGPRsForWavesPerEU: 6
; NumVGPRsForWavesPerEU: 1
; AccumOffset: 4
; Occupancy: 8
; WaveLimiterHint : 0
; COMPUTE_PGM_RSRC2:SCRATCH_EN: 0
; COMPUTE_PGM_RSRC2:USER_SGPR: 2
; COMPUTE_PGM_RSRC2:TRAP_HANDLER: 0
; COMPUTE_PGM_RSRC2:TGID_X_EN: 1
; COMPUTE_PGM_RSRC2:TGID_Y_EN: 0
; COMPUTE_PGM_RSRC2:TGID_Z_EN: 0
; COMPUTE_PGM_RSRC2:TIDIG_COMP_CNT: 0
; COMPUTE_PGM_RSRC3_GFX90A:ACCUM_OFFSET: 0
; COMPUTE_PGM_RSRC3_GFX90A:TG_SPLIT: 0
	.section	.text._ZN7rocprim17ROCPRIM_400000_NS6detail17trampoline_kernelINS0_14default_configENS1_25transform_config_selectorIsLb0EEEZNS1_14transform_implILb0ES3_S5_NS0_18transform_iteratorINS0_17counting_iteratorImlEEZNS1_24adjacent_difference_implIS3_Lb1ELb0EPsSB_N6thrust23THRUST_200600_302600_NS5minusIsEEEE10hipError_tPvRmT2_T3_mT4_P12ihipStream_tbEUlmE_sEESB_NS0_8identityIvEEEESG_SJ_SK_mSL_SN_bEUlT_E_NS1_11comp_targetILNS1_3genE10ELNS1_11target_archE1200ELNS1_3gpuE4ELNS1_3repE0EEENS1_30default_config_static_selectorELNS0_4arch9wavefront6targetE1EEEvT1_,"axG",@progbits,_ZN7rocprim17ROCPRIM_400000_NS6detail17trampoline_kernelINS0_14default_configENS1_25transform_config_selectorIsLb0EEEZNS1_14transform_implILb0ES3_S5_NS0_18transform_iteratorINS0_17counting_iteratorImlEEZNS1_24adjacent_difference_implIS3_Lb1ELb0EPsSB_N6thrust23THRUST_200600_302600_NS5minusIsEEEE10hipError_tPvRmT2_T3_mT4_P12ihipStream_tbEUlmE_sEESB_NS0_8identityIvEEEESG_SJ_SK_mSL_SN_bEUlT_E_NS1_11comp_targetILNS1_3genE10ELNS1_11target_archE1200ELNS1_3gpuE4ELNS1_3repE0EEENS1_30default_config_static_selectorELNS0_4arch9wavefront6targetE1EEEvT1_,comdat
	.protected	_ZN7rocprim17ROCPRIM_400000_NS6detail17trampoline_kernelINS0_14default_configENS1_25transform_config_selectorIsLb0EEEZNS1_14transform_implILb0ES3_S5_NS0_18transform_iteratorINS0_17counting_iteratorImlEEZNS1_24adjacent_difference_implIS3_Lb1ELb0EPsSB_N6thrust23THRUST_200600_302600_NS5minusIsEEEE10hipError_tPvRmT2_T3_mT4_P12ihipStream_tbEUlmE_sEESB_NS0_8identityIvEEEESG_SJ_SK_mSL_SN_bEUlT_E_NS1_11comp_targetILNS1_3genE10ELNS1_11target_archE1200ELNS1_3gpuE4ELNS1_3repE0EEENS1_30default_config_static_selectorELNS0_4arch9wavefront6targetE1EEEvT1_ ; -- Begin function _ZN7rocprim17ROCPRIM_400000_NS6detail17trampoline_kernelINS0_14default_configENS1_25transform_config_selectorIsLb0EEEZNS1_14transform_implILb0ES3_S5_NS0_18transform_iteratorINS0_17counting_iteratorImlEEZNS1_24adjacent_difference_implIS3_Lb1ELb0EPsSB_N6thrust23THRUST_200600_302600_NS5minusIsEEEE10hipError_tPvRmT2_T3_mT4_P12ihipStream_tbEUlmE_sEESB_NS0_8identityIvEEEESG_SJ_SK_mSL_SN_bEUlT_E_NS1_11comp_targetILNS1_3genE10ELNS1_11target_archE1200ELNS1_3gpuE4ELNS1_3repE0EEENS1_30default_config_static_selectorELNS0_4arch9wavefront6targetE1EEEvT1_
	.globl	_ZN7rocprim17ROCPRIM_400000_NS6detail17trampoline_kernelINS0_14default_configENS1_25transform_config_selectorIsLb0EEEZNS1_14transform_implILb0ES3_S5_NS0_18transform_iteratorINS0_17counting_iteratorImlEEZNS1_24adjacent_difference_implIS3_Lb1ELb0EPsSB_N6thrust23THRUST_200600_302600_NS5minusIsEEEE10hipError_tPvRmT2_T3_mT4_P12ihipStream_tbEUlmE_sEESB_NS0_8identityIvEEEESG_SJ_SK_mSL_SN_bEUlT_E_NS1_11comp_targetILNS1_3genE10ELNS1_11target_archE1200ELNS1_3gpuE4ELNS1_3repE0EEENS1_30default_config_static_selectorELNS0_4arch9wavefront6targetE1EEEvT1_
	.p2align	8
	.type	_ZN7rocprim17ROCPRIM_400000_NS6detail17trampoline_kernelINS0_14default_configENS1_25transform_config_selectorIsLb0EEEZNS1_14transform_implILb0ES3_S5_NS0_18transform_iteratorINS0_17counting_iteratorImlEEZNS1_24adjacent_difference_implIS3_Lb1ELb0EPsSB_N6thrust23THRUST_200600_302600_NS5minusIsEEEE10hipError_tPvRmT2_T3_mT4_P12ihipStream_tbEUlmE_sEESB_NS0_8identityIvEEEESG_SJ_SK_mSL_SN_bEUlT_E_NS1_11comp_targetILNS1_3genE10ELNS1_11target_archE1200ELNS1_3gpuE4ELNS1_3repE0EEENS1_30default_config_static_selectorELNS0_4arch9wavefront6targetE1EEEvT1_,@function
_ZN7rocprim17ROCPRIM_400000_NS6detail17trampoline_kernelINS0_14default_configENS1_25transform_config_selectorIsLb0EEEZNS1_14transform_implILb0ES3_S5_NS0_18transform_iteratorINS0_17counting_iteratorImlEEZNS1_24adjacent_difference_implIS3_Lb1ELb0EPsSB_N6thrust23THRUST_200600_302600_NS5minusIsEEEE10hipError_tPvRmT2_T3_mT4_P12ihipStream_tbEUlmE_sEESB_NS0_8identityIvEEEESG_SJ_SK_mSL_SN_bEUlT_E_NS1_11comp_targetILNS1_3genE10ELNS1_11target_archE1200ELNS1_3gpuE4ELNS1_3repE0EEENS1_30default_config_static_selectorELNS0_4arch9wavefront6targetE1EEEvT1_: ; @_ZN7rocprim17ROCPRIM_400000_NS6detail17trampoline_kernelINS0_14default_configENS1_25transform_config_selectorIsLb0EEEZNS1_14transform_implILb0ES3_S5_NS0_18transform_iteratorINS0_17counting_iteratorImlEEZNS1_24adjacent_difference_implIS3_Lb1ELb0EPsSB_N6thrust23THRUST_200600_302600_NS5minusIsEEEE10hipError_tPvRmT2_T3_mT4_P12ihipStream_tbEUlmE_sEESB_NS0_8identityIvEEEESG_SJ_SK_mSL_SN_bEUlT_E_NS1_11comp_targetILNS1_3genE10ELNS1_11target_archE1200ELNS1_3gpuE4ELNS1_3repE0EEENS1_30default_config_static_selectorELNS0_4arch9wavefront6targetE1EEEvT1_
; %bb.0:
	.section	.rodata,"a",@progbits
	.p2align	6, 0x0
	.amdhsa_kernel _ZN7rocprim17ROCPRIM_400000_NS6detail17trampoline_kernelINS0_14default_configENS1_25transform_config_selectorIsLb0EEEZNS1_14transform_implILb0ES3_S5_NS0_18transform_iteratorINS0_17counting_iteratorImlEEZNS1_24adjacent_difference_implIS3_Lb1ELb0EPsSB_N6thrust23THRUST_200600_302600_NS5minusIsEEEE10hipError_tPvRmT2_T3_mT4_P12ihipStream_tbEUlmE_sEESB_NS0_8identityIvEEEESG_SJ_SK_mSL_SN_bEUlT_E_NS1_11comp_targetILNS1_3genE10ELNS1_11target_archE1200ELNS1_3gpuE4ELNS1_3repE0EEENS1_30default_config_static_selectorELNS0_4arch9wavefront6targetE1EEEvT1_
		.amdhsa_group_segment_fixed_size 0
		.amdhsa_private_segment_fixed_size 0
		.amdhsa_kernarg_size 56
		.amdhsa_user_sgpr_count 2
		.amdhsa_user_sgpr_dispatch_ptr 0
		.amdhsa_user_sgpr_queue_ptr 0
		.amdhsa_user_sgpr_kernarg_segment_ptr 1
		.amdhsa_user_sgpr_dispatch_id 0
		.amdhsa_user_sgpr_kernarg_preload_length 0
		.amdhsa_user_sgpr_kernarg_preload_offset 0
		.amdhsa_user_sgpr_private_segment_size 0
		.amdhsa_uses_dynamic_stack 0
		.amdhsa_enable_private_segment 0
		.amdhsa_system_sgpr_workgroup_id_x 1
		.amdhsa_system_sgpr_workgroup_id_y 0
		.amdhsa_system_sgpr_workgroup_id_z 0
		.amdhsa_system_sgpr_workgroup_info 0
		.amdhsa_system_vgpr_workitem_id 0
		.amdhsa_next_free_vgpr 1
		.amdhsa_next_free_sgpr 0
		.amdhsa_accum_offset 4
		.amdhsa_reserve_vcc 0
		.amdhsa_float_round_mode_32 0
		.amdhsa_float_round_mode_16_64 0
		.amdhsa_float_denorm_mode_32 3
		.amdhsa_float_denorm_mode_16_64 3
		.amdhsa_dx10_clamp 1
		.amdhsa_ieee_mode 1
		.amdhsa_fp16_overflow 0
		.amdhsa_tg_split 0
		.amdhsa_exception_fp_ieee_invalid_op 0
		.amdhsa_exception_fp_denorm_src 0
		.amdhsa_exception_fp_ieee_div_zero 0
		.amdhsa_exception_fp_ieee_overflow 0
		.amdhsa_exception_fp_ieee_underflow 0
		.amdhsa_exception_fp_ieee_inexact 0
		.amdhsa_exception_int_div_zero 0
	.end_amdhsa_kernel
	.section	.text._ZN7rocprim17ROCPRIM_400000_NS6detail17trampoline_kernelINS0_14default_configENS1_25transform_config_selectorIsLb0EEEZNS1_14transform_implILb0ES3_S5_NS0_18transform_iteratorINS0_17counting_iteratorImlEEZNS1_24adjacent_difference_implIS3_Lb1ELb0EPsSB_N6thrust23THRUST_200600_302600_NS5minusIsEEEE10hipError_tPvRmT2_T3_mT4_P12ihipStream_tbEUlmE_sEESB_NS0_8identityIvEEEESG_SJ_SK_mSL_SN_bEUlT_E_NS1_11comp_targetILNS1_3genE10ELNS1_11target_archE1200ELNS1_3gpuE4ELNS1_3repE0EEENS1_30default_config_static_selectorELNS0_4arch9wavefront6targetE1EEEvT1_,"axG",@progbits,_ZN7rocprim17ROCPRIM_400000_NS6detail17trampoline_kernelINS0_14default_configENS1_25transform_config_selectorIsLb0EEEZNS1_14transform_implILb0ES3_S5_NS0_18transform_iteratorINS0_17counting_iteratorImlEEZNS1_24adjacent_difference_implIS3_Lb1ELb0EPsSB_N6thrust23THRUST_200600_302600_NS5minusIsEEEE10hipError_tPvRmT2_T3_mT4_P12ihipStream_tbEUlmE_sEESB_NS0_8identityIvEEEESG_SJ_SK_mSL_SN_bEUlT_E_NS1_11comp_targetILNS1_3genE10ELNS1_11target_archE1200ELNS1_3gpuE4ELNS1_3repE0EEENS1_30default_config_static_selectorELNS0_4arch9wavefront6targetE1EEEvT1_,comdat
.Lfunc_end66:
	.size	_ZN7rocprim17ROCPRIM_400000_NS6detail17trampoline_kernelINS0_14default_configENS1_25transform_config_selectorIsLb0EEEZNS1_14transform_implILb0ES3_S5_NS0_18transform_iteratorINS0_17counting_iteratorImlEEZNS1_24adjacent_difference_implIS3_Lb1ELb0EPsSB_N6thrust23THRUST_200600_302600_NS5minusIsEEEE10hipError_tPvRmT2_T3_mT4_P12ihipStream_tbEUlmE_sEESB_NS0_8identityIvEEEESG_SJ_SK_mSL_SN_bEUlT_E_NS1_11comp_targetILNS1_3genE10ELNS1_11target_archE1200ELNS1_3gpuE4ELNS1_3repE0EEENS1_30default_config_static_selectorELNS0_4arch9wavefront6targetE1EEEvT1_, .Lfunc_end66-_ZN7rocprim17ROCPRIM_400000_NS6detail17trampoline_kernelINS0_14default_configENS1_25transform_config_selectorIsLb0EEEZNS1_14transform_implILb0ES3_S5_NS0_18transform_iteratorINS0_17counting_iteratorImlEEZNS1_24adjacent_difference_implIS3_Lb1ELb0EPsSB_N6thrust23THRUST_200600_302600_NS5minusIsEEEE10hipError_tPvRmT2_T3_mT4_P12ihipStream_tbEUlmE_sEESB_NS0_8identityIvEEEESG_SJ_SK_mSL_SN_bEUlT_E_NS1_11comp_targetILNS1_3genE10ELNS1_11target_archE1200ELNS1_3gpuE4ELNS1_3repE0EEENS1_30default_config_static_selectorELNS0_4arch9wavefront6targetE1EEEvT1_
                                        ; -- End function
	.section	.AMDGPU.csdata,"",@progbits
; Kernel info:
; codeLenInByte = 0
; NumSgprs: 6
; NumVgprs: 0
; NumAgprs: 0
; TotalNumVgprs: 0
; ScratchSize: 0
; MemoryBound: 0
; FloatMode: 240
; IeeeMode: 1
; LDSByteSize: 0 bytes/workgroup (compile time only)
; SGPRBlocks: 0
; VGPRBlocks: 0
; NumSGPRsForWavesPerEU: 6
; NumVGPRsForWavesPerEU: 1
; AccumOffset: 4
; Occupancy: 8
; WaveLimiterHint : 0
; COMPUTE_PGM_RSRC2:SCRATCH_EN: 0
; COMPUTE_PGM_RSRC2:USER_SGPR: 2
; COMPUTE_PGM_RSRC2:TRAP_HANDLER: 0
; COMPUTE_PGM_RSRC2:TGID_X_EN: 1
; COMPUTE_PGM_RSRC2:TGID_Y_EN: 0
; COMPUTE_PGM_RSRC2:TGID_Z_EN: 0
; COMPUTE_PGM_RSRC2:TIDIG_COMP_CNT: 0
; COMPUTE_PGM_RSRC3_GFX90A:ACCUM_OFFSET: 0
; COMPUTE_PGM_RSRC3_GFX90A:TG_SPLIT: 0
	.section	.text._ZN7rocprim17ROCPRIM_400000_NS6detail17trampoline_kernelINS0_14default_configENS1_25transform_config_selectorIsLb0EEEZNS1_14transform_implILb0ES3_S5_NS0_18transform_iteratorINS0_17counting_iteratorImlEEZNS1_24adjacent_difference_implIS3_Lb1ELb0EPsSB_N6thrust23THRUST_200600_302600_NS5minusIsEEEE10hipError_tPvRmT2_T3_mT4_P12ihipStream_tbEUlmE_sEESB_NS0_8identityIvEEEESG_SJ_SK_mSL_SN_bEUlT_E_NS1_11comp_targetILNS1_3genE9ELNS1_11target_archE1100ELNS1_3gpuE3ELNS1_3repE0EEENS1_30default_config_static_selectorELNS0_4arch9wavefront6targetE1EEEvT1_,"axG",@progbits,_ZN7rocprim17ROCPRIM_400000_NS6detail17trampoline_kernelINS0_14default_configENS1_25transform_config_selectorIsLb0EEEZNS1_14transform_implILb0ES3_S5_NS0_18transform_iteratorINS0_17counting_iteratorImlEEZNS1_24adjacent_difference_implIS3_Lb1ELb0EPsSB_N6thrust23THRUST_200600_302600_NS5minusIsEEEE10hipError_tPvRmT2_T3_mT4_P12ihipStream_tbEUlmE_sEESB_NS0_8identityIvEEEESG_SJ_SK_mSL_SN_bEUlT_E_NS1_11comp_targetILNS1_3genE9ELNS1_11target_archE1100ELNS1_3gpuE3ELNS1_3repE0EEENS1_30default_config_static_selectorELNS0_4arch9wavefront6targetE1EEEvT1_,comdat
	.protected	_ZN7rocprim17ROCPRIM_400000_NS6detail17trampoline_kernelINS0_14default_configENS1_25transform_config_selectorIsLb0EEEZNS1_14transform_implILb0ES3_S5_NS0_18transform_iteratorINS0_17counting_iteratorImlEEZNS1_24adjacent_difference_implIS3_Lb1ELb0EPsSB_N6thrust23THRUST_200600_302600_NS5minusIsEEEE10hipError_tPvRmT2_T3_mT4_P12ihipStream_tbEUlmE_sEESB_NS0_8identityIvEEEESG_SJ_SK_mSL_SN_bEUlT_E_NS1_11comp_targetILNS1_3genE9ELNS1_11target_archE1100ELNS1_3gpuE3ELNS1_3repE0EEENS1_30default_config_static_selectorELNS0_4arch9wavefront6targetE1EEEvT1_ ; -- Begin function _ZN7rocprim17ROCPRIM_400000_NS6detail17trampoline_kernelINS0_14default_configENS1_25transform_config_selectorIsLb0EEEZNS1_14transform_implILb0ES3_S5_NS0_18transform_iteratorINS0_17counting_iteratorImlEEZNS1_24adjacent_difference_implIS3_Lb1ELb0EPsSB_N6thrust23THRUST_200600_302600_NS5minusIsEEEE10hipError_tPvRmT2_T3_mT4_P12ihipStream_tbEUlmE_sEESB_NS0_8identityIvEEEESG_SJ_SK_mSL_SN_bEUlT_E_NS1_11comp_targetILNS1_3genE9ELNS1_11target_archE1100ELNS1_3gpuE3ELNS1_3repE0EEENS1_30default_config_static_selectorELNS0_4arch9wavefront6targetE1EEEvT1_
	.globl	_ZN7rocprim17ROCPRIM_400000_NS6detail17trampoline_kernelINS0_14default_configENS1_25transform_config_selectorIsLb0EEEZNS1_14transform_implILb0ES3_S5_NS0_18transform_iteratorINS0_17counting_iteratorImlEEZNS1_24adjacent_difference_implIS3_Lb1ELb0EPsSB_N6thrust23THRUST_200600_302600_NS5minusIsEEEE10hipError_tPvRmT2_T3_mT4_P12ihipStream_tbEUlmE_sEESB_NS0_8identityIvEEEESG_SJ_SK_mSL_SN_bEUlT_E_NS1_11comp_targetILNS1_3genE9ELNS1_11target_archE1100ELNS1_3gpuE3ELNS1_3repE0EEENS1_30default_config_static_selectorELNS0_4arch9wavefront6targetE1EEEvT1_
	.p2align	8
	.type	_ZN7rocprim17ROCPRIM_400000_NS6detail17trampoline_kernelINS0_14default_configENS1_25transform_config_selectorIsLb0EEEZNS1_14transform_implILb0ES3_S5_NS0_18transform_iteratorINS0_17counting_iteratorImlEEZNS1_24adjacent_difference_implIS3_Lb1ELb0EPsSB_N6thrust23THRUST_200600_302600_NS5minusIsEEEE10hipError_tPvRmT2_T3_mT4_P12ihipStream_tbEUlmE_sEESB_NS0_8identityIvEEEESG_SJ_SK_mSL_SN_bEUlT_E_NS1_11comp_targetILNS1_3genE9ELNS1_11target_archE1100ELNS1_3gpuE3ELNS1_3repE0EEENS1_30default_config_static_selectorELNS0_4arch9wavefront6targetE1EEEvT1_,@function
_ZN7rocprim17ROCPRIM_400000_NS6detail17trampoline_kernelINS0_14default_configENS1_25transform_config_selectorIsLb0EEEZNS1_14transform_implILb0ES3_S5_NS0_18transform_iteratorINS0_17counting_iteratorImlEEZNS1_24adjacent_difference_implIS3_Lb1ELb0EPsSB_N6thrust23THRUST_200600_302600_NS5minusIsEEEE10hipError_tPvRmT2_T3_mT4_P12ihipStream_tbEUlmE_sEESB_NS0_8identityIvEEEESG_SJ_SK_mSL_SN_bEUlT_E_NS1_11comp_targetILNS1_3genE9ELNS1_11target_archE1100ELNS1_3gpuE3ELNS1_3repE0EEENS1_30default_config_static_selectorELNS0_4arch9wavefront6targetE1EEEvT1_: ; @_ZN7rocprim17ROCPRIM_400000_NS6detail17trampoline_kernelINS0_14default_configENS1_25transform_config_selectorIsLb0EEEZNS1_14transform_implILb0ES3_S5_NS0_18transform_iteratorINS0_17counting_iteratorImlEEZNS1_24adjacent_difference_implIS3_Lb1ELb0EPsSB_N6thrust23THRUST_200600_302600_NS5minusIsEEEE10hipError_tPvRmT2_T3_mT4_P12ihipStream_tbEUlmE_sEESB_NS0_8identityIvEEEESG_SJ_SK_mSL_SN_bEUlT_E_NS1_11comp_targetILNS1_3genE9ELNS1_11target_archE1100ELNS1_3gpuE3ELNS1_3repE0EEENS1_30default_config_static_selectorELNS0_4arch9wavefront6targetE1EEEvT1_
; %bb.0:
	.section	.rodata,"a",@progbits
	.p2align	6, 0x0
	.amdhsa_kernel _ZN7rocprim17ROCPRIM_400000_NS6detail17trampoline_kernelINS0_14default_configENS1_25transform_config_selectorIsLb0EEEZNS1_14transform_implILb0ES3_S5_NS0_18transform_iteratorINS0_17counting_iteratorImlEEZNS1_24adjacent_difference_implIS3_Lb1ELb0EPsSB_N6thrust23THRUST_200600_302600_NS5minusIsEEEE10hipError_tPvRmT2_T3_mT4_P12ihipStream_tbEUlmE_sEESB_NS0_8identityIvEEEESG_SJ_SK_mSL_SN_bEUlT_E_NS1_11comp_targetILNS1_3genE9ELNS1_11target_archE1100ELNS1_3gpuE3ELNS1_3repE0EEENS1_30default_config_static_selectorELNS0_4arch9wavefront6targetE1EEEvT1_
		.amdhsa_group_segment_fixed_size 0
		.amdhsa_private_segment_fixed_size 0
		.amdhsa_kernarg_size 56
		.amdhsa_user_sgpr_count 2
		.amdhsa_user_sgpr_dispatch_ptr 0
		.amdhsa_user_sgpr_queue_ptr 0
		.amdhsa_user_sgpr_kernarg_segment_ptr 1
		.amdhsa_user_sgpr_dispatch_id 0
		.amdhsa_user_sgpr_kernarg_preload_length 0
		.amdhsa_user_sgpr_kernarg_preload_offset 0
		.amdhsa_user_sgpr_private_segment_size 0
		.amdhsa_uses_dynamic_stack 0
		.amdhsa_enable_private_segment 0
		.amdhsa_system_sgpr_workgroup_id_x 1
		.amdhsa_system_sgpr_workgroup_id_y 0
		.amdhsa_system_sgpr_workgroup_id_z 0
		.amdhsa_system_sgpr_workgroup_info 0
		.amdhsa_system_vgpr_workitem_id 0
		.amdhsa_next_free_vgpr 1
		.amdhsa_next_free_sgpr 0
		.amdhsa_accum_offset 4
		.amdhsa_reserve_vcc 0
		.amdhsa_float_round_mode_32 0
		.amdhsa_float_round_mode_16_64 0
		.amdhsa_float_denorm_mode_32 3
		.amdhsa_float_denorm_mode_16_64 3
		.amdhsa_dx10_clamp 1
		.amdhsa_ieee_mode 1
		.amdhsa_fp16_overflow 0
		.amdhsa_tg_split 0
		.amdhsa_exception_fp_ieee_invalid_op 0
		.amdhsa_exception_fp_denorm_src 0
		.amdhsa_exception_fp_ieee_div_zero 0
		.amdhsa_exception_fp_ieee_overflow 0
		.amdhsa_exception_fp_ieee_underflow 0
		.amdhsa_exception_fp_ieee_inexact 0
		.amdhsa_exception_int_div_zero 0
	.end_amdhsa_kernel
	.section	.text._ZN7rocprim17ROCPRIM_400000_NS6detail17trampoline_kernelINS0_14default_configENS1_25transform_config_selectorIsLb0EEEZNS1_14transform_implILb0ES3_S5_NS0_18transform_iteratorINS0_17counting_iteratorImlEEZNS1_24adjacent_difference_implIS3_Lb1ELb0EPsSB_N6thrust23THRUST_200600_302600_NS5minusIsEEEE10hipError_tPvRmT2_T3_mT4_P12ihipStream_tbEUlmE_sEESB_NS0_8identityIvEEEESG_SJ_SK_mSL_SN_bEUlT_E_NS1_11comp_targetILNS1_3genE9ELNS1_11target_archE1100ELNS1_3gpuE3ELNS1_3repE0EEENS1_30default_config_static_selectorELNS0_4arch9wavefront6targetE1EEEvT1_,"axG",@progbits,_ZN7rocprim17ROCPRIM_400000_NS6detail17trampoline_kernelINS0_14default_configENS1_25transform_config_selectorIsLb0EEEZNS1_14transform_implILb0ES3_S5_NS0_18transform_iteratorINS0_17counting_iteratorImlEEZNS1_24adjacent_difference_implIS3_Lb1ELb0EPsSB_N6thrust23THRUST_200600_302600_NS5minusIsEEEE10hipError_tPvRmT2_T3_mT4_P12ihipStream_tbEUlmE_sEESB_NS0_8identityIvEEEESG_SJ_SK_mSL_SN_bEUlT_E_NS1_11comp_targetILNS1_3genE9ELNS1_11target_archE1100ELNS1_3gpuE3ELNS1_3repE0EEENS1_30default_config_static_selectorELNS0_4arch9wavefront6targetE1EEEvT1_,comdat
.Lfunc_end67:
	.size	_ZN7rocprim17ROCPRIM_400000_NS6detail17trampoline_kernelINS0_14default_configENS1_25transform_config_selectorIsLb0EEEZNS1_14transform_implILb0ES3_S5_NS0_18transform_iteratorINS0_17counting_iteratorImlEEZNS1_24adjacent_difference_implIS3_Lb1ELb0EPsSB_N6thrust23THRUST_200600_302600_NS5minusIsEEEE10hipError_tPvRmT2_T3_mT4_P12ihipStream_tbEUlmE_sEESB_NS0_8identityIvEEEESG_SJ_SK_mSL_SN_bEUlT_E_NS1_11comp_targetILNS1_3genE9ELNS1_11target_archE1100ELNS1_3gpuE3ELNS1_3repE0EEENS1_30default_config_static_selectorELNS0_4arch9wavefront6targetE1EEEvT1_, .Lfunc_end67-_ZN7rocprim17ROCPRIM_400000_NS6detail17trampoline_kernelINS0_14default_configENS1_25transform_config_selectorIsLb0EEEZNS1_14transform_implILb0ES3_S5_NS0_18transform_iteratorINS0_17counting_iteratorImlEEZNS1_24adjacent_difference_implIS3_Lb1ELb0EPsSB_N6thrust23THRUST_200600_302600_NS5minusIsEEEE10hipError_tPvRmT2_T3_mT4_P12ihipStream_tbEUlmE_sEESB_NS0_8identityIvEEEESG_SJ_SK_mSL_SN_bEUlT_E_NS1_11comp_targetILNS1_3genE9ELNS1_11target_archE1100ELNS1_3gpuE3ELNS1_3repE0EEENS1_30default_config_static_selectorELNS0_4arch9wavefront6targetE1EEEvT1_
                                        ; -- End function
	.section	.AMDGPU.csdata,"",@progbits
; Kernel info:
; codeLenInByte = 0
; NumSgprs: 6
; NumVgprs: 0
; NumAgprs: 0
; TotalNumVgprs: 0
; ScratchSize: 0
; MemoryBound: 0
; FloatMode: 240
; IeeeMode: 1
; LDSByteSize: 0 bytes/workgroup (compile time only)
; SGPRBlocks: 0
; VGPRBlocks: 0
; NumSGPRsForWavesPerEU: 6
; NumVGPRsForWavesPerEU: 1
; AccumOffset: 4
; Occupancy: 8
; WaveLimiterHint : 0
; COMPUTE_PGM_RSRC2:SCRATCH_EN: 0
; COMPUTE_PGM_RSRC2:USER_SGPR: 2
; COMPUTE_PGM_RSRC2:TRAP_HANDLER: 0
; COMPUTE_PGM_RSRC2:TGID_X_EN: 1
; COMPUTE_PGM_RSRC2:TGID_Y_EN: 0
; COMPUTE_PGM_RSRC2:TGID_Z_EN: 0
; COMPUTE_PGM_RSRC2:TIDIG_COMP_CNT: 0
; COMPUTE_PGM_RSRC3_GFX90A:ACCUM_OFFSET: 0
; COMPUTE_PGM_RSRC3_GFX90A:TG_SPLIT: 0
	.section	.text._ZN7rocprim17ROCPRIM_400000_NS6detail17trampoline_kernelINS0_14default_configENS1_25transform_config_selectorIsLb0EEEZNS1_14transform_implILb0ES3_S5_NS0_18transform_iteratorINS0_17counting_iteratorImlEEZNS1_24adjacent_difference_implIS3_Lb1ELb0EPsSB_N6thrust23THRUST_200600_302600_NS5minusIsEEEE10hipError_tPvRmT2_T3_mT4_P12ihipStream_tbEUlmE_sEESB_NS0_8identityIvEEEESG_SJ_SK_mSL_SN_bEUlT_E_NS1_11comp_targetILNS1_3genE8ELNS1_11target_archE1030ELNS1_3gpuE2ELNS1_3repE0EEENS1_30default_config_static_selectorELNS0_4arch9wavefront6targetE1EEEvT1_,"axG",@progbits,_ZN7rocprim17ROCPRIM_400000_NS6detail17trampoline_kernelINS0_14default_configENS1_25transform_config_selectorIsLb0EEEZNS1_14transform_implILb0ES3_S5_NS0_18transform_iteratorINS0_17counting_iteratorImlEEZNS1_24adjacent_difference_implIS3_Lb1ELb0EPsSB_N6thrust23THRUST_200600_302600_NS5minusIsEEEE10hipError_tPvRmT2_T3_mT4_P12ihipStream_tbEUlmE_sEESB_NS0_8identityIvEEEESG_SJ_SK_mSL_SN_bEUlT_E_NS1_11comp_targetILNS1_3genE8ELNS1_11target_archE1030ELNS1_3gpuE2ELNS1_3repE0EEENS1_30default_config_static_selectorELNS0_4arch9wavefront6targetE1EEEvT1_,comdat
	.protected	_ZN7rocprim17ROCPRIM_400000_NS6detail17trampoline_kernelINS0_14default_configENS1_25transform_config_selectorIsLb0EEEZNS1_14transform_implILb0ES3_S5_NS0_18transform_iteratorINS0_17counting_iteratorImlEEZNS1_24adjacent_difference_implIS3_Lb1ELb0EPsSB_N6thrust23THRUST_200600_302600_NS5minusIsEEEE10hipError_tPvRmT2_T3_mT4_P12ihipStream_tbEUlmE_sEESB_NS0_8identityIvEEEESG_SJ_SK_mSL_SN_bEUlT_E_NS1_11comp_targetILNS1_3genE8ELNS1_11target_archE1030ELNS1_3gpuE2ELNS1_3repE0EEENS1_30default_config_static_selectorELNS0_4arch9wavefront6targetE1EEEvT1_ ; -- Begin function _ZN7rocprim17ROCPRIM_400000_NS6detail17trampoline_kernelINS0_14default_configENS1_25transform_config_selectorIsLb0EEEZNS1_14transform_implILb0ES3_S5_NS0_18transform_iteratorINS0_17counting_iteratorImlEEZNS1_24adjacent_difference_implIS3_Lb1ELb0EPsSB_N6thrust23THRUST_200600_302600_NS5minusIsEEEE10hipError_tPvRmT2_T3_mT4_P12ihipStream_tbEUlmE_sEESB_NS0_8identityIvEEEESG_SJ_SK_mSL_SN_bEUlT_E_NS1_11comp_targetILNS1_3genE8ELNS1_11target_archE1030ELNS1_3gpuE2ELNS1_3repE0EEENS1_30default_config_static_selectorELNS0_4arch9wavefront6targetE1EEEvT1_
	.globl	_ZN7rocprim17ROCPRIM_400000_NS6detail17trampoline_kernelINS0_14default_configENS1_25transform_config_selectorIsLb0EEEZNS1_14transform_implILb0ES3_S5_NS0_18transform_iteratorINS0_17counting_iteratorImlEEZNS1_24adjacent_difference_implIS3_Lb1ELb0EPsSB_N6thrust23THRUST_200600_302600_NS5minusIsEEEE10hipError_tPvRmT2_T3_mT4_P12ihipStream_tbEUlmE_sEESB_NS0_8identityIvEEEESG_SJ_SK_mSL_SN_bEUlT_E_NS1_11comp_targetILNS1_3genE8ELNS1_11target_archE1030ELNS1_3gpuE2ELNS1_3repE0EEENS1_30default_config_static_selectorELNS0_4arch9wavefront6targetE1EEEvT1_
	.p2align	8
	.type	_ZN7rocprim17ROCPRIM_400000_NS6detail17trampoline_kernelINS0_14default_configENS1_25transform_config_selectorIsLb0EEEZNS1_14transform_implILb0ES3_S5_NS0_18transform_iteratorINS0_17counting_iteratorImlEEZNS1_24adjacent_difference_implIS3_Lb1ELb0EPsSB_N6thrust23THRUST_200600_302600_NS5minusIsEEEE10hipError_tPvRmT2_T3_mT4_P12ihipStream_tbEUlmE_sEESB_NS0_8identityIvEEEESG_SJ_SK_mSL_SN_bEUlT_E_NS1_11comp_targetILNS1_3genE8ELNS1_11target_archE1030ELNS1_3gpuE2ELNS1_3repE0EEENS1_30default_config_static_selectorELNS0_4arch9wavefront6targetE1EEEvT1_,@function
_ZN7rocprim17ROCPRIM_400000_NS6detail17trampoline_kernelINS0_14default_configENS1_25transform_config_selectorIsLb0EEEZNS1_14transform_implILb0ES3_S5_NS0_18transform_iteratorINS0_17counting_iteratorImlEEZNS1_24adjacent_difference_implIS3_Lb1ELb0EPsSB_N6thrust23THRUST_200600_302600_NS5minusIsEEEE10hipError_tPvRmT2_T3_mT4_P12ihipStream_tbEUlmE_sEESB_NS0_8identityIvEEEESG_SJ_SK_mSL_SN_bEUlT_E_NS1_11comp_targetILNS1_3genE8ELNS1_11target_archE1030ELNS1_3gpuE2ELNS1_3repE0EEENS1_30default_config_static_selectorELNS0_4arch9wavefront6targetE1EEEvT1_: ; @_ZN7rocprim17ROCPRIM_400000_NS6detail17trampoline_kernelINS0_14default_configENS1_25transform_config_selectorIsLb0EEEZNS1_14transform_implILb0ES3_S5_NS0_18transform_iteratorINS0_17counting_iteratorImlEEZNS1_24adjacent_difference_implIS3_Lb1ELb0EPsSB_N6thrust23THRUST_200600_302600_NS5minusIsEEEE10hipError_tPvRmT2_T3_mT4_P12ihipStream_tbEUlmE_sEESB_NS0_8identityIvEEEESG_SJ_SK_mSL_SN_bEUlT_E_NS1_11comp_targetILNS1_3genE8ELNS1_11target_archE1030ELNS1_3gpuE2ELNS1_3repE0EEENS1_30default_config_static_selectorELNS0_4arch9wavefront6targetE1EEEvT1_
; %bb.0:
	.section	.rodata,"a",@progbits
	.p2align	6, 0x0
	.amdhsa_kernel _ZN7rocprim17ROCPRIM_400000_NS6detail17trampoline_kernelINS0_14default_configENS1_25transform_config_selectorIsLb0EEEZNS1_14transform_implILb0ES3_S5_NS0_18transform_iteratorINS0_17counting_iteratorImlEEZNS1_24adjacent_difference_implIS3_Lb1ELb0EPsSB_N6thrust23THRUST_200600_302600_NS5minusIsEEEE10hipError_tPvRmT2_T3_mT4_P12ihipStream_tbEUlmE_sEESB_NS0_8identityIvEEEESG_SJ_SK_mSL_SN_bEUlT_E_NS1_11comp_targetILNS1_3genE8ELNS1_11target_archE1030ELNS1_3gpuE2ELNS1_3repE0EEENS1_30default_config_static_selectorELNS0_4arch9wavefront6targetE1EEEvT1_
		.amdhsa_group_segment_fixed_size 0
		.amdhsa_private_segment_fixed_size 0
		.amdhsa_kernarg_size 56
		.amdhsa_user_sgpr_count 2
		.amdhsa_user_sgpr_dispatch_ptr 0
		.amdhsa_user_sgpr_queue_ptr 0
		.amdhsa_user_sgpr_kernarg_segment_ptr 1
		.amdhsa_user_sgpr_dispatch_id 0
		.amdhsa_user_sgpr_kernarg_preload_length 0
		.amdhsa_user_sgpr_kernarg_preload_offset 0
		.amdhsa_user_sgpr_private_segment_size 0
		.amdhsa_uses_dynamic_stack 0
		.amdhsa_enable_private_segment 0
		.amdhsa_system_sgpr_workgroup_id_x 1
		.amdhsa_system_sgpr_workgroup_id_y 0
		.amdhsa_system_sgpr_workgroup_id_z 0
		.amdhsa_system_sgpr_workgroup_info 0
		.amdhsa_system_vgpr_workitem_id 0
		.amdhsa_next_free_vgpr 1
		.amdhsa_next_free_sgpr 0
		.amdhsa_accum_offset 4
		.amdhsa_reserve_vcc 0
		.amdhsa_float_round_mode_32 0
		.amdhsa_float_round_mode_16_64 0
		.amdhsa_float_denorm_mode_32 3
		.amdhsa_float_denorm_mode_16_64 3
		.amdhsa_dx10_clamp 1
		.amdhsa_ieee_mode 1
		.amdhsa_fp16_overflow 0
		.amdhsa_tg_split 0
		.amdhsa_exception_fp_ieee_invalid_op 0
		.amdhsa_exception_fp_denorm_src 0
		.amdhsa_exception_fp_ieee_div_zero 0
		.amdhsa_exception_fp_ieee_overflow 0
		.amdhsa_exception_fp_ieee_underflow 0
		.amdhsa_exception_fp_ieee_inexact 0
		.amdhsa_exception_int_div_zero 0
	.end_amdhsa_kernel
	.section	.text._ZN7rocprim17ROCPRIM_400000_NS6detail17trampoline_kernelINS0_14default_configENS1_25transform_config_selectorIsLb0EEEZNS1_14transform_implILb0ES3_S5_NS0_18transform_iteratorINS0_17counting_iteratorImlEEZNS1_24adjacent_difference_implIS3_Lb1ELb0EPsSB_N6thrust23THRUST_200600_302600_NS5minusIsEEEE10hipError_tPvRmT2_T3_mT4_P12ihipStream_tbEUlmE_sEESB_NS0_8identityIvEEEESG_SJ_SK_mSL_SN_bEUlT_E_NS1_11comp_targetILNS1_3genE8ELNS1_11target_archE1030ELNS1_3gpuE2ELNS1_3repE0EEENS1_30default_config_static_selectorELNS0_4arch9wavefront6targetE1EEEvT1_,"axG",@progbits,_ZN7rocprim17ROCPRIM_400000_NS6detail17trampoline_kernelINS0_14default_configENS1_25transform_config_selectorIsLb0EEEZNS1_14transform_implILb0ES3_S5_NS0_18transform_iteratorINS0_17counting_iteratorImlEEZNS1_24adjacent_difference_implIS3_Lb1ELb0EPsSB_N6thrust23THRUST_200600_302600_NS5minusIsEEEE10hipError_tPvRmT2_T3_mT4_P12ihipStream_tbEUlmE_sEESB_NS0_8identityIvEEEESG_SJ_SK_mSL_SN_bEUlT_E_NS1_11comp_targetILNS1_3genE8ELNS1_11target_archE1030ELNS1_3gpuE2ELNS1_3repE0EEENS1_30default_config_static_selectorELNS0_4arch9wavefront6targetE1EEEvT1_,comdat
.Lfunc_end68:
	.size	_ZN7rocprim17ROCPRIM_400000_NS6detail17trampoline_kernelINS0_14default_configENS1_25transform_config_selectorIsLb0EEEZNS1_14transform_implILb0ES3_S5_NS0_18transform_iteratorINS0_17counting_iteratorImlEEZNS1_24adjacent_difference_implIS3_Lb1ELb0EPsSB_N6thrust23THRUST_200600_302600_NS5minusIsEEEE10hipError_tPvRmT2_T3_mT4_P12ihipStream_tbEUlmE_sEESB_NS0_8identityIvEEEESG_SJ_SK_mSL_SN_bEUlT_E_NS1_11comp_targetILNS1_3genE8ELNS1_11target_archE1030ELNS1_3gpuE2ELNS1_3repE0EEENS1_30default_config_static_selectorELNS0_4arch9wavefront6targetE1EEEvT1_, .Lfunc_end68-_ZN7rocprim17ROCPRIM_400000_NS6detail17trampoline_kernelINS0_14default_configENS1_25transform_config_selectorIsLb0EEEZNS1_14transform_implILb0ES3_S5_NS0_18transform_iteratorINS0_17counting_iteratorImlEEZNS1_24adjacent_difference_implIS3_Lb1ELb0EPsSB_N6thrust23THRUST_200600_302600_NS5minusIsEEEE10hipError_tPvRmT2_T3_mT4_P12ihipStream_tbEUlmE_sEESB_NS0_8identityIvEEEESG_SJ_SK_mSL_SN_bEUlT_E_NS1_11comp_targetILNS1_3genE8ELNS1_11target_archE1030ELNS1_3gpuE2ELNS1_3repE0EEENS1_30default_config_static_selectorELNS0_4arch9wavefront6targetE1EEEvT1_
                                        ; -- End function
	.section	.AMDGPU.csdata,"",@progbits
; Kernel info:
; codeLenInByte = 0
; NumSgprs: 6
; NumVgprs: 0
; NumAgprs: 0
; TotalNumVgprs: 0
; ScratchSize: 0
; MemoryBound: 0
; FloatMode: 240
; IeeeMode: 1
; LDSByteSize: 0 bytes/workgroup (compile time only)
; SGPRBlocks: 0
; VGPRBlocks: 0
; NumSGPRsForWavesPerEU: 6
; NumVGPRsForWavesPerEU: 1
; AccumOffset: 4
; Occupancy: 8
; WaveLimiterHint : 0
; COMPUTE_PGM_RSRC2:SCRATCH_EN: 0
; COMPUTE_PGM_RSRC2:USER_SGPR: 2
; COMPUTE_PGM_RSRC2:TRAP_HANDLER: 0
; COMPUTE_PGM_RSRC2:TGID_X_EN: 1
; COMPUTE_PGM_RSRC2:TGID_Y_EN: 0
; COMPUTE_PGM_RSRC2:TGID_Z_EN: 0
; COMPUTE_PGM_RSRC2:TIDIG_COMP_CNT: 0
; COMPUTE_PGM_RSRC3_GFX90A:ACCUM_OFFSET: 0
; COMPUTE_PGM_RSRC3_GFX90A:TG_SPLIT: 0
	.section	.text._ZN7rocprim17ROCPRIM_400000_NS6detail17trampoline_kernelINS0_14default_configENS1_35adjacent_difference_config_selectorILb1EsEEZNS1_24adjacent_difference_implIS3_Lb1ELb0EPsS7_N6thrust23THRUST_200600_302600_NS5minusIsEEEE10hipError_tPvRmT2_T3_mT4_P12ihipStream_tbEUlT_E_NS1_11comp_targetILNS1_3genE0ELNS1_11target_archE4294967295ELNS1_3gpuE0ELNS1_3repE0EEENS1_30default_config_static_selectorELNS0_4arch9wavefront6targetE1EEEvT1_,"axG",@progbits,_ZN7rocprim17ROCPRIM_400000_NS6detail17trampoline_kernelINS0_14default_configENS1_35adjacent_difference_config_selectorILb1EsEEZNS1_24adjacent_difference_implIS3_Lb1ELb0EPsS7_N6thrust23THRUST_200600_302600_NS5minusIsEEEE10hipError_tPvRmT2_T3_mT4_P12ihipStream_tbEUlT_E_NS1_11comp_targetILNS1_3genE0ELNS1_11target_archE4294967295ELNS1_3gpuE0ELNS1_3repE0EEENS1_30default_config_static_selectorELNS0_4arch9wavefront6targetE1EEEvT1_,comdat
	.protected	_ZN7rocprim17ROCPRIM_400000_NS6detail17trampoline_kernelINS0_14default_configENS1_35adjacent_difference_config_selectorILb1EsEEZNS1_24adjacent_difference_implIS3_Lb1ELb0EPsS7_N6thrust23THRUST_200600_302600_NS5minusIsEEEE10hipError_tPvRmT2_T3_mT4_P12ihipStream_tbEUlT_E_NS1_11comp_targetILNS1_3genE0ELNS1_11target_archE4294967295ELNS1_3gpuE0ELNS1_3repE0EEENS1_30default_config_static_selectorELNS0_4arch9wavefront6targetE1EEEvT1_ ; -- Begin function _ZN7rocprim17ROCPRIM_400000_NS6detail17trampoline_kernelINS0_14default_configENS1_35adjacent_difference_config_selectorILb1EsEEZNS1_24adjacent_difference_implIS3_Lb1ELb0EPsS7_N6thrust23THRUST_200600_302600_NS5minusIsEEEE10hipError_tPvRmT2_T3_mT4_P12ihipStream_tbEUlT_E_NS1_11comp_targetILNS1_3genE0ELNS1_11target_archE4294967295ELNS1_3gpuE0ELNS1_3repE0EEENS1_30default_config_static_selectorELNS0_4arch9wavefront6targetE1EEEvT1_
	.globl	_ZN7rocprim17ROCPRIM_400000_NS6detail17trampoline_kernelINS0_14default_configENS1_35adjacent_difference_config_selectorILb1EsEEZNS1_24adjacent_difference_implIS3_Lb1ELb0EPsS7_N6thrust23THRUST_200600_302600_NS5minusIsEEEE10hipError_tPvRmT2_T3_mT4_P12ihipStream_tbEUlT_E_NS1_11comp_targetILNS1_3genE0ELNS1_11target_archE4294967295ELNS1_3gpuE0ELNS1_3repE0EEENS1_30default_config_static_selectorELNS0_4arch9wavefront6targetE1EEEvT1_
	.p2align	8
	.type	_ZN7rocprim17ROCPRIM_400000_NS6detail17trampoline_kernelINS0_14default_configENS1_35adjacent_difference_config_selectorILb1EsEEZNS1_24adjacent_difference_implIS3_Lb1ELb0EPsS7_N6thrust23THRUST_200600_302600_NS5minusIsEEEE10hipError_tPvRmT2_T3_mT4_P12ihipStream_tbEUlT_E_NS1_11comp_targetILNS1_3genE0ELNS1_11target_archE4294967295ELNS1_3gpuE0ELNS1_3repE0EEENS1_30default_config_static_selectorELNS0_4arch9wavefront6targetE1EEEvT1_,@function
_ZN7rocprim17ROCPRIM_400000_NS6detail17trampoline_kernelINS0_14default_configENS1_35adjacent_difference_config_selectorILb1EsEEZNS1_24adjacent_difference_implIS3_Lb1ELb0EPsS7_N6thrust23THRUST_200600_302600_NS5minusIsEEEE10hipError_tPvRmT2_T3_mT4_P12ihipStream_tbEUlT_E_NS1_11comp_targetILNS1_3genE0ELNS1_11target_archE4294967295ELNS1_3gpuE0ELNS1_3repE0EEENS1_30default_config_static_selectorELNS0_4arch9wavefront6targetE1EEEvT1_: ; @_ZN7rocprim17ROCPRIM_400000_NS6detail17trampoline_kernelINS0_14default_configENS1_35adjacent_difference_config_selectorILb1EsEEZNS1_24adjacent_difference_implIS3_Lb1ELb0EPsS7_N6thrust23THRUST_200600_302600_NS5minusIsEEEE10hipError_tPvRmT2_T3_mT4_P12ihipStream_tbEUlT_E_NS1_11comp_targetILNS1_3genE0ELNS1_11target_archE4294967295ELNS1_3gpuE0ELNS1_3repE0EEENS1_30default_config_static_selectorELNS0_4arch9wavefront6targetE1EEEvT1_
; %bb.0:
	.section	.rodata,"a",@progbits
	.p2align	6, 0x0
	.amdhsa_kernel _ZN7rocprim17ROCPRIM_400000_NS6detail17trampoline_kernelINS0_14default_configENS1_35adjacent_difference_config_selectorILb1EsEEZNS1_24adjacent_difference_implIS3_Lb1ELb0EPsS7_N6thrust23THRUST_200600_302600_NS5minusIsEEEE10hipError_tPvRmT2_T3_mT4_P12ihipStream_tbEUlT_E_NS1_11comp_targetILNS1_3genE0ELNS1_11target_archE4294967295ELNS1_3gpuE0ELNS1_3repE0EEENS1_30default_config_static_selectorELNS0_4arch9wavefront6targetE1EEEvT1_
		.amdhsa_group_segment_fixed_size 0
		.amdhsa_private_segment_fixed_size 0
		.amdhsa_kernarg_size 56
		.amdhsa_user_sgpr_count 2
		.amdhsa_user_sgpr_dispatch_ptr 0
		.amdhsa_user_sgpr_queue_ptr 0
		.amdhsa_user_sgpr_kernarg_segment_ptr 1
		.amdhsa_user_sgpr_dispatch_id 0
		.amdhsa_user_sgpr_kernarg_preload_length 0
		.amdhsa_user_sgpr_kernarg_preload_offset 0
		.amdhsa_user_sgpr_private_segment_size 0
		.amdhsa_uses_dynamic_stack 0
		.amdhsa_enable_private_segment 0
		.amdhsa_system_sgpr_workgroup_id_x 1
		.amdhsa_system_sgpr_workgroup_id_y 0
		.amdhsa_system_sgpr_workgroup_id_z 0
		.amdhsa_system_sgpr_workgroup_info 0
		.amdhsa_system_vgpr_workitem_id 0
		.amdhsa_next_free_vgpr 1
		.amdhsa_next_free_sgpr 0
		.amdhsa_accum_offset 4
		.amdhsa_reserve_vcc 0
		.amdhsa_float_round_mode_32 0
		.amdhsa_float_round_mode_16_64 0
		.amdhsa_float_denorm_mode_32 3
		.amdhsa_float_denorm_mode_16_64 3
		.amdhsa_dx10_clamp 1
		.amdhsa_ieee_mode 1
		.amdhsa_fp16_overflow 0
		.amdhsa_tg_split 0
		.amdhsa_exception_fp_ieee_invalid_op 0
		.amdhsa_exception_fp_denorm_src 0
		.amdhsa_exception_fp_ieee_div_zero 0
		.amdhsa_exception_fp_ieee_overflow 0
		.amdhsa_exception_fp_ieee_underflow 0
		.amdhsa_exception_fp_ieee_inexact 0
		.amdhsa_exception_int_div_zero 0
	.end_amdhsa_kernel
	.section	.text._ZN7rocprim17ROCPRIM_400000_NS6detail17trampoline_kernelINS0_14default_configENS1_35adjacent_difference_config_selectorILb1EsEEZNS1_24adjacent_difference_implIS3_Lb1ELb0EPsS7_N6thrust23THRUST_200600_302600_NS5minusIsEEEE10hipError_tPvRmT2_T3_mT4_P12ihipStream_tbEUlT_E_NS1_11comp_targetILNS1_3genE0ELNS1_11target_archE4294967295ELNS1_3gpuE0ELNS1_3repE0EEENS1_30default_config_static_selectorELNS0_4arch9wavefront6targetE1EEEvT1_,"axG",@progbits,_ZN7rocprim17ROCPRIM_400000_NS6detail17trampoline_kernelINS0_14default_configENS1_35adjacent_difference_config_selectorILb1EsEEZNS1_24adjacent_difference_implIS3_Lb1ELb0EPsS7_N6thrust23THRUST_200600_302600_NS5minusIsEEEE10hipError_tPvRmT2_T3_mT4_P12ihipStream_tbEUlT_E_NS1_11comp_targetILNS1_3genE0ELNS1_11target_archE4294967295ELNS1_3gpuE0ELNS1_3repE0EEENS1_30default_config_static_selectorELNS0_4arch9wavefront6targetE1EEEvT1_,comdat
.Lfunc_end69:
	.size	_ZN7rocprim17ROCPRIM_400000_NS6detail17trampoline_kernelINS0_14default_configENS1_35adjacent_difference_config_selectorILb1EsEEZNS1_24adjacent_difference_implIS3_Lb1ELb0EPsS7_N6thrust23THRUST_200600_302600_NS5minusIsEEEE10hipError_tPvRmT2_T3_mT4_P12ihipStream_tbEUlT_E_NS1_11comp_targetILNS1_3genE0ELNS1_11target_archE4294967295ELNS1_3gpuE0ELNS1_3repE0EEENS1_30default_config_static_selectorELNS0_4arch9wavefront6targetE1EEEvT1_, .Lfunc_end69-_ZN7rocprim17ROCPRIM_400000_NS6detail17trampoline_kernelINS0_14default_configENS1_35adjacent_difference_config_selectorILb1EsEEZNS1_24adjacent_difference_implIS3_Lb1ELb0EPsS7_N6thrust23THRUST_200600_302600_NS5minusIsEEEE10hipError_tPvRmT2_T3_mT4_P12ihipStream_tbEUlT_E_NS1_11comp_targetILNS1_3genE0ELNS1_11target_archE4294967295ELNS1_3gpuE0ELNS1_3repE0EEENS1_30default_config_static_selectorELNS0_4arch9wavefront6targetE1EEEvT1_
                                        ; -- End function
	.section	.AMDGPU.csdata,"",@progbits
; Kernel info:
; codeLenInByte = 0
; NumSgprs: 6
; NumVgprs: 0
; NumAgprs: 0
; TotalNumVgprs: 0
; ScratchSize: 0
; MemoryBound: 0
; FloatMode: 240
; IeeeMode: 1
; LDSByteSize: 0 bytes/workgroup (compile time only)
; SGPRBlocks: 0
; VGPRBlocks: 0
; NumSGPRsForWavesPerEU: 6
; NumVGPRsForWavesPerEU: 1
; AccumOffset: 4
; Occupancy: 8
; WaveLimiterHint : 0
; COMPUTE_PGM_RSRC2:SCRATCH_EN: 0
; COMPUTE_PGM_RSRC2:USER_SGPR: 2
; COMPUTE_PGM_RSRC2:TRAP_HANDLER: 0
; COMPUTE_PGM_RSRC2:TGID_X_EN: 1
; COMPUTE_PGM_RSRC2:TGID_Y_EN: 0
; COMPUTE_PGM_RSRC2:TGID_Z_EN: 0
; COMPUTE_PGM_RSRC2:TIDIG_COMP_CNT: 0
; COMPUTE_PGM_RSRC3_GFX90A:ACCUM_OFFSET: 0
; COMPUTE_PGM_RSRC3_GFX90A:TG_SPLIT: 0
	.section	.text._ZN7rocprim17ROCPRIM_400000_NS6detail17trampoline_kernelINS0_14default_configENS1_35adjacent_difference_config_selectorILb1EsEEZNS1_24adjacent_difference_implIS3_Lb1ELb0EPsS7_N6thrust23THRUST_200600_302600_NS5minusIsEEEE10hipError_tPvRmT2_T3_mT4_P12ihipStream_tbEUlT_E_NS1_11comp_targetILNS1_3genE10ELNS1_11target_archE1201ELNS1_3gpuE5ELNS1_3repE0EEENS1_30default_config_static_selectorELNS0_4arch9wavefront6targetE1EEEvT1_,"axG",@progbits,_ZN7rocprim17ROCPRIM_400000_NS6detail17trampoline_kernelINS0_14default_configENS1_35adjacent_difference_config_selectorILb1EsEEZNS1_24adjacent_difference_implIS3_Lb1ELb0EPsS7_N6thrust23THRUST_200600_302600_NS5minusIsEEEE10hipError_tPvRmT2_T3_mT4_P12ihipStream_tbEUlT_E_NS1_11comp_targetILNS1_3genE10ELNS1_11target_archE1201ELNS1_3gpuE5ELNS1_3repE0EEENS1_30default_config_static_selectorELNS0_4arch9wavefront6targetE1EEEvT1_,comdat
	.protected	_ZN7rocprim17ROCPRIM_400000_NS6detail17trampoline_kernelINS0_14default_configENS1_35adjacent_difference_config_selectorILb1EsEEZNS1_24adjacent_difference_implIS3_Lb1ELb0EPsS7_N6thrust23THRUST_200600_302600_NS5minusIsEEEE10hipError_tPvRmT2_T3_mT4_P12ihipStream_tbEUlT_E_NS1_11comp_targetILNS1_3genE10ELNS1_11target_archE1201ELNS1_3gpuE5ELNS1_3repE0EEENS1_30default_config_static_selectorELNS0_4arch9wavefront6targetE1EEEvT1_ ; -- Begin function _ZN7rocprim17ROCPRIM_400000_NS6detail17trampoline_kernelINS0_14default_configENS1_35adjacent_difference_config_selectorILb1EsEEZNS1_24adjacent_difference_implIS3_Lb1ELb0EPsS7_N6thrust23THRUST_200600_302600_NS5minusIsEEEE10hipError_tPvRmT2_T3_mT4_P12ihipStream_tbEUlT_E_NS1_11comp_targetILNS1_3genE10ELNS1_11target_archE1201ELNS1_3gpuE5ELNS1_3repE0EEENS1_30default_config_static_selectorELNS0_4arch9wavefront6targetE1EEEvT1_
	.globl	_ZN7rocprim17ROCPRIM_400000_NS6detail17trampoline_kernelINS0_14default_configENS1_35adjacent_difference_config_selectorILb1EsEEZNS1_24adjacent_difference_implIS3_Lb1ELb0EPsS7_N6thrust23THRUST_200600_302600_NS5minusIsEEEE10hipError_tPvRmT2_T3_mT4_P12ihipStream_tbEUlT_E_NS1_11comp_targetILNS1_3genE10ELNS1_11target_archE1201ELNS1_3gpuE5ELNS1_3repE0EEENS1_30default_config_static_selectorELNS0_4arch9wavefront6targetE1EEEvT1_
	.p2align	8
	.type	_ZN7rocprim17ROCPRIM_400000_NS6detail17trampoline_kernelINS0_14default_configENS1_35adjacent_difference_config_selectorILb1EsEEZNS1_24adjacent_difference_implIS3_Lb1ELb0EPsS7_N6thrust23THRUST_200600_302600_NS5minusIsEEEE10hipError_tPvRmT2_T3_mT4_P12ihipStream_tbEUlT_E_NS1_11comp_targetILNS1_3genE10ELNS1_11target_archE1201ELNS1_3gpuE5ELNS1_3repE0EEENS1_30default_config_static_selectorELNS0_4arch9wavefront6targetE1EEEvT1_,@function
_ZN7rocprim17ROCPRIM_400000_NS6detail17trampoline_kernelINS0_14default_configENS1_35adjacent_difference_config_selectorILb1EsEEZNS1_24adjacent_difference_implIS3_Lb1ELb0EPsS7_N6thrust23THRUST_200600_302600_NS5minusIsEEEE10hipError_tPvRmT2_T3_mT4_P12ihipStream_tbEUlT_E_NS1_11comp_targetILNS1_3genE10ELNS1_11target_archE1201ELNS1_3gpuE5ELNS1_3repE0EEENS1_30default_config_static_selectorELNS0_4arch9wavefront6targetE1EEEvT1_: ; @_ZN7rocprim17ROCPRIM_400000_NS6detail17trampoline_kernelINS0_14default_configENS1_35adjacent_difference_config_selectorILb1EsEEZNS1_24adjacent_difference_implIS3_Lb1ELb0EPsS7_N6thrust23THRUST_200600_302600_NS5minusIsEEEE10hipError_tPvRmT2_T3_mT4_P12ihipStream_tbEUlT_E_NS1_11comp_targetILNS1_3genE10ELNS1_11target_archE1201ELNS1_3gpuE5ELNS1_3repE0EEENS1_30default_config_static_selectorELNS0_4arch9wavefront6targetE1EEEvT1_
; %bb.0:
	.section	.rodata,"a",@progbits
	.p2align	6, 0x0
	.amdhsa_kernel _ZN7rocprim17ROCPRIM_400000_NS6detail17trampoline_kernelINS0_14default_configENS1_35adjacent_difference_config_selectorILb1EsEEZNS1_24adjacent_difference_implIS3_Lb1ELb0EPsS7_N6thrust23THRUST_200600_302600_NS5minusIsEEEE10hipError_tPvRmT2_T3_mT4_P12ihipStream_tbEUlT_E_NS1_11comp_targetILNS1_3genE10ELNS1_11target_archE1201ELNS1_3gpuE5ELNS1_3repE0EEENS1_30default_config_static_selectorELNS0_4arch9wavefront6targetE1EEEvT1_
		.amdhsa_group_segment_fixed_size 0
		.amdhsa_private_segment_fixed_size 0
		.amdhsa_kernarg_size 56
		.amdhsa_user_sgpr_count 2
		.amdhsa_user_sgpr_dispatch_ptr 0
		.amdhsa_user_sgpr_queue_ptr 0
		.amdhsa_user_sgpr_kernarg_segment_ptr 1
		.amdhsa_user_sgpr_dispatch_id 0
		.amdhsa_user_sgpr_kernarg_preload_length 0
		.amdhsa_user_sgpr_kernarg_preload_offset 0
		.amdhsa_user_sgpr_private_segment_size 0
		.amdhsa_uses_dynamic_stack 0
		.amdhsa_enable_private_segment 0
		.amdhsa_system_sgpr_workgroup_id_x 1
		.amdhsa_system_sgpr_workgroup_id_y 0
		.amdhsa_system_sgpr_workgroup_id_z 0
		.amdhsa_system_sgpr_workgroup_info 0
		.amdhsa_system_vgpr_workitem_id 0
		.amdhsa_next_free_vgpr 1
		.amdhsa_next_free_sgpr 0
		.amdhsa_accum_offset 4
		.amdhsa_reserve_vcc 0
		.amdhsa_float_round_mode_32 0
		.amdhsa_float_round_mode_16_64 0
		.amdhsa_float_denorm_mode_32 3
		.amdhsa_float_denorm_mode_16_64 3
		.amdhsa_dx10_clamp 1
		.amdhsa_ieee_mode 1
		.amdhsa_fp16_overflow 0
		.amdhsa_tg_split 0
		.amdhsa_exception_fp_ieee_invalid_op 0
		.amdhsa_exception_fp_denorm_src 0
		.amdhsa_exception_fp_ieee_div_zero 0
		.amdhsa_exception_fp_ieee_overflow 0
		.amdhsa_exception_fp_ieee_underflow 0
		.amdhsa_exception_fp_ieee_inexact 0
		.amdhsa_exception_int_div_zero 0
	.end_amdhsa_kernel
	.section	.text._ZN7rocprim17ROCPRIM_400000_NS6detail17trampoline_kernelINS0_14default_configENS1_35adjacent_difference_config_selectorILb1EsEEZNS1_24adjacent_difference_implIS3_Lb1ELb0EPsS7_N6thrust23THRUST_200600_302600_NS5minusIsEEEE10hipError_tPvRmT2_T3_mT4_P12ihipStream_tbEUlT_E_NS1_11comp_targetILNS1_3genE10ELNS1_11target_archE1201ELNS1_3gpuE5ELNS1_3repE0EEENS1_30default_config_static_selectorELNS0_4arch9wavefront6targetE1EEEvT1_,"axG",@progbits,_ZN7rocprim17ROCPRIM_400000_NS6detail17trampoline_kernelINS0_14default_configENS1_35adjacent_difference_config_selectorILb1EsEEZNS1_24adjacent_difference_implIS3_Lb1ELb0EPsS7_N6thrust23THRUST_200600_302600_NS5minusIsEEEE10hipError_tPvRmT2_T3_mT4_P12ihipStream_tbEUlT_E_NS1_11comp_targetILNS1_3genE10ELNS1_11target_archE1201ELNS1_3gpuE5ELNS1_3repE0EEENS1_30default_config_static_selectorELNS0_4arch9wavefront6targetE1EEEvT1_,comdat
.Lfunc_end70:
	.size	_ZN7rocprim17ROCPRIM_400000_NS6detail17trampoline_kernelINS0_14default_configENS1_35adjacent_difference_config_selectorILb1EsEEZNS1_24adjacent_difference_implIS3_Lb1ELb0EPsS7_N6thrust23THRUST_200600_302600_NS5minusIsEEEE10hipError_tPvRmT2_T3_mT4_P12ihipStream_tbEUlT_E_NS1_11comp_targetILNS1_3genE10ELNS1_11target_archE1201ELNS1_3gpuE5ELNS1_3repE0EEENS1_30default_config_static_selectorELNS0_4arch9wavefront6targetE1EEEvT1_, .Lfunc_end70-_ZN7rocprim17ROCPRIM_400000_NS6detail17trampoline_kernelINS0_14default_configENS1_35adjacent_difference_config_selectorILb1EsEEZNS1_24adjacent_difference_implIS3_Lb1ELb0EPsS7_N6thrust23THRUST_200600_302600_NS5minusIsEEEE10hipError_tPvRmT2_T3_mT4_P12ihipStream_tbEUlT_E_NS1_11comp_targetILNS1_3genE10ELNS1_11target_archE1201ELNS1_3gpuE5ELNS1_3repE0EEENS1_30default_config_static_selectorELNS0_4arch9wavefront6targetE1EEEvT1_
                                        ; -- End function
	.section	.AMDGPU.csdata,"",@progbits
; Kernel info:
; codeLenInByte = 0
; NumSgprs: 6
; NumVgprs: 0
; NumAgprs: 0
; TotalNumVgprs: 0
; ScratchSize: 0
; MemoryBound: 0
; FloatMode: 240
; IeeeMode: 1
; LDSByteSize: 0 bytes/workgroup (compile time only)
; SGPRBlocks: 0
; VGPRBlocks: 0
; NumSGPRsForWavesPerEU: 6
; NumVGPRsForWavesPerEU: 1
; AccumOffset: 4
; Occupancy: 8
; WaveLimiterHint : 0
; COMPUTE_PGM_RSRC2:SCRATCH_EN: 0
; COMPUTE_PGM_RSRC2:USER_SGPR: 2
; COMPUTE_PGM_RSRC2:TRAP_HANDLER: 0
; COMPUTE_PGM_RSRC2:TGID_X_EN: 1
; COMPUTE_PGM_RSRC2:TGID_Y_EN: 0
; COMPUTE_PGM_RSRC2:TGID_Z_EN: 0
; COMPUTE_PGM_RSRC2:TIDIG_COMP_CNT: 0
; COMPUTE_PGM_RSRC3_GFX90A:ACCUM_OFFSET: 0
; COMPUTE_PGM_RSRC3_GFX90A:TG_SPLIT: 0
	.section	.text._ZN7rocprim17ROCPRIM_400000_NS6detail17trampoline_kernelINS0_14default_configENS1_35adjacent_difference_config_selectorILb1EsEEZNS1_24adjacent_difference_implIS3_Lb1ELb0EPsS7_N6thrust23THRUST_200600_302600_NS5minusIsEEEE10hipError_tPvRmT2_T3_mT4_P12ihipStream_tbEUlT_E_NS1_11comp_targetILNS1_3genE5ELNS1_11target_archE942ELNS1_3gpuE9ELNS1_3repE0EEENS1_30default_config_static_selectorELNS0_4arch9wavefront6targetE1EEEvT1_,"axG",@progbits,_ZN7rocprim17ROCPRIM_400000_NS6detail17trampoline_kernelINS0_14default_configENS1_35adjacent_difference_config_selectorILb1EsEEZNS1_24adjacent_difference_implIS3_Lb1ELb0EPsS7_N6thrust23THRUST_200600_302600_NS5minusIsEEEE10hipError_tPvRmT2_T3_mT4_P12ihipStream_tbEUlT_E_NS1_11comp_targetILNS1_3genE5ELNS1_11target_archE942ELNS1_3gpuE9ELNS1_3repE0EEENS1_30default_config_static_selectorELNS0_4arch9wavefront6targetE1EEEvT1_,comdat
	.protected	_ZN7rocprim17ROCPRIM_400000_NS6detail17trampoline_kernelINS0_14default_configENS1_35adjacent_difference_config_selectorILb1EsEEZNS1_24adjacent_difference_implIS3_Lb1ELb0EPsS7_N6thrust23THRUST_200600_302600_NS5minusIsEEEE10hipError_tPvRmT2_T3_mT4_P12ihipStream_tbEUlT_E_NS1_11comp_targetILNS1_3genE5ELNS1_11target_archE942ELNS1_3gpuE9ELNS1_3repE0EEENS1_30default_config_static_selectorELNS0_4arch9wavefront6targetE1EEEvT1_ ; -- Begin function _ZN7rocprim17ROCPRIM_400000_NS6detail17trampoline_kernelINS0_14default_configENS1_35adjacent_difference_config_selectorILb1EsEEZNS1_24adjacent_difference_implIS3_Lb1ELb0EPsS7_N6thrust23THRUST_200600_302600_NS5minusIsEEEE10hipError_tPvRmT2_T3_mT4_P12ihipStream_tbEUlT_E_NS1_11comp_targetILNS1_3genE5ELNS1_11target_archE942ELNS1_3gpuE9ELNS1_3repE0EEENS1_30default_config_static_selectorELNS0_4arch9wavefront6targetE1EEEvT1_
	.globl	_ZN7rocprim17ROCPRIM_400000_NS6detail17trampoline_kernelINS0_14default_configENS1_35adjacent_difference_config_selectorILb1EsEEZNS1_24adjacent_difference_implIS3_Lb1ELb0EPsS7_N6thrust23THRUST_200600_302600_NS5minusIsEEEE10hipError_tPvRmT2_T3_mT4_P12ihipStream_tbEUlT_E_NS1_11comp_targetILNS1_3genE5ELNS1_11target_archE942ELNS1_3gpuE9ELNS1_3repE0EEENS1_30default_config_static_selectorELNS0_4arch9wavefront6targetE1EEEvT1_
	.p2align	8
	.type	_ZN7rocprim17ROCPRIM_400000_NS6detail17trampoline_kernelINS0_14default_configENS1_35adjacent_difference_config_selectorILb1EsEEZNS1_24adjacent_difference_implIS3_Lb1ELb0EPsS7_N6thrust23THRUST_200600_302600_NS5minusIsEEEE10hipError_tPvRmT2_T3_mT4_P12ihipStream_tbEUlT_E_NS1_11comp_targetILNS1_3genE5ELNS1_11target_archE942ELNS1_3gpuE9ELNS1_3repE0EEENS1_30default_config_static_selectorELNS0_4arch9wavefront6targetE1EEEvT1_,@function
_ZN7rocprim17ROCPRIM_400000_NS6detail17trampoline_kernelINS0_14default_configENS1_35adjacent_difference_config_selectorILb1EsEEZNS1_24adjacent_difference_implIS3_Lb1ELb0EPsS7_N6thrust23THRUST_200600_302600_NS5minusIsEEEE10hipError_tPvRmT2_T3_mT4_P12ihipStream_tbEUlT_E_NS1_11comp_targetILNS1_3genE5ELNS1_11target_archE942ELNS1_3gpuE9ELNS1_3repE0EEENS1_30default_config_static_selectorELNS0_4arch9wavefront6targetE1EEEvT1_: ; @_ZN7rocprim17ROCPRIM_400000_NS6detail17trampoline_kernelINS0_14default_configENS1_35adjacent_difference_config_selectorILb1EsEEZNS1_24adjacent_difference_implIS3_Lb1ELb0EPsS7_N6thrust23THRUST_200600_302600_NS5minusIsEEEE10hipError_tPvRmT2_T3_mT4_P12ihipStream_tbEUlT_E_NS1_11comp_targetILNS1_3genE5ELNS1_11target_archE942ELNS1_3gpuE9ELNS1_3repE0EEENS1_30default_config_static_selectorELNS0_4arch9wavefront6targetE1EEEvT1_
; %bb.0:
	s_load_dwordx8 s[12:19], s[0:1], 0x0
	s_load_dwordx4 s[4:7], s[0:1], 0x28
	s_mov_b32 s0, 0x90841c60
	v_bfrev_b32_e32 v1, 1
	s_movk_i32 s8, 0x7c0
	s_waitcnt lgkmcnt(0)
	s_lshl_b64 s[22:23], s[14:15], 1
	s_add_u32 s26, s12, s22
	s_addc_u32 s27, s13, s23
	s_add_u32 s0, 0x230, s0
	s_addc_u32 s1, 0, 0
	v_add_co_u32_e32 v1, vcc, s0, v1
	s_cmp_lg_u64 vcc, 0
	v_readfirstlane_b32 s9, v1
	s_addc_u32 s0, s1, 0x210841
	s_mul_hi_u32 s10, s9, 0xfffff840
	s_mul_i32 s1, s0, 0xfffff840
	s_sub_i32 s10, s10, s9
	s_add_i32 s10, s10, s1
	s_mul_i32 s12, s9, 0xfffff840
	s_mul_hi_u32 s1, s9, s10
	s_mul_i32 s11, s9, s10
	s_mul_hi_u32 s9, s9, s12
	s_add_u32 s9, s9, s11
	s_addc_u32 s1, 0, s1
	s_mul_hi_u32 s13, s0, s12
	s_mul_i32 s12, s0, s12
	s_add_u32 s9, s9, s12
	s_mul_hi_u32 s11, s0, s10
	s_addc_u32 s1, s1, s13
	s_addc_u32 s9, s11, 0
	s_mul_i32 s10, s0, s10
	s_add_u32 s1, s1, s10
	s_addc_u32 s9, 0, s9
	v_add_co_u32_e32 v1, vcc, s1, v1
	s_cmp_lg_u64 vcc, 0
	s_addc_u32 s0, s0, s9
	v_readfirstlane_b32 s10, v1
	s_mul_i32 s9, s18, s0
	s_mul_hi_u32 s11, s18, s10
	s_mul_hi_u32 s1, s18, s0
	s_add_u32 s9, s11, s9
	s_addc_u32 s1, 0, s1
	s_mul_hi_u32 s12, s19, s10
	s_mul_i32 s10, s19, s10
	s_add_u32 s9, s9, s10
	s_mul_hi_u32 s11, s19, s0
	s_addc_u32 s1, s1, s12
	s_addc_u32 s9, s11, 0
	s_mul_i32 s0, s19, s0
	s_add_u32 s0, s1, s0
	s_addc_u32 s1, 0, s9
	s_add_u32 s9, s0, 1
	s_addc_u32 s10, s1, 0
	s_add_u32 s11, s0, 2
	s_mul_i32 s13, s1, 0x7c0
	s_mul_hi_u32 s14, s0, 0x7c0
	s_addc_u32 s12, s1, 0
	s_add_i32 s14, s14, s13
	s_mul_i32 s13, s0, 0x7c0
	v_mov_b32_e32 v1, s13
	v_sub_co_u32_e32 v1, vcc, s18, v1
	s_cmp_lg_u64 vcc, 0
	s_subb_u32 s13, s19, s14
	v_subrev_co_u32_e32 v2, vcc, s8, v1
	s_cmp_lg_u64 vcc, 0
	s_subb_u32 s8, s13, 0
	v_readfirstlane_b32 s14, v2
	s_cmpk_gt_u32 s14, 0x7bf
	s_cselect_b32 s14, -1, 0
	s_cmp_eq_u32 s8, 0
	s_cselect_b32 s8, s14, -1
	s_cmp_lg_u32 s8, 0
	s_cselect_b32 s8, s11, s9
	s_cselect_b32 s9, s12, s10
	v_readfirstlane_b32 s10, v1
	s_cmpk_gt_u32 s10, 0x7bf
	s_cselect_b32 s10, -1, 0
	s_cmp_eq_u32 s13, 0
	s_cselect_b32 s10, s10, -1
	s_cmp_lg_u32 s10, 0
	s_cselect_b32 s9, s9, s1
	s_cselect_b32 s8, s8, s0
	s_mul_i32 s0, s9, 0x7c0
	s_mul_hi_u32 s1, s8, 0x7c0
	s_add_i32 s1, s1, s0
	s_mul_i32 s0, s8, 0x7c0
	s_sub_u32 s0, s18, s0
	s_subb_u32 s1, s19, s1
	s_cmp_lg_u64 s[0:1], 0
	s_cselect_b64 s[0:1], -1, 0
	v_cndmask_b32_e64 v1, 0, 1, s[0:1]
	s_mul_i32 s20, s2, 0x7c0
	v_readfirstlane_b32 s0, v1
	s_add_u32 s8, s8, s0
	s_addc_u32 s9, s9, 0
	s_add_u32 s10, s6, s2
	s_addc_u32 s11, s7, 0
	s_add_u32 s12, s8, -1
	s_addc_u32 s13, s9, -1
	v_mov_b64_e32 v[2:3], s[12:13]
	v_cmp_ge_u64_e64 s[0:1], s[10:11], v[2:3]
	s_mov_b32 s3, 0
	s_mov_b64 s[14:15], -1
	s_and_b64 vcc, exec, s[0:1]
	s_mul_i32 s19, s12, 0xfffff840
	s_cbranch_vccz .LBB71_64
; %bb.1:
	s_mov_b32 s21, s3
	s_add_i32 s28, s19, s18
	s_lshl_b64 s[14:15], s[20:21], 1
	s_add_u32 s14, s26, s14
	s_addc_u32 s15, s27, s15
	v_cmp_gt_u32_e32 vcc, s28, v0
                                        ; implicit-def: $vgpr1
	s_and_saveexec_b64 s[24:25], vcc
	s_cbranch_execz .LBB71_3
; %bb.2:
	v_lshlrev_b32_e32 v1, 1, v0
	global_load_ushort v1, v1, s[14:15]
.LBB71_3:
	s_or_b64 exec, exec, s[24:25]
	v_or_b32_e32 v2, 64, v0
	v_cmp_gt_u32_e32 vcc, s28, v2
                                        ; implicit-def: $vgpr2
	s_and_saveexec_b64 s[24:25], vcc
	s_cbranch_execz .LBB71_5
; %bb.4:
	v_lshlrev_b32_e32 v2, 1, v0
	global_load_ushort v2, v2, s[14:15] offset:128
.LBB71_5:
	s_or_b64 exec, exec, s[24:25]
	v_or_b32_e32 v3, 0x80, v0
	v_cmp_gt_u32_e32 vcc, s28, v3
                                        ; implicit-def: $vgpr3
	s_and_saveexec_b64 s[24:25], vcc
	s_cbranch_execz .LBB71_7
; %bb.6:
	v_lshlrev_b32_e32 v3, 1, v0
	global_load_ushort v3, v3, s[14:15] offset:256
.LBB71_7:
	s_or_b64 exec, exec, s[24:25]
	v_or_b32_e32 v4, 0xc0, v0
	v_cmp_gt_u32_e32 vcc, s28, v4
                                        ; implicit-def: $vgpr4
	s_and_saveexec_b64 s[24:25], vcc
	s_cbranch_execz .LBB71_9
; %bb.8:
	v_lshlrev_b32_e32 v4, 1, v0
	global_load_ushort v4, v4, s[14:15] offset:384
.LBB71_9:
	s_or_b64 exec, exec, s[24:25]
	v_or_b32_e32 v5, 0x100, v0
	v_cmp_gt_u32_e32 vcc, s28, v5
                                        ; implicit-def: $vgpr5
	s_and_saveexec_b64 s[24:25], vcc
	s_cbranch_execz .LBB71_11
; %bb.10:
	v_lshlrev_b32_e32 v5, 1, v0
	global_load_ushort v5, v5, s[14:15] offset:512
.LBB71_11:
	s_or_b64 exec, exec, s[24:25]
	v_or_b32_e32 v6, 0x140, v0
	v_cmp_gt_u32_e32 vcc, s28, v6
                                        ; implicit-def: $vgpr6
	s_and_saveexec_b64 s[24:25], vcc
	s_cbranch_execz .LBB71_13
; %bb.12:
	v_lshlrev_b32_e32 v6, 1, v0
	global_load_ushort v6, v6, s[14:15] offset:640
.LBB71_13:
	s_or_b64 exec, exec, s[24:25]
	v_or_b32_e32 v7, 0x180, v0
	v_cmp_gt_u32_e32 vcc, s28, v7
                                        ; implicit-def: $vgpr7
	s_and_saveexec_b64 s[24:25], vcc
	s_cbranch_execz .LBB71_15
; %bb.14:
	v_lshlrev_b32_e32 v7, 1, v0
	global_load_ushort v7, v7, s[14:15] offset:768
.LBB71_15:
	s_or_b64 exec, exec, s[24:25]
	v_or_b32_e32 v8, 0x1c0, v0
	v_cmp_gt_u32_e32 vcc, s28, v8
                                        ; implicit-def: $vgpr8
	s_and_saveexec_b64 s[24:25], vcc
	s_cbranch_execz .LBB71_17
; %bb.16:
	v_lshlrev_b32_e32 v8, 1, v0
	global_load_ushort v8, v8, s[14:15] offset:896
.LBB71_17:
	s_or_b64 exec, exec, s[24:25]
	v_or_b32_e32 v9, 0x200, v0
	v_cmp_gt_u32_e32 vcc, s28, v9
                                        ; implicit-def: $vgpr9
	s_and_saveexec_b64 s[24:25], vcc
	s_cbranch_execz .LBB71_19
; %bb.18:
	v_lshlrev_b32_e32 v9, 1, v0
	global_load_ushort v9, v9, s[14:15] offset:1024
.LBB71_19:
	s_or_b64 exec, exec, s[24:25]
	v_or_b32_e32 v10, 0x240, v0
	v_cmp_gt_u32_e32 vcc, s28, v10
                                        ; implicit-def: $vgpr10
	s_and_saveexec_b64 s[24:25], vcc
	s_cbranch_execz .LBB71_21
; %bb.20:
	v_lshlrev_b32_e32 v10, 1, v0
	global_load_ushort v10, v10, s[14:15] offset:1152
.LBB71_21:
	s_or_b64 exec, exec, s[24:25]
	v_or_b32_e32 v11, 0x280, v0
	v_cmp_gt_u32_e32 vcc, s28, v11
                                        ; implicit-def: $vgpr11
	s_and_saveexec_b64 s[24:25], vcc
	s_cbranch_execz .LBB71_23
; %bb.22:
	v_lshlrev_b32_e32 v11, 1, v0
	global_load_ushort v11, v11, s[14:15] offset:1280
.LBB71_23:
	s_or_b64 exec, exec, s[24:25]
	v_or_b32_e32 v12, 0x2c0, v0
	v_cmp_gt_u32_e32 vcc, s28, v12
                                        ; implicit-def: $vgpr12
	s_and_saveexec_b64 s[24:25], vcc
	s_cbranch_execz .LBB71_25
; %bb.24:
	v_lshlrev_b32_e32 v12, 1, v0
	global_load_ushort v12, v12, s[14:15] offset:1408
.LBB71_25:
	s_or_b64 exec, exec, s[24:25]
	v_or_b32_e32 v13, 0x300, v0
	v_cmp_gt_u32_e32 vcc, s28, v13
                                        ; implicit-def: $vgpr13
	s_and_saveexec_b64 s[24:25], vcc
	s_cbranch_execz .LBB71_27
; %bb.26:
	v_lshlrev_b32_e32 v13, 1, v0
	global_load_ushort v13, v13, s[14:15] offset:1536
.LBB71_27:
	s_or_b64 exec, exec, s[24:25]
	v_or_b32_e32 v14, 0x340, v0
	v_cmp_gt_u32_e32 vcc, s28, v14
                                        ; implicit-def: $vgpr14
	s_and_saveexec_b64 s[24:25], vcc
	s_cbranch_execz .LBB71_29
; %bb.28:
	v_lshlrev_b32_e32 v14, 1, v0
	global_load_ushort v14, v14, s[14:15] offset:1664
.LBB71_29:
	s_or_b64 exec, exec, s[24:25]
	v_or_b32_e32 v15, 0x380, v0
	v_cmp_gt_u32_e32 vcc, s28, v15
                                        ; implicit-def: $vgpr15
	s_and_saveexec_b64 s[24:25], vcc
	s_cbranch_execz .LBB71_31
; %bb.30:
	v_lshlrev_b32_e32 v15, 1, v0
	global_load_ushort v15, v15, s[14:15] offset:1792
.LBB71_31:
	s_or_b64 exec, exec, s[24:25]
	v_or_b32_e32 v16, 0x3c0, v0
	v_cmp_gt_u32_e32 vcc, s28, v16
                                        ; implicit-def: $vgpr16
	s_and_saveexec_b64 s[24:25], vcc
	s_cbranch_execz .LBB71_33
; %bb.32:
	v_lshlrev_b32_e32 v16, 1, v0
	global_load_ushort v16, v16, s[14:15] offset:1920
.LBB71_33:
	s_or_b64 exec, exec, s[24:25]
	v_or_b32_e32 v17, 0x400, v0
	v_cmp_gt_u32_e32 vcc, s28, v17
                                        ; implicit-def: $vgpr17
	s_and_saveexec_b64 s[24:25], vcc
	s_cbranch_execz .LBB71_35
; %bb.34:
	v_lshlrev_b32_e32 v17, 1, v0
	global_load_ushort v17, v17, s[14:15] offset:2048
.LBB71_35:
	s_or_b64 exec, exec, s[24:25]
	v_or_b32_e32 v18, 0x440, v0
	v_cmp_gt_u32_e32 vcc, s28, v18
                                        ; implicit-def: $vgpr18
	s_and_saveexec_b64 s[24:25], vcc
	s_cbranch_execz .LBB71_37
; %bb.36:
	v_lshlrev_b32_e32 v18, 1, v0
	global_load_ushort v18, v18, s[14:15] offset:2176
.LBB71_37:
	s_or_b64 exec, exec, s[24:25]
	v_or_b32_e32 v19, 0x480, v0
	v_cmp_gt_u32_e32 vcc, s28, v19
                                        ; implicit-def: $vgpr19
	s_and_saveexec_b64 s[24:25], vcc
	s_cbranch_execz .LBB71_39
; %bb.38:
	v_lshlrev_b32_e32 v19, 1, v0
	global_load_ushort v19, v19, s[14:15] offset:2304
.LBB71_39:
	s_or_b64 exec, exec, s[24:25]
	v_or_b32_e32 v20, 0x4c0, v0
	v_cmp_gt_u32_e32 vcc, s28, v20
                                        ; implicit-def: $vgpr20
	s_and_saveexec_b64 s[24:25], vcc
	s_cbranch_execz .LBB71_41
; %bb.40:
	v_lshlrev_b32_e32 v20, 1, v0
	global_load_ushort v20, v20, s[14:15] offset:2432
.LBB71_41:
	s_or_b64 exec, exec, s[24:25]
	v_or_b32_e32 v21, 0x500, v0
	v_cmp_gt_u32_e32 vcc, s28, v21
                                        ; implicit-def: $vgpr21
	s_and_saveexec_b64 s[24:25], vcc
	s_cbranch_execz .LBB71_43
; %bb.42:
	v_lshlrev_b32_e32 v21, 1, v0
	global_load_ushort v21, v21, s[14:15] offset:2560
.LBB71_43:
	s_or_b64 exec, exec, s[24:25]
	v_or_b32_e32 v22, 0x540, v0
	v_cmp_gt_u32_e32 vcc, s28, v22
                                        ; implicit-def: $vgpr22
	s_and_saveexec_b64 s[24:25], vcc
	s_cbranch_execz .LBB71_45
; %bb.44:
	v_lshlrev_b32_e32 v22, 1, v0
	global_load_ushort v22, v22, s[14:15] offset:2688
.LBB71_45:
	s_or_b64 exec, exec, s[24:25]
	v_or_b32_e32 v23, 0x580, v0
	v_cmp_gt_u32_e32 vcc, s28, v23
                                        ; implicit-def: $vgpr23
	s_and_saveexec_b64 s[24:25], vcc
	s_cbranch_execz .LBB71_47
; %bb.46:
	v_lshlrev_b32_e32 v23, 1, v0
	global_load_ushort v23, v23, s[14:15] offset:2816
.LBB71_47:
	s_or_b64 exec, exec, s[24:25]
	v_or_b32_e32 v24, 0x5c0, v0
	v_cmp_gt_u32_e32 vcc, s28, v24
                                        ; implicit-def: $vgpr24
	s_and_saveexec_b64 s[24:25], vcc
	s_cbranch_execz .LBB71_49
; %bb.48:
	v_lshlrev_b32_e32 v24, 1, v0
	global_load_ushort v24, v24, s[14:15] offset:2944
.LBB71_49:
	s_or_b64 exec, exec, s[24:25]
	v_or_b32_e32 v25, 0x600, v0
	v_cmp_gt_u32_e32 vcc, s28, v25
                                        ; implicit-def: $vgpr25
	s_and_saveexec_b64 s[24:25], vcc
	s_cbranch_execz .LBB71_51
; %bb.50:
	v_lshlrev_b32_e32 v25, 1, v0
	global_load_ushort v25, v25, s[14:15] offset:3072
.LBB71_51:
	s_or_b64 exec, exec, s[24:25]
	v_or_b32_e32 v26, 0x640, v0
	v_cmp_gt_u32_e32 vcc, s28, v26
                                        ; implicit-def: $vgpr26
	s_and_saveexec_b64 s[24:25], vcc
	s_cbranch_execz .LBB71_53
; %bb.52:
	v_lshlrev_b32_e32 v26, 1, v0
	global_load_ushort v26, v26, s[14:15] offset:3200
.LBB71_53:
	s_or_b64 exec, exec, s[24:25]
	v_or_b32_e32 v27, 0x680, v0
	v_cmp_gt_u32_e32 vcc, s28, v27
                                        ; implicit-def: $vgpr27
	s_and_saveexec_b64 s[24:25], vcc
	s_cbranch_execz .LBB71_55
; %bb.54:
	v_lshlrev_b32_e32 v27, 1, v0
	global_load_ushort v27, v27, s[14:15] offset:3328
.LBB71_55:
	s_or_b64 exec, exec, s[24:25]
	v_or_b32_e32 v28, 0x6c0, v0
	v_cmp_gt_u32_e32 vcc, s28, v28
                                        ; implicit-def: $vgpr28
	s_and_saveexec_b64 s[24:25], vcc
	s_cbranch_execz .LBB71_57
; %bb.56:
	v_lshlrev_b32_e32 v28, 1, v0
	global_load_ushort v28, v28, s[14:15] offset:3456
.LBB71_57:
	s_or_b64 exec, exec, s[24:25]
	v_or_b32_e32 v29, 0x700, v0
	v_cmp_gt_u32_e32 vcc, s28, v29
                                        ; implicit-def: $vgpr29
	s_and_saveexec_b64 s[24:25], vcc
	s_cbranch_execz .LBB71_59
; %bb.58:
	v_lshlrev_b32_e32 v29, 1, v0
	global_load_ushort v29, v29, s[14:15] offset:3584
.LBB71_59:
	s_or_b64 exec, exec, s[24:25]
	v_or_b32_e32 v30, 0x740, v0
	v_cmp_gt_u32_e32 vcc, s28, v30
                                        ; implicit-def: $vgpr30
	s_and_saveexec_b64 s[24:25], vcc
	s_cbranch_execz .LBB71_61
; %bb.60:
	v_lshlrev_b32_e32 v30, 1, v0
	global_load_ushort v30, v30, s[14:15] offset:3712
.LBB71_61:
	s_or_b64 exec, exec, s[24:25]
	v_or_b32_e32 v31, 0x780, v0
	v_cmp_gt_u32_e32 vcc, s28, v31
                                        ; implicit-def: $vgpr31
	s_and_saveexec_b64 s[24:25], vcc
	s_cbranch_execz .LBB71_63
; %bb.62:
	v_lshlrev_b32_e32 v31, 1, v0
	global_load_ushort v31, v31, s[14:15] offset:3840
.LBB71_63:
	s_or_b64 exec, exec, s[24:25]
	v_lshlrev_b32_e32 v32, 1, v0
	s_mov_b64 s[14:15], 0
	s_waitcnt vmcnt(0)
	ds_write_b16 v32, v1
	ds_write_b16 v32, v2 offset:128
	ds_write_b16 v32, v3 offset:256
	;; [unrolled: 1-line block ×30, first 2 shown]
	s_waitcnt lgkmcnt(0)
	; wave barrier
.LBB71_64:
	s_and_b64 vcc, exec, s[14:15]
	v_lshlrev_b32_e32 v14, 1, v0
	s_cbranch_vccz .LBB71_66
; %bb.65:
	s_mov_b32 s21, 0
	s_lshl_b64 s[14:15], s[20:21], 1
	s_add_u32 s14, s26, s14
	s_addc_u32 s15, s27, s15
	global_load_ushort v1, v14, s[14:15]
	global_load_ushort v2, v14, s[14:15] offset:128
	global_load_ushort v3, v14, s[14:15] offset:256
	global_load_ushort v4, v14, s[14:15] offset:384
	global_load_ushort v5, v14, s[14:15] offset:512
	global_load_ushort v6, v14, s[14:15] offset:640
	global_load_ushort v7, v14, s[14:15] offset:768
	global_load_ushort v8, v14, s[14:15] offset:896
	global_load_ushort v9, v14, s[14:15] offset:1024
	global_load_ushort v10, v14, s[14:15] offset:1152
	global_load_ushort v11, v14, s[14:15] offset:1280
	global_load_ushort v12, v14, s[14:15] offset:1408
	global_load_ushort v13, v14, s[14:15] offset:1536
	global_load_ushort v15, v14, s[14:15] offset:1664
	global_load_ushort v16, v14, s[14:15] offset:1792
	global_load_ushort v17, v14, s[14:15] offset:1920
	global_load_ushort v18, v14, s[14:15] offset:2048
	global_load_ushort v19, v14, s[14:15] offset:2176
	global_load_ushort v20, v14, s[14:15] offset:2304
	global_load_ushort v21, v14, s[14:15] offset:2432
	global_load_ushort v22, v14, s[14:15] offset:2560
	global_load_ushort v23, v14, s[14:15] offset:2688
	global_load_ushort v24, v14, s[14:15] offset:2816
	global_load_ushort v25, v14, s[14:15] offset:2944
	global_load_ushort v26, v14, s[14:15] offset:3072
	global_load_ushort v27, v14, s[14:15] offset:3200
	global_load_ushort v28, v14, s[14:15] offset:3328
	global_load_ushort v29, v14, s[14:15] offset:3456
	global_load_ushort v30, v14, s[14:15] offset:3584
	global_load_ushort v31, v14, s[14:15] offset:3712
	global_load_ushort v32, v14, s[14:15] offset:3840
	s_waitcnt vmcnt(30)
	ds_write_b16 v14, v1
	s_waitcnt vmcnt(29)
	ds_write_b16 v14, v2 offset:128
	s_waitcnt vmcnt(28)
	ds_write_b16 v14, v3 offset:256
	;; [unrolled: 2-line block ×30, first 2 shown]
	s_waitcnt lgkmcnt(0)
	; wave barrier
.LBB71_66:
	v_mul_u32_u24_e32 v1, 31, v0
	v_lshlrev_b32_e32 v1, 1, v1
	s_waitcnt lgkmcnt(0)
	ds_read_b96 v[10:12], v1
	ds_read_b64 v[20:21], v1 offset:12
	ds_read_b96 v[6:8], v1 offset:20
	ds_read_b64 v[18:19], v1 offset:32
	ds_read_b96 v[2:4], v1 offset:40
	ds_read_b64 v[16:17], v1 offset:52
	ds_read_u16 v5, v1 offset:60
	s_waitcnt lgkmcnt(6)
	v_alignbit_b32 v13, v12, v11, 16
	v_alignbit_b32 v15, v11, v10, 16
	v_lshrrev_b32_e32 v12, 16, v12
	s_waitcnt lgkmcnt(4)
	v_alignbit_b32 v9, v8, v7, 16
	v_alignbit_b32 v11, v7, v6, 16
	v_lshrrev_b32_e32 v8, 16, v8
	;; [unrolled: 4-line block ×3, first 2 shown]
	s_cmp_eq_u64 s[10:11], 0
	s_waitcnt lgkmcnt(0)
	; wave barrier
	s_waitcnt lgkmcnt(0)
	s_cbranch_scc1 .LBB71_71
; %bb.67:
	s_lshl_b64 s[6:7], s[6:7], 1
	s_add_u32 s4, s4, s6
	s_addc_u32 s5, s5, s7
	s_lshl_b64 s[2:3], s[2:3], 1
	s_add_u32 s2, s4, s2
	s_addc_u32 s3, s5, s3
	v_mov_b32_e32 v1, 0
	global_load_ushort v40, v1, s[2:3] offset:-2
	s_cmp_eq_u64 s[10:11], s[12:13]
	s_cbranch_scc1 .LBB71_72
; %bb.68:
	v_cmp_ne_u32_e32 vcc, 0, v0
	s_waitcnt vmcnt(0)
	v_mov_b32_e32 v1, v40
	ds_write_b16 v14, v5
	s_waitcnt lgkmcnt(0)
	; wave barrier
	s_waitcnt lgkmcnt(0)
	s_and_saveexec_b64 s[2:3], vcc
	s_cbranch_execz .LBB71_70
; %bb.69:
	v_add_u32_e32 v1, -2, v14
	ds_read_u16 v1, v1
.LBB71_70:
	s_or_b64 exec, exec, s[2:3]
	s_mov_b32 s2, 0x5040100
	s_waitcnt lgkmcnt(0)
	v_sub_u16_e32 v1, v10, v1
	v_perm_b32 v25, v15, v10, s2
	v_alignbit_b32 v29, v13, v15, 16
	v_lshrrev_b32_e32 v28, 16, v13
	v_perm_b32 v30, v20, v12, s2
	v_alignbit_b32 v32, v21, v20, 16
	v_lshrrev_b32_e32 v26, 16, v21
	;; [unrolled: 3-line block ×6, first 2 shown]
	s_branch .LBB71_76
.LBB71_71:
                                        ; implicit-def: $vgpr39
                                        ; implicit-def: $vgpr36
                                        ; implicit-def: $vgpr38
                                        ; implicit-def: $vgpr35
                                        ; implicit-def: $vgpr37
                                        ; implicit-def: $vgpr34
                                        ; implicit-def: $vgpr33
                                        ; implicit-def: $vgpr31
                                        ; implicit-def: $vgpr32
                                        ; implicit-def: $vgpr30
                                        ; implicit-def: $vgpr29
                                        ; implicit-def: $vgpr25
                                        ; implicit-def: $vgpr1
                                        ; implicit-def: $vgpr28
                                        ; implicit-def: $vgpr26
                                        ; implicit-def: $vgpr27
                                        ; implicit-def: $vgpr24
                                        ; implicit-def: $vgpr23
                                        ; implicit-def: $vgpr22
	s_branch .LBB71_77
.LBB71_72:
                                        ; implicit-def: $vgpr39
                                        ; implicit-def: $vgpr36
                                        ; implicit-def: $vgpr38
                                        ; implicit-def: $vgpr35
                                        ; implicit-def: $vgpr37
                                        ; implicit-def: $vgpr34
                                        ; implicit-def: $vgpr33
                                        ; implicit-def: $vgpr31
                                        ; implicit-def: $vgpr32
                                        ; implicit-def: $vgpr30
                                        ; implicit-def: $vgpr29
                                        ; implicit-def: $vgpr25
                                        ; implicit-def: $vgpr1
                                        ; implicit-def: $vgpr28
                                        ; implicit-def: $vgpr26
                                        ; implicit-def: $vgpr27
                                        ; implicit-def: $vgpr24
                                        ; implicit-def: $vgpr23
                                        ; implicit-def: $vgpr22
	s_cbranch_execz .LBB71_76
; %bb.73:
	v_mul_u32_u24_e32 v1, 31, v0
	v_cmp_ne_u32_e32 vcc, 0, v0
	ds_write_b16 v14, v5
	s_waitcnt lgkmcnt(0)
	; wave barrier
	s_waitcnt lgkmcnt(0)
	s_and_saveexec_b64 s[2:3], vcc
	s_cbranch_execz .LBB71_75
; %bb.74:
	v_add_u32_e32 v22, -2, v14
	s_waitcnt vmcnt(0)
	ds_read_u16 v40, v22
.LBB71_75:
	s_or_b64 exec, exec, s[2:3]
	s_mul_i32 s2, s10, 0xfffff840
	s_add_i32 s2, s2, s18
	v_add_u32_e32 v22, 30, v1
	v_lshrrev_b32_e32 v23, 16, v17
	v_cmp_gt_u32_e32 vcc, s2, v22
	v_add_u32_e32 v24, 29, v1
	v_lshrrev_b32_e32 v27, 16, v16
	v_cndmask_b32_e32 v22, 0, v23, vcc
	v_add_u32_e32 v23, 28, v1
	v_cmp_gt_u32_e32 vcc, s2, v23
	v_add_u32_e32 v25, 26, v1
	v_add_u32_e32 v26, 27, v1
	v_cndmask_b32_e32 v39, 0, v27, vcc
	v_cmp_gt_u32_e32 vcc, s2, v24
	v_add_u32_e32 v23, 25, v1
	v_lshrrev_b32_e32 v24, 16, v7
	v_cndmask_b32_e32 v41, 0, v17, vcc
	v_cmp_gt_u32_e32 vcc, s2, v25
	v_add_u32_e32 v25, 24, v1
	v_lshrrev_b32_e32 v28, 16, v3
	v_cndmask_b32_e32 v36, 0, v4, vcc
	v_cmp_gt_u32_e32 vcc, s2, v26
	v_add_u32_e32 v26, 21, v1
	v_add_u32_e32 v27, 22, v1
	v_cndmask_b32_e32 v42, 0, v16, vcc
	v_cmp_gt_u32_e32 vcc, s2, v23
	v_lshrrev_b32_e32 v29, 16, v18
	v_lshrrev_b32_e32 v30, 16, v11
	v_cndmask_b32_e32 v23, 0, v24, vcc
	v_add_u32_e32 v24, 23, v1
	v_cmp_gt_u32_e32 vcc, s2, v24
	v_add_u32_e32 v24, 20, v1
	v_lshrrev_b32_e32 v32, 16, v20
	v_cndmask_b32_e32 v38, 0, v28, vcc
	v_cmp_gt_u32_e32 vcc, s2, v25
	v_lshrrev_b32_e32 v25, 16, v19
	v_add_u32_e32 v28, 17, v1
	v_cndmask_b32_e32 v43, 0, v7, vcc
	v_cmp_gt_u32_e32 vcc, s2, v26
	v_add_u32_e32 v26, 19, v1
	v_lshrrev_b32_e32 v53, 16, v15
	v_cndmask_b32_e32 v35, 0, v2, vcc
	v_cmp_gt_u32_e32 vcc, s2, v27
	v_add_u32_e32 v27, 16, v1
	v_add_u32_e32 v51, 1, v1
	v_cndmask_b32_e32 v44, 0, v3, vcc
	v_cmp_gt_u32_e32 vcc, s2, v24
	v_add_u32_e32 v52, 2, v1
	s_nop 0
	v_cndmask_b32_e32 v24, 0, v25, vcc
	v_add_u32_e32 v25, 18, v1
	v_cmp_gt_u32_e32 vcc, s2, v25
	v_add_u32_e32 v25, 15, v1
	s_nop 0
	v_cndmask_b32_e32 v37, 0, v29, vcc
	v_cmp_gt_u32_e32 vcc, s2, v26
	v_lshrrev_b32_e32 v26, 16, v9
	v_add_u32_e32 v29, 12, v1
	v_cndmask_b32_e32 v45, 0, v19, vcc
	v_cmp_gt_u32_e32 vcc, s2, v27
	s_nop 1
	v_cndmask_b32_e32 v34, 0, v8, vcc
	v_cmp_gt_u32_e32 vcc, s2, v28
	v_add_u32_e32 v28, 11, v1
	s_nop 0
	v_cndmask_b32_e32 v46, 0, v18, vcc
	v_cmp_gt_u32_e32 vcc, s2, v25
	v_add_u32_e32 v25, 13, v1
	s_nop 0
	v_cndmask_b32_e32 v27, 0, v26, vcc
	v_add_u32_e32 v26, 14, v1
	v_cmp_gt_u32_e32 vcc, s2, v25
	v_add_u32_e32 v25, 10, v1
	s_nop 0
	v_cndmask_b32_e32 v33, 0, v30, vcc
	v_cmp_gt_u32_e32 vcc, s2, v26
	v_lshrrev_b32_e32 v26, 16, v21
	v_add_u32_e32 v30, 7, v1
	v_cndmask_b32_e32 v47, 0, v9, vcc
	v_cmp_gt_u32_e32 vcc, s2, v28
	v_add_u32_e32 v28, 9, v1
	s_nop 0
	v_cndmask_b32_e32 v31, 0, v6, vcc
	v_cmp_gt_u32_e32 vcc, s2, v29
	v_add_u32_e32 v29, 6, v1
	s_nop 0
	v_cndmask_b32_e32 v48, 0, v11, vcc
	v_cmp_gt_u32_e32 vcc, s2, v25
	v_add_u32_e32 v25, 8, v1
	s_nop 0
	v_cndmask_b32_e32 v26, 0, v26, vcc
	v_cmp_gt_u32_e32 vcc, s2, v25
	v_add_u32_e32 v25, 5, v1
	s_nop 0
	v_cndmask_b32_e32 v32, 0, v32, vcc
	v_cmp_gt_u32_e32 vcc, s2, v28
	v_lshrrev_b32_e32 v28, 16, v13
	s_nop 0
	v_cndmask_b32_e32 v49, 0, v21, vcc
	v_cmp_gt_u32_e32 vcc, s2, v29
	v_add_u32_e32 v29, 4, v1
	s_nop 0
	v_cndmask_b32_e32 v50, 0, v12, vcc
	v_cmp_gt_u32_e32 vcc, s2, v30
	s_nop 1
	v_cndmask_b32_e32 v30, 0, v20, vcc
	v_cmp_gt_u32_e32 vcc, s2, v25
	v_add_u32_e32 v25, 3, v1
	s_nop 0
	v_cndmask_b32_e32 v28, 0, v28, vcc
	v_cmp_gt_u32_e32 vcc, s2, v25
	s_nop 1
	v_cndmask_b32_e32 v53, 0, v53, vcc
	v_cmp_gt_u32_e32 vcc, s2, v29
	s_nop 1
	v_cndmask_b32_e32 v29, 0, v13, vcc
	v_cmp_gt_u32_e32 vcc, s2, v51
	s_nop 1
	v_cndmask_b32_e32 v25, 0, v10, vcc
	v_cmp_gt_u32_e32 vcc, s2, v52
	s_nop 1
	v_cndmask_b32_e32 v51, 0, v15, vcc
	v_cmp_gt_u32_e32 vcc, s2, v1
	s_mov_b32 s2, 0x5040100
	v_perm_b32 v25, v51, v25, s2
	s_waitcnt vmcnt(0) lgkmcnt(0)
	v_cndmask_b32_e32 v1, 0, v40, vcc
	v_sub_u16_e32 v1, v10, v1
	v_perm_b32 v29, v29, v53, s2
	v_perm_b32 v30, v30, v50, s2
	v_perm_b32 v32, v49, v32, s2
	v_perm_b32 v31, v48, v31, s2
	v_perm_b32 v33, v47, v33, s2
	v_perm_b32 v34, v46, v34, s2
	v_perm_b32 v37, v45, v37, s2
	v_perm_b32 v35, v44, v35, s2
	v_perm_b32 v38, v43, v38, s2
	v_perm_b32 v36, v42, v36, s2
	v_perm_b32 v39, v41, v39, s2
.LBB71_76:
	s_cbranch_execnz .LBB71_85
.LBB71_77:
	s_cmp_eq_u64 s[8:9], 1
	v_cmp_ne_u32_e32 vcc, 0, v0
	s_cbranch_scc1 .LBB71_81
; %bb.78:
	s_mov_b32 s4, 0x5040100
	v_mov_b32_e32 v1, v10
	ds_write_b16 v14, v5
	s_waitcnt lgkmcnt(0)
	; wave barrier
	s_waitcnt lgkmcnt(0)
	s_and_saveexec_b64 s[2:3], vcc
	s_cbranch_execz .LBB71_80
; %bb.79:
	v_add_u32_e32 v1, -2, v14
	ds_read_u16 v1, v1
	s_waitcnt lgkmcnt(0)
	v_sub_u16_e32 v1, v10, v1
.LBB71_80:
	s_or_b64 exec, exec, s[2:3]
	v_perm_b32 v25, v15, v10, s4
	v_alignbit_b32 v29, v13, v15, 16
	v_lshrrev_b32_e32 v28, 16, v13
	v_perm_b32 v30, v20, v12, s4
	v_alignbit_b32 v32, v21, v20, 16
	v_lshrrev_b32_e32 v26, 16, v21
	v_perm_b32 v31, v11, v6, s4
	v_alignbit_b32 v33, v9, v11, 16
	v_lshrrev_b32_e32 v27, 16, v9
	v_perm_b32 v34, v18, v8, s4
	v_alignbit_b32 v37, v19, v18, 16
	v_lshrrev_b32_e32 v24, 16, v19
	v_perm_b32 v35, v3, v2, s4
	v_alignbit_b32 v38, v7, v3, 16
	v_lshrrev_b32_e32 v23, 16, v7
	v_perm_b32 v36, v16, v4, s4
	v_alignbit_b32 v39, v17, v16, 16
	v_lshrrev_b32_e32 v22, 16, v17
	s_cbranch_execz .LBB71_82
	s_branch .LBB71_85
.LBB71_81:
                                        ; implicit-def: $vgpr39
                                        ; implicit-def: $vgpr36
                                        ; implicit-def: $vgpr38
                                        ; implicit-def: $vgpr35
                                        ; implicit-def: $vgpr37
                                        ; implicit-def: $vgpr34
                                        ; implicit-def: $vgpr33
                                        ; implicit-def: $vgpr31
                                        ; implicit-def: $vgpr32
                                        ; implicit-def: $vgpr30
                                        ; implicit-def: $vgpr29
                                        ; implicit-def: $vgpr25
                                        ; implicit-def: $vgpr1
                                        ; implicit-def: $vgpr28
                                        ; implicit-def: $vgpr26
                                        ; implicit-def: $vgpr27
                                        ; implicit-def: $vgpr24
                                        ; implicit-def: $vgpr23
                                        ; implicit-def: $vgpr22
.LBB71_82:
	v_mad_u32_u24 v1, v0, 31, 30
	v_cmp_gt_u32_e32 vcc, s18, v1
	v_mad_u32_u24 v1, v0, 31, 29
	v_mad_u32_u24 v23, v0, 31, 28
	v_cmp_gt_u32_e64 s[2:3], s18, v1
	v_mad_u32_u24 v24, v0, 31, 26
	v_lshrrev_b32_e32 v26, 16, v16
	v_cndmask_b32_e64 v1, 0, v17, s[2:3]
	v_cmp_gt_u32_e64 s[2:3], s18, v23
	v_mad_u32_u24 v25, v0, 31, 27
	v_lshrrev_b32_e32 v29, 16, v3
	v_cndmask_b32_e64 v39, 0, v26, s[2:3]
	v_cmp_gt_u32_e64 s[2:3], s18, v24
	v_mad_u32_u24 v24, v0, 31, 24
	v_cmp_gt_u32_e64 s[4:5], s18, v24
	v_cndmask_b32_e64 v36, 0, v4, s[2:3]
	v_cmp_gt_u32_e64 s[2:3], s18, v25
	v_mad_u32_u24 v25, v0, 31, 23
	v_mad_u32_u24 v26, v0, 31, 21
	v_cndmask_b32_e64 v38, 0, v7, s[4:5]
	v_cmp_gt_u32_e64 s[4:5], s18, v25
	v_mad_u32_u24 v25, v0, 31, 19
	v_mad_u32_u24 v28, v0, 31, 22
	v_cndmask_b32_e64 v41, 0, v29, s[4:5]
	v_cmp_gt_u32_e64 s[4:5], s18, v26
	v_mad_u32_u24 v26, v0, 31, 18
	v_cmp_gt_u32_e64 s[6:7], s18, v25
	v_cndmask_b32_e64 v35, 0, v2, s[4:5]
	v_cmp_gt_u32_e64 s[4:5], s18, v28
	v_mad_u32_u24 v28, v0, 31, 16
	v_lshrrev_b32_e32 v30, 16, v18
	v_cndmask_b32_e64 v37, 0, v19, s[6:7]
	v_cmp_gt_u32_e64 s[6:7], s18, v26
	v_mad_u32_u24 v26, v0, 31, 14
	v_mad_u32_u24 v29, v0, 31, 17
	v_cndmask_b32_e64 v43, 0, v30, s[6:7]
	v_cmp_gt_u32_e64 s[6:7], s18, v28
	v_mad_u32_u24 v28, v0, 31, 13
	v_cmp_gt_u32_e64 s[8:9], s18, v26
	v_cndmask_b32_e64 v34, 0, v8, s[6:7]
	v_cmp_gt_u32_e64 s[6:7], s18, v29
	v_mad_u32_u24 v29, v0, 31, 11
	v_lshrrev_b32_e32 v31, 16, v11
	v_cndmask_b32_e64 v33, 0, v9, s[8:9]
	v_cmp_gt_u32_e64 s[8:9], s18, v28
	v_mad_u32_u24 v28, v0, 31, 9
	v_cmp_gt_u32_e64 s[10:11], s18, v28
	v_cndmask_b32_e64 v45, 0, v31, s[8:9]
	v_cmp_gt_u32_e64 s[8:9], s18, v29
	v_mad_u32_u24 v29, v0, 31, 8
	v_cndmask_b32_e64 v32, 0, v21, s[10:11]
	v_cmp_gt_u32_e64 s[10:11], s18, v29
	v_mad_u32_u24 v29, v0, 31, 4
	v_mad_u32_u24 v49, v0, 31, 3
	v_cmp_gt_u32_e64 s[12:13], s18, v29
	v_mad_u32_u24 v30, v0, 31, 12
	v_mad_u32_u24 v50, v0, 31, 1
	v_lshrrev_b32_e32 v52, 16, v15
	v_cndmask_b32_e64 v29, 0, v13, s[12:13]
	v_cmp_gt_u32_e64 s[12:13], s18, v49
	v_cndmask_b32_e64 v31, 0, v6, s[8:9]
	v_cmp_gt_u32_e64 s[8:9], s18, v30
	v_mad_u32_u24 v30, v0, 31, 6
	v_lshrrev_b32_e32 v47, 16, v20
	v_mad_u32_u24 v51, v0, 31, 2
	v_cndmask_b32_e64 v49, 0, v52, s[12:13]
	v_cmp_gt_u32_e64 s[12:13], s18, v50
	v_mul_u32_u24_e32 v27, 31, v0
	v_mad_u32_u24 v48, v0, 31, 7
	v_cndmask_b32_e64 v47, 0, v47, s[10:11]
	v_cmp_gt_u32_e64 s[10:11], s18, v30
	v_cndmask_b32_e64 v50, 0, v10, s[12:13]
	v_cmp_gt_u32_e64 s[12:13], s18, v51
	v_mad_u32_u24 v23, v0, 31, 25
	v_mad_u32_u24 v24, v0, 31, 20
	;; [unrolled: 1-line block ×4, first 2 shown]
	v_cndmask_b32_e64 v30, 0, v12, s[10:11]
	v_cmp_gt_u32_e64 s[10:11], s18, v48
	v_mad_u32_u24 v28, v0, 31, 5
	v_cndmask_b32_e64 v51, 0, v15, s[12:13]
	v_cmp_ne_u32_e64 s[12:13], 0, v0
	v_cmp_gt_u32_e64 s[14:15], s18, v27
	v_lshrrev_b32_e32 v22, 16, v17
	s_waitcnt vmcnt(0)
	v_cndmask_b32_e64 v40, 0, v16, s[2:3]
	v_cmp_gt_u32_e64 s[2:3], s18, v23
	v_lshrrev_b32_e32 v23, 16, v7
	v_cndmask_b32_e64 v42, 0, v3, s[4:5]
	v_cmp_gt_u32_e64 s[4:5], s18, v24
	v_lshrrev_b32_e32 v24, 16, v19
	;; [unrolled: 3-line block ×5, first 2 shown]
	s_and_b64 s[24:25], s[12:13], s[14:15]
	s_mov_b32 s14, 0x5040100
	ds_write_b16 v14, v5
	s_waitcnt lgkmcnt(0)
	; wave barrier
	s_waitcnt lgkmcnt(0)
	s_and_saveexec_b64 s[12:13], s[24:25]
	s_cbranch_execz .LBB71_84
; %bb.83:
	v_add_u32_e32 v27, -2, v14
	ds_read_u16 v27, v27
	s_waitcnt lgkmcnt(0)
	v_sub_u16_e32 v10, v10, v27
.LBB71_84:
	s_or_b64 exec, exec, s[12:13]
	v_cndmask_b32_e32 v22, 0, v22, vcc
	v_cndmask_b32_e64 v23, 0, v23, s[2:3]
	v_cndmask_b32_e64 v24, 0, v24, s[4:5]
	;; [unrolled: 1-line block ×5, first 2 shown]
	v_perm_b32 v25, v51, v50, s14
	v_perm_b32 v29, v29, v49, s14
	;; [unrolled: 1-line block ×12, first 2 shown]
	v_mov_b32_e32 v1, v10
.LBB71_85:
	s_add_u32 s4, s16, s22
	v_pk_sub_i16 v10, v13, v29
	v_pk_sub_i16 v25, v15, v25
	v_sub_u16_e32 v12, v12, v28
	v_sub_u16_e32 v13, v6, v26
	v_pk_sub_i16 v6, v9, v33
	v_pk_sub_i16 v26, v11, v31
	v_sub_u16_e32 v8, v8, v27
	v_sub_u16_e32 v9, v2, v24
	v_pk_sub_i16 v2, v7, v38
	v_pk_sub_i16 v24, v3, v35
	v_sub_u16_e32 v3, v4, v23
	s_addc_u32 s5, s17, s23
	v_pk_sub_i16 v21, v21, v32
	v_pk_sub_i16 v20, v20, v30
	;; [unrolled: 1-line block ×6, first 2 shown]
	v_sub_u16_e32 v5, v5, v22
	s_and_b64 vcc, exec, s[0:1]
	v_mul_u32_u24_e32 v27, 62, v0
	v_alignbit_b32 v12, v12, v10, 16
	v_alignbit_b32 v11, v10, v25, 16
	;; [unrolled: 1-line block ×6, first 2 shown]
	s_waitcnt lgkmcnt(0)
	; wave barrier
	s_cbranch_vccz .LBB71_147
; %bb.86:
	s_mov_b32 s2, 0x5040100
	v_perm_b32 v10, v25, v1, s2
	v_perm_b32 v6, v26, v13, s2
	;; [unrolled: 1-line block ×3, first 2 shown]
	v_mul_i32_i24_e32 v55, 0xffffffc4, v0
	ds_write_b96 v27, v[10:12]
	ds_write_b64 v27, v[20:21] offset:12
	ds_write_b96 v27, v[6:8] offset:20
	ds_write_b64 v27, v[18:19] offset:32
	ds_write_b96 v27, v[2:4] offset:40
	ds_write_b64 v27, v[16:17] offset:52
	ds_write_b16 v27, v5 offset:60
	v_mad_u32_u24 v2, v0, 62, v55
	s_waitcnt lgkmcnt(0)
	; wave barrier
	s_waitcnt lgkmcnt(0)
	ds_read_u16 v54, v2 offset:128
	ds_read_u16 v53, v2 offset:256
	;; [unrolled: 1-line block ×14, first 2 shown]
	s_waitcnt vmcnt(0)
	ds_read_u16 v40, v2 offset:1920
	ds_read_u16 v39, v2 offset:2048
	ds_read_u16 v38, v2 offset:2176
	ds_read_u16 v37, v2 offset:2304
	ds_read_u16 v36, v2 offset:2432
	ds_read_u16 v35, v2 offset:2560
	ds_read_u16 v34, v2 offset:2688
	ds_read_u16 v33, v2 offset:2816
	ds_read_u16 v32, v2 offset:2944
	ds_read_u16 v31, v2 offset:3072
	ds_read_u16 v30, v2 offset:3200
	ds_read_u16 v29, v2 offset:3328
	ds_read_u16 v28, v2 offset:3456
	ds_read_u16 v10, v2 offset:3584
	ds_read_u16 v6, v2 offset:3712
	ds_read_u16 v2, v2 offset:3840
	s_mov_b32 s21, 0
	s_add_i32 s19, s19, s18
	s_lshl_b64 s[0:1], s[20:21], 1
	s_add_u32 s0, s4, s0
	s_addc_u32 s1, s5, s1
	v_mov_b32_e32 v15, 0
	v_lshl_add_u64 v[22:23], s[0:1], 0, v[14:15]
	v_cmp_gt_u32_e32 vcc, s19, v0
	s_and_saveexec_b64 s[0:1], vcc
	s_cbranch_execz .LBB71_88
; %bb.87:
	v_add_u32_e32 v15, v27, v55
	ds_read_u16 v15, v15
	s_waitcnt lgkmcnt(0)
	global_store_short v[22:23], v15, off
.LBB71_88:
	s_or_b64 exec, exec, s[0:1]
	v_or_b32_e32 v15, 64, v0
	v_cmp_gt_u32_e32 vcc, s19, v15
	s_and_saveexec_b64 s[0:1], vcc
	s_cbranch_execz .LBB71_90
; %bb.89:
	s_waitcnt lgkmcnt(14)
	global_store_short v[22:23], v54, off offset:128
.LBB71_90:
	s_or_b64 exec, exec, s[0:1]
	v_or_b32_e32 v15, 0x80, v0
	v_cmp_gt_u32_e32 vcc, s19, v15
	s_and_saveexec_b64 s[0:1], vcc
	s_cbranch_execz .LBB71_92
; %bb.91:
	s_waitcnt lgkmcnt(14)
	global_store_short v[22:23], v53, off offset:256
.LBB71_92:
	;; [unrolled: 9-line block ×28, first 2 shown]
	s_or_b64 exec, exec, s[0:1]
	s_waitcnt lgkmcnt(2)
	v_or_b32_e32 v10, 0x740, v0
	v_cmp_gt_u32_e32 vcc, s19, v10
	s_and_saveexec_b64 s[0:1], vcc
	s_cbranch_execz .LBB71_146
; %bb.145:
	s_waitcnt lgkmcnt(1)
	global_store_short v[22:23], v6, off offset:3712
.LBB71_146:
	s_or_b64 exec, exec, s[0:1]
	s_waitcnt lgkmcnt(1)
	v_or_b32_e32 v6, 0x780, v0
	v_cmp_gt_u32_e64 s[0:1], s19, v6
	s_branch .LBB71_149
.LBB71_147:
	s_mov_b64 s[0:1], 0
                                        ; implicit-def: $vgpr2
                                        ; implicit-def: $vgpr22_vgpr23
	s_cbranch_execz .LBB71_149
; %bb.148:
	s_mov_b32 s21, 0
	s_lshl_b64 s[2:3], s[20:21], 1
	s_add_u32 s2, s4, s2
	s_mov_b32 s4, 0x5040100
	v_perm_b32 v10, v25, v1, s4
	v_mul_i32_i24_e32 v1, 0xffffffc4, v0
	v_perm_b32 v6, v26, v13, s4
	s_waitcnt lgkmcnt(0)
	v_perm_b32 v2, v24, v9, s4
	v_mad_u32_u24 v0, v0, 62, v1
	ds_write_b96 v27, v[10:12]
	ds_write_b64 v27, v[20:21] offset:12
	ds_write_b96 v27, v[6:8] offset:20
	ds_write_b64 v27, v[18:19] offset:32
	ds_write_b96 v27, v[2:4] offset:40
	ds_write_b64 v27, v[16:17] offset:52
	ds_write_b16 v27, v5 offset:60
	s_waitcnt lgkmcnt(0)
	; wave barrier
	s_waitcnt lgkmcnt(0)
	ds_read_u16 v1, v0
	ds_read_u16 v3, v0 offset:128
	ds_read_u16 v4, v0 offset:256
	;; [unrolled: 1-line block ×30, first 2 shown]
	s_addc_u32 s3, s5, s3
	v_mov_b32_e32 v15, 0
	v_lshl_add_u64 v[22:23], s[2:3], 0, v[14:15]
	s_or_b64 s[0:1], s[0:1], exec
	s_waitcnt lgkmcnt(14)
	global_store_short v14, v1, s[2:3]
	global_store_short v14, v3, s[2:3] offset:128
	global_store_short v14, v4, s[2:3] offset:256
	;; [unrolled: 1-line block ×16, first 2 shown]
	s_waitcnt lgkmcnt(13)
	global_store_short v14, v21, s[2:3] offset:2176
	s_waitcnt lgkmcnt(12)
	global_store_short v14, v24, s[2:3] offset:2304
	;; [unrolled: 2-line block ×13, first 2 shown]
.LBB71_149:
	s_and_saveexec_b64 s[2:3], s[0:1]
	s_cbranch_execnz .LBB71_151
; %bb.150:
	s_endpgm
.LBB71_151:
	s_waitcnt lgkmcnt(0)
	global_store_short v[22:23], v2, off offset:3840
	s_endpgm
	.section	.rodata,"a",@progbits
	.p2align	6, 0x0
	.amdhsa_kernel _ZN7rocprim17ROCPRIM_400000_NS6detail17trampoline_kernelINS0_14default_configENS1_35adjacent_difference_config_selectorILb1EsEEZNS1_24adjacent_difference_implIS3_Lb1ELb0EPsS7_N6thrust23THRUST_200600_302600_NS5minusIsEEEE10hipError_tPvRmT2_T3_mT4_P12ihipStream_tbEUlT_E_NS1_11comp_targetILNS1_3genE5ELNS1_11target_archE942ELNS1_3gpuE9ELNS1_3repE0EEENS1_30default_config_static_selectorELNS0_4arch9wavefront6targetE1EEEvT1_
		.amdhsa_group_segment_fixed_size 3968
		.amdhsa_private_segment_fixed_size 0
		.amdhsa_kernarg_size 56
		.amdhsa_user_sgpr_count 2
		.amdhsa_user_sgpr_dispatch_ptr 0
		.amdhsa_user_sgpr_queue_ptr 0
		.amdhsa_user_sgpr_kernarg_segment_ptr 1
		.amdhsa_user_sgpr_dispatch_id 0
		.amdhsa_user_sgpr_kernarg_preload_length 0
		.amdhsa_user_sgpr_kernarg_preload_offset 0
		.amdhsa_user_sgpr_private_segment_size 0
		.amdhsa_uses_dynamic_stack 0
		.amdhsa_enable_private_segment 0
		.amdhsa_system_sgpr_workgroup_id_x 1
		.amdhsa_system_sgpr_workgroup_id_y 0
		.amdhsa_system_sgpr_workgroup_id_z 0
		.amdhsa_system_sgpr_workgroup_info 0
		.amdhsa_system_vgpr_workitem_id 0
		.amdhsa_next_free_vgpr 56
		.amdhsa_next_free_sgpr 29
		.amdhsa_accum_offset 56
		.amdhsa_reserve_vcc 1
		.amdhsa_float_round_mode_32 0
		.amdhsa_float_round_mode_16_64 0
		.amdhsa_float_denorm_mode_32 3
		.amdhsa_float_denorm_mode_16_64 3
		.amdhsa_dx10_clamp 1
		.amdhsa_ieee_mode 1
		.amdhsa_fp16_overflow 0
		.amdhsa_tg_split 0
		.amdhsa_exception_fp_ieee_invalid_op 0
		.amdhsa_exception_fp_denorm_src 0
		.amdhsa_exception_fp_ieee_div_zero 0
		.amdhsa_exception_fp_ieee_overflow 0
		.amdhsa_exception_fp_ieee_underflow 0
		.amdhsa_exception_fp_ieee_inexact 0
		.amdhsa_exception_int_div_zero 0
	.end_amdhsa_kernel
	.section	.text._ZN7rocprim17ROCPRIM_400000_NS6detail17trampoline_kernelINS0_14default_configENS1_35adjacent_difference_config_selectorILb1EsEEZNS1_24adjacent_difference_implIS3_Lb1ELb0EPsS7_N6thrust23THRUST_200600_302600_NS5minusIsEEEE10hipError_tPvRmT2_T3_mT4_P12ihipStream_tbEUlT_E_NS1_11comp_targetILNS1_3genE5ELNS1_11target_archE942ELNS1_3gpuE9ELNS1_3repE0EEENS1_30default_config_static_selectorELNS0_4arch9wavefront6targetE1EEEvT1_,"axG",@progbits,_ZN7rocprim17ROCPRIM_400000_NS6detail17trampoline_kernelINS0_14default_configENS1_35adjacent_difference_config_selectorILb1EsEEZNS1_24adjacent_difference_implIS3_Lb1ELb0EPsS7_N6thrust23THRUST_200600_302600_NS5minusIsEEEE10hipError_tPvRmT2_T3_mT4_P12ihipStream_tbEUlT_E_NS1_11comp_targetILNS1_3genE5ELNS1_11target_archE942ELNS1_3gpuE9ELNS1_3repE0EEENS1_30default_config_static_selectorELNS0_4arch9wavefront6targetE1EEEvT1_,comdat
.Lfunc_end71:
	.size	_ZN7rocprim17ROCPRIM_400000_NS6detail17trampoline_kernelINS0_14default_configENS1_35adjacent_difference_config_selectorILb1EsEEZNS1_24adjacent_difference_implIS3_Lb1ELb0EPsS7_N6thrust23THRUST_200600_302600_NS5minusIsEEEE10hipError_tPvRmT2_T3_mT4_P12ihipStream_tbEUlT_E_NS1_11comp_targetILNS1_3genE5ELNS1_11target_archE942ELNS1_3gpuE9ELNS1_3repE0EEENS1_30default_config_static_selectorELNS0_4arch9wavefront6targetE1EEEvT1_, .Lfunc_end71-_ZN7rocprim17ROCPRIM_400000_NS6detail17trampoline_kernelINS0_14default_configENS1_35adjacent_difference_config_selectorILb1EsEEZNS1_24adjacent_difference_implIS3_Lb1ELb0EPsS7_N6thrust23THRUST_200600_302600_NS5minusIsEEEE10hipError_tPvRmT2_T3_mT4_P12ihipStream_tbEUlT_E_NS1_11comp_targetILNS1_3genE5ELNS1_11target_archE942ELNS1_3gpuE9ELNS1_3repE0EEENS1_30default_config_static_selectorELNS0_4arch9wavefront6targetE1EEEvT1_
                                        ; -- End function
	.section	.AMDGPU.csdata,"",@progbits
; Kernel info:
; codeLenInByte = 7168
; NumSgprs: 35
; NumVgprs: 56
; NumAgprs: 0
; TotalNumVgprs: 56
; ScratchSize: 0
; MemoryBound: 0
; FloatMode: 240
; IeeeMode: 1
; LDSByteSize: 3968 bytes/workgroup (compile time only)
; SGPRBlocks: 4
; VGPRBlocks: 6
; NumSGPRsForWavesPerEU: 35
; NumVGPRsForWavesPerEU: 56
; AccumOffset: 56
; Occupancy: 4
; WaveLimiterHint : 1
; COMPUTE_PGM_RSRC2:SCRATCH_EN: 0
; COMPUTE_PGM_RSRC2:USER_SGPR: 2
; COMPUTE_PGM_RSRC2:TRAP_HANDLER: 0
; COMPUTE_PGM_RSRC2:TGID_X_EN: 1
; COMPUTE_PGM_RSRC2:TGID_Y_EN: 0
; COMPUTE_PGM_RSRC2:TGID_Z_EN: 0
; COMPUTE_PGM_RSRC2:TIDIG_COMP_CNT: 0
; COMPUTE_PGM_RSRC3_GFX90A:ACCUM_OFFSET: 13
; COMPUTE_PGM_RSRC3_GFX90A:TG_SPLIT: 0
	.section	.text._ZN7rocprim17ROCPRIM_400000_NS6detail17trampoline_kernelINS0_14default_configENS1_35adjacent_difference_config_selectorILb1EsEEZNS1_24adjacent_difference_implIS3_Lb1ELb0EPsS7_N6thrust23THRUST_200600_302600_NS5minusIsEEEE10hipError_tPvRmT2_T3_mT4_P12ihipStream_tbEUlT_E_NS1_11comp_targetILNS1_3genE4ELNS1_11target_archE910ELNS1_3gpuE8ELNS1_3repE0EEENS1_30default_config_static_selectorELNS0_4arch9wavefront6targetE1EEEvT1_,"axG",@progbits,_ZN7rocprim17ROCPRIM_400000_NS6detail17trampoline_kernelINS0_14default_configENS1_35adjacent_difference_config_selectorILb1EsEEZNS1_24adjacent_difference_implIS3_Lb1ELb0EPsS7_N6thrust23THRUST_200600_302600_NS5minusIsEEEE10hipError_tPvRmT2_T3_mT4_P12ihipStream_tbEUlT_E_NS1_11comp_targetILNS1_3genE4ELNS1_11target_archE910ELNS1_3gpuE8ELNS1_3repE0EEENS1_30default_config_static_selectorELNS0_4arch9wavefront6targetE1EEEvT1_,comdat
	.protected	_ZN7rocprim17ROCPRIM_400000_NS6detail17trampoline_kernelINS0_14default_configENS1_35adjacent_difference_config_selectorILb1EsEEZNS1_24adjacent_difference_implIS3_Lb1ELb0EPsS7_N6thrust23THRUST_200600_302600_NS5minusIsEEEE10hipError_tPvRmT2_T3_mT4_P12ihipStream_tbEUlT_E_NS1_11comp_targetILNS1_3genE4ELNS1_11target_archE910ELNS1_3gpuE8ELNS1_3repE0EEENS1_30default_config_static_selectorELNS0_4arch9wavefront6targetE1EEEvT1_ ; -- Begin function _ZN7rocprim17ROCPRIM_400000_NS6detail17trampoline_kernelINS0_14default_configENS1_35adjacent_difference_config_selectorILb1EsEEZNS1_24adjacent_difference_implIS3_Lb1ELb0EPsS7_N6thrust23THRUST_200600_302600_NS5minusIsEEEE10hipError_tPvRmT2_T3_mT4_P12ihipStream_tbEUlT_E_NS1_11comp_targetILNS1_3genE4ELNS1_11target_archE910ELNS1_3gpuE8ELNS1_3repE0EEENS1_30default_config_static_selectorELNS0_4arch9wavefront6targetE1EEEvT1_
	.globl	_ZN7rocprim17ROCPRIM_400000_NS6detail17trampoline_kernelINS0_14default_configENS1_35adjacent_difference_config_selectorILb1EsEEZNS1_24adjacent_difference_implIS3_Lb1ELb0EPsS7_N6thrust23THRUST_200600_302600_NS5minusIsEEEE10hipError_tPvRmT2_T3_mT4_P12ihipStream_tbEUlT_E_NS1_11comp_targetILNS1_3genE4ELNS1_11target_archE910ELNS1_3gpuE8ELNS1_3repE0EEENS1_30default_config_static_selectorELNS0_4arch9wavefront6targetE1EEEvT1_
	.p2align	8
	.type	_ZN7rocprim17ROCPRIM_400000_NS6detail17trampoline_kernelINS0_14default_configENS1_35adjacent_difference_config_selectorILb1EsEEZNS1_24adjacent_difference_implIS3_Lb1ELb0EPsS7_N6thrust23THRUST_200600_302600_NS5minusIsEEEE10hipError_tPvRmT2_T3_mT4_P12ihipStream_tbEUlT_E_NS1_11comp_targetILNS1_3genE4ELNS1_11target_archE910ELNS1_3gpuE8ELNS1_3repE0EEENS1_30default_config_static_selectorELNS0_4arch9wavefront6targetE1EEEvT1_,@function
_ZN7rocprim17ROCPRIM_400000_NS6detail17trampoline_kernelINS0_14default_configENS1_35adjacent_difference_config_selectorILb1EsEEZNS1_24adjacent_difference_implIS3_Lb1ELb0EPsS7_N6thrust23THRUST_200600_302600_NS5minusIsEEEE10hipError_tPvRmT2_T3_mT4_P12ihipStream_tbEUlT_E_NS1_11comp_targetILNS1_3genE4ELNS1_11target_archE910ELNS1_3gpuE8ELNS1_3repE0EEENS1_30default_config_static_selectorELNS0_4arch9wavefront6targetE1EEEvT1_: ; @_ZN7rocprim17ROCPRIM_400000_NS6detail17trampoline_kernelINS0_14default_configENS1_35adjacent_difference_config_selectorILb1EsEEZNS1_24adjacent_difference_implIS3_Lb1ELb0EPsS7_N6thrust23THRUST_200600_302600_NS5minusIsEEEE10hipError_tPvRmT2_T3_mT4_P12ihipStream_tbEUlT_E_NS1_11comp_targetILNS1_3genE4ELNS1_11target_archE910ELNS1_3gpuE8ELNS1_3repE0EEENS1_30default_config_static_selectorELNS0_4arch9wavefront6targetE1EEEvT1_
; %bb.0:
	.section	.rodata,"a",@progbits
	.p2align	6, 0x0
	.amdhsa_kernel _ZN7rocprim17ROCPRIM_400000_NS6detail17trampoline_kernelINS0_14default_configENS1_35adjacent_difference_config_selectorILb1EsEEZNS1_24adjacent_difference_implIS3_Lb1ELb0EPsS7_N6thrust23THRUST_200600_302600_NS5minusIsEEEE10hipError_tPvRmT2_T3_mT4_P12ihipStream_tbEUlT_E_NS1_11comp_targetILNS1_3genE4ELNS1_11target_archE910ELNS1_3gpuE8ELNS1_3repE0EEENS1_30default_config_static_selectorELNS0_4arch9wavefront6targetE1EEEvT1_
		.amdhsa_group_segment_fixed_size 0
		.amdhsa_private_segment_fixed_size 0
		.amdhsa_kernarg_size 56
		.amdhsa_user_sgpr_count 2
		.amdhsa_user_sgpr_dispatch_ptr 0
		.amdhsa_user_sgpr_queue_ptr 0
		.amdhsa_user_sgpr_kernarg_segment_ptr 1
		.amdhsa_user_sgpr_dispatch_id 0
		.amdhsa_user_sgpr_kernarg_preload_length 0
		.amdhsa_user_sgpr_kernarg_preload_offset 0
		.amdhsa_user_sgpr_private_segment_size 0
		.amdhsa_uses_dynamic_stack 0
		.amdhsa_enable_private_segment 0
		.amdhsa_system_sgpr_workgroup_id_x 1
		.amdhsa_system_sgpr_workgroup_id_y 0
		.amdhsa_system_sgpr_workgroup_id_z 0
		.amdhsa_system_sgpr_workgroup_info 0
		.amdhsa_system_vgpr_workitem_id 0
		.amdhsa_next_free_vgpr 1
		.amdhsa_next_free_sgpr 0
		.amdhsa_accum_offset 4
		.amdhsa_reserve_vcc 0
		.amdhsa_float_round_mode_32 0
		.amdhsa_float_round_mode_16_64 0
		.amdhsa_float_denorm_mode_32 3
		.amdhsa_float_denorm_mode_16_64 3
		.amdhsa_dx10_clamp 1
		.amdhsa_ieee_mode 1
		.amdhsa_fp16_overflow 0
		.amdhsa_tg_split 0
		.amdhsa_exception_fp_ieee_invalid_op 0
		.amdhsa_exception_fp_denorm_src 0
		.amdhsa_exception_fp_ieee_div_zero 0
		.amdhsa_exception_fp_ieee_overflow 0
		.amdhsa_exception_fp_ieee_underflow 0
		.amdhsa_exception_fp_ieee_inexact 0
		.amdhsa_exception_int_div_zero 0
	.end_amdhsa_kernel
	.section	.text._ZN7rocprim17ROCPRIM_400000_NS6detail17trampoline_kernelINS0_14default_configENS1_35adjacent_difference_config_selectorILb1EsEEZNS1_24adjacent_difference_implIS3_Lb1ELb0EPsS7_N6thrust23THRUST_200600_302600_NS5minusIsEEEE10hipError_tPvRmT2_T3_mT4_P12ihipStream_tbEUlT_E_NS1_11comp_targetILNS1_3genE4ELNS1_11target_archE910ELNS1_3gpuE8ELNS1_3repE0EEENS1_30default_config_static_selectorELNS0_4arch9wavefront6targetE1EEEvT1_,"axG",@progbits,_ZN7rocprim17ROCPRIM_400000_NS6detail17trampoline_kernelINS0_14default_configENS1_35adjacent_difference_config_selectorILb1EsEEZNS1_24adjacent_difference_implIS3_Lb1ELb0EPsS7_N6thrust23THRUST_200600_302600_NS5minusIsEEEE10hipError_tPvRmT2_T3_mT4_P12ihipStream_tbEUlT_E_NS1_11comp_targetILNS1_3genE4ELNS1_11target_archE910ELNS1_3gpuE8ELNS1_3repE0EEENS1_30default_config_static_selectorELNS0_4arch9wavefront6targetE1EEEvT1_,comdat
.Lfunc_end72:
	.size	_ZN7rocprim17ROCPRIM_400000_NS6detail17trampoline_kernelINS0_14default_configENS1_35adjacent_difference_config_selectorILb1EsEEZNS1_24adjacent_difference_implIS3_Lb1ELb0EPsS7_N6thrust23THRUST_200600_302600_NS5minusIsEEEE10hipError_tPvRmT2_T3_mT4_P12ihipStream_tbEUlT_E_NS1_11comp_targetILNS1_3genE4ELNS1_11target_archE910ELNS1_3gpuE8ELNS1_3repE0EEENS1_30default_config_static_selectorELNS0_4arch9wavefront6targetE1EEEvT1_, .Lfunc_end72-_ZN7rocprim17ROCPRIM_400000_NS6detail17trampoline_kernelINS0_14default_configENS1_35adjacent_difference_config_selectorILb1EsEEZNS1_24adjacent_difference_implIS3_Lb1ELb0EPsS7_N6thrust23THRUST_200600_302600_NS5minusIsEEEE10hipError_tPvRmT2_T3_mT4_P12ihipStream_tbEUlT_E_NS1_11comp_targetILNS1_3genE4ELNS1_11target_archE910ELNS1_3gpuE8ELNS1_3repE0EEENS1_30default_config_static_selectorELNS0_4arch9wavefront6targetE1EEEvT1_
                                        ; -- End function
	.section	.AMDGPU.csdata,"",@progbits
; Kernel info:
; codeLenInByte = 0
; NumSgprs: 6
; NumVgprs: 0
; NumAgprs: 0
; TotalNumVgprs: 0
; ScratchSize: 0
; MemoryBound: 0
; FloatMode: 240
; IeeeMode: 1
; LDSByteSize: 0 bytes/workgroup (compile time only)
; SGPRBlocks: 0
; VGPRBlocks: 0
; NumSGPRsForWavesPerEU: 6
; NumVGPRsForWavesPerEU: 1
; AccumOffset: 4
; Occupancy: 8
; WaveLimiterHint : 0
; COMPUTE_PGM_RSRC2:SCRATCH_EN: 0
; COMPUTE_PGM_RSRC2:USER_SGPR: 2
; COMPUTE_PGM_RSRC2:TRAP_HANDLER: 0
; COMPUTE_PGM_RSRC2:TGID_X_EN: 1
; COMPUTE_PGM_RSRC2:TGID_Y_EN: 0
; COMPUTE_PGM_RSRC2:TGID_Z_EN: 0
; COMPUTE_PGM_RSRC2:TIDIG_COMP_CNT: 0
; COMPUTE_PGM_RSRC3_GFX90A:ACCUM_OFFSET: 0
; COMPUTE_PGM_RSRC3_GFX90A:TG_SPLIT: 0
	.section	.text._ZN7rocprim17ROCPRIM_400000_NS6detail17trampoline_kernelINS0_14default_configENS1_35adjacent_difference_config_selectorILb1EsEEZNS1_24adjacent_difference_implIS3_Lb1ELb0EPsS7_N6thrust23THRUST_200600_302600_NS5minusIsEEEE10hipError_tPvRmT2_T3_mT4_P12ihipStream_tbEUlT_E_NS1_11comp_targetILNS1_3genE3ELNS1_11target_archE908ELNS1_3gpuE7ELNS1_3repE0EEENS1_30default_config_static_selectorELNS0_4arch9wavefront6targetE1EEEvT1_,"axG",@progbits,_ZN7rocprim17ROCPRIM_400000_NS6detail17trampoline_kernelINS0_14default_configENS1_35adjacent_difference_config_selectorILb1EsEEZNS1_24adjacent_difference_implIS3_Lb1ELb0EPsS7_N6thrust23THRUST_200600_302600_NS5minusIsEEEE10hipError_tPvRmT2_T3_mT4_P12ihipStream_tbEUlT_E_NS1_11comp_targetILNS1_3genE3ELNS1_11target_archE908ELNS1_3gpuE7ELNS1_3repE0EEENS1_30default_config_static_selectorELNS0_4arch9wavefront6targetE1EEEvT1_,comdat
	.protected	_ZN7rocprim17ROCPRIM_400000_NS6detail17trampoline_kernelINS0_14default_configENS1_35adjacent_difference_config_selectorILb1EsEEZNS1_24adjacent_difference_implIS3_Lb1ELb0EPsS7_N6thrust23THRUST_200600_302600_NS5minusIsEEEE10hipError_tPvRmT2_T3_mT4_P12ihipStream_tbEUlT_E_NS1_11comp_targetILNS1_3genE3ELNS1_11target_archE908ELNS1_3gpuE7ELNS1_3repE0EEENS1_30default_config_static_selectorELNS0_4arch9wavefront6targetE1EEEvT1_ ; -- Begin function _ZN7rocprim17ROCPRIM_400000_NS6detail17trampoline_kernelINS0_14default_configENS1_35adjacent_difference_config_selectorILb1EsEEZNS1_24adjacent_difference_implIS3_Lb1ELb0EPsS7_N6thrust23THRUST_200600_302600_NS5minusIsEEEE10hipError_tPvRmT2_T3_mT4_P12ihipStream_tbEUlT_E_NS1_11comp_targetILNS1_3genE3ELNS1_11target_archE908ELNS1_3gpuE7ELNS1_3repE0EEENS1_30default_config_static_selectorELNS0_4arch9wavefront6targetE1EEEvT1_
	.globl	_ZN7rocprim17ROCPRIM_400000_NS6detail17trampoline_kernelINS0_14default_configENS1_35adjacent_difference_config_selectorILb1EsEEZNS1_24adjacent_difference_implIS3_Lb1ELb0EPsS7_N6thrust23THRUST_200600_302600_NS5minusIsEEEE10hipError_tPvRmT2_T3_mT4_P12ihipStream_tbEUlT_E_NS1_11comp_targetILNS1_3genE3ELNS1_11target_archE908ELNS1_3gpuE7ELNS1_3repE0EEENS1_30default_config_static_selectorELNS0_4arch9wavefront6targetE1EEEvT1_
	.p2align	8
	.type	_ZN7rocprim17ROCPRIM_400000_NS6detail17trampoline_kernelINS0_14default_configENS1_35adjacent_difference_config_selectorILb1EsEEZNS1_24adjacent_difference_implIS3_Lb1ELb0EPsS7_N6thrust23THRUST_200600_302600_NS5minusIsEEEE10hipError_tPvRmT2_T3_mT4_P12ihipStream_tbEUlT_E_NS1_11comp_targetILNS1_3genE3ELNS1_11target_archE908ELNS1_3gpuE7ELNS1_3repE0EEENS1_30default_config_static_selectorELNS0_4arch9wavefront6targetE1EEEvT1_,@function
_ZN7rocprim17ROCPRIM_400000_NS6detail17trampoline_kernelINS0_14default_configENS1_35adjacent_difference_config_selectorILb1EsEEZNS1_24adjacent_difference_implIS3_Lb1ELb0EPsS7_N6thrust23THRUST_200600_302600_NS5minusIsEEEE10hipError_tPvRmT2_T3_mT4_P12ihipStream_tbEUlT_E_NS1_11comp_targetILNS1_3genE3ELNS1_11target_archE908ELNS1_3gpuE7ELNS1_3repE0EEENS1_30default_config_static_selectorELNS0_4arch9wavefront6targetE1EEEvT1_: ; @_ZN7rocprim17ROCPRIM_400000_NS6detail17trampoline_kernelINS0_14default_configENS1_35adjacent_difference_config_selectorILb1EsEEZNS1_24adjacent_difference_implIS3_Lb1ELb0EPsS7_N6thrust23THRUST_200600_302600_NS5minusIsEEEE10hipError_tPvRmT2_T3_mT4_P12ihipStream_tbEUlT_E_NS1_11comp_targetILNS1_3genE3ELNS1_11target_archE908ELNS1_3gpuE7ELNS1_3repE0EEENS1_30default_config_static_selectorELNS0_4arch9wavefront6targetE1EEEvT1_
; %bb.0:
	.section	.rodata,"a",@progbits
	.p2align	6, 0x0
	.amdhsa_kernel _ZN7rocprim17ROCPRIM_400000_NS6detail17trampoline_kernelINS0_14default_configENS1_35adjacent_difference_config_selectorILb1EsEEZNS1_24adjacent_difference_implIS3_Lb1ELb0EPsS7_N6thrust23THRUST_200600_302600_NS5minusIsEEEE10hipError_tPvRmT2_T3_mT4_P12ihipStream_tbEUlT_E_NS1_11comp_targetILNS1_3genE3ELNS1_11target_archE908ELNS1_3gpuE7ELNS1_3repE0EEENS1_30default_config_static_selectorELNS0_4arch9wavefront6targetE1EEEvT1_
		.amdhsa_group_segment_fixed_size 0
		.amdhsa_private_segment_fixed_size 0
		.amdhsa_kernarg_size 56
		.amdhsa_user_sgpr_count 2
		.amdhsa_user_sgpr_dispatch_ptr 0
		.amdhsa_user_sgpr_queue_ptr 0
		.amdhsa_user_sgpr_kernarg_segment_ptr 1
		.amdhsa_user_sgpr_dispatch_id 0
		.amdhsa_user_sgpr_kernarg_preload_length 0
		.amdhsa_user_sgpr_kernarg_preload_offset 0
		.amdhsa_user_sgpr_private_segment_size 0
		.amdhsa_uses_dynamic_stack 0
		.amdhsa_enable_private_segment 0
		.amdhsa_system_sgpr_workgroup_id_x 1
		.amdhsa_system_sgpr_workgroup_id_y 0
		.amdhsa_system_sgpr_workgroup_id_z 0
		.amdhsa_system_sgpr_workgroup_info 0
		.amdhsa_system_vgpr_workitem_id 0
		.amdhsa_next_free_vgpr 1
		.amdhsa_next_free_sgpr 0
		.amdhsa_accum_offset 4
		.amdhsa_reserve_vcc 0
		.amdhsa_float_round_mode_32 0
		.amdhsa_float_round_mode_16_64 0
		.amdhsa_float_denorm_mode_32 3
		.amdhsa_float_denorm_mode_16_64 3
		.amdhsa_dx10_clamp 1
		.amdhsa_ieee_mode 1
		.amdhsa_fp16_overflow 0
		.amdhsa_tg_split 0
		.amdhsa_exception_fp_ieee_invalid_op 0
		.amdhsa_exception_fp_denorm_src 0
		.amdhsa_exception_fp_ieee_div_zero 0
		.amdhsa_exception_fp_ieee_overflow 0
		.amdhsa_exception_fp_ieee_underflow 0
		.amdhsa_exception_fp_ieee_inexact 0
		.amdhsa_exception_int_div_zero 0
	.end_amdhsa_kernel
	.section	.text._ZN7rocprim17ROCPRIM_400000_NS6detail17trampoline_kernelINS0_14default_configENS1_35adjacent_difference_config_selectorILb1EsEEZNS1_24adjacent_difference_implIS3_Lb1ELb0EPsS7_N6thrust23THRUST_200600_302600_NS5minusIsEEEE10hipError_tPvRmT2_T3_mT4_P12ihipStream_tbEUlT_E_NS1_11comp_targetILNS1_3genE3ELNS1_11target_archE908ELNS1_3gpuE7ELNS1_3repE0EEENS1_30default_config_static_selectorELNS0_4arch9wavefront6targetE1EEEvT1_,"axG",@progbits,_ZN7rocprim17ROCPRIM_400000_NS6detail17trampoline_kernelINS0_14default_configENS1_35adjacent_difference_config_selectorILb1EsEEZNS1_24adjacent_difference_implIS3_Lb1ELb0EPsS7_N6thrust23THRUST_200600_302600_NS5minusIsEEEE10hipError_tPvRmT2_T3_mT4_P12ihipStream_tbEUlT_E_NS1_11comp_targetILNS1_3genE3ELNS1_11target_archE908ELNS1_3gpuE7ELNS1_3repE0EEENS1_30default_config_static_selectorELNS0_4arch9wavefront6targetE1EEEvT1_,comdat
.Lfunc_end73:
	.size	_ZN7rocprim17ROCPRIM_400000_NS6detail17trampoline_kernelINS0_14default_configENS1_35adjacent_difference_config_selectorILb1EsEEZNS1_24adjacent_difference_implIS3_Lb1ELb0EPsS7_N6thrust23THRUST_200600_302600_NS5minusIsEEEE10hipError_tPvRmT2_T3_mT4_P12ihipStream_tbEUlT_E_NS1_11comp_targetILNS1_3genE3ELNS1_11target_archE908ELNS1_3gpuE7ELNS1_3repE0EEENS1_30default_config_static_selectorELNS0_4arch9wavefront6targetE1EEEvT1_, .Lfunc_end73-_ZN7rocprim17ROCPRIM_400000_NS6detail17trampoline_kernelINS0_14default_configENS1_35adjacent_difference_config_selectorILb1EsEEZNS1_24adjacent_difference_implIS3_Lb1ELb0EPsS7_N6thrust23THRUST_200600_302600_NS5minusIsEEEE10hipError_tPvRmT2_T3_mT4_P12ihipStream_tbEUlT_E_NS1_11comp_targetILNS1_3genE3ELNS1_11target_archE908ELNS1_3gpuE7ELNS1_3repE0EEENS1_30default_config_static_selectorELNS0_4arch9wavefront6targetE1EEEvT1_
                                        ; -- End function
	.section	.AMDGPU.csdata,"",@progbits
; Kernel info:
; codeLenInByte = 0
; NumSgprs: 6
; NumVgprs: 0
; NumAgprs: 0
; TotalNumVgprs: 0
; ScratchSize: 0
; MemoryBound: 0
; FloatMode: 240
; IeeeMode: 1
; LDSByteSize: 0 bytes/workgroup (compile time only)
; SGPRBlocks: 0
; VGPRBlocks: 0
; NumSGPRsForWavesPerEU: 6
; NumVGPRsForWavesPerEU: 1
; AccumOffset: 4
; Occupancy: 8
; WaveLimiterHint : 0
; COMPUTE_PGM_RSRC2:SCRATCH_EN: 0
; COMPUTE_PGM_RSRC2:USER_SGPR: 2
; COMPUTE_PGM_RSRC2:TRAP_HANDLER: 0
; COMPUTE_PGM_RSRC2:TGID_X_EN: 1
; COMPUTE_PGM_RSRC2:TGID_Y_EN: 0
; COMPUTE_PGM_RSRC2:TGID_Z_EN: 0
; COMPUTE_PGM_RSRC2:TIDIG_COMP_CNT: 0
; COMPUTE_PGM_RSRC3_GFX90A:ACCUM_OFFSET: 0
; COMPUTE_PGM_RSRC3_GFX90A:TG_SPLIT: 0
	.section	.text._ZN7rocprim17ROCPRIM_400000_NS6detail17trampoline_kernelINS0_14default_configENS1_35adjacent_difference_config_selectorILb1EsEEZNS1_24adjacent_difference_implIS3_Lb1ELb0EPsS7_N6thrust23THRUST_200600_302600_NS5minusIsEEEE10hipError_tPvRmT2_T3_mT4_P12ihipStream_tbEUlT_E_NS1_11comp_targetILNS1_3genE2ELNS1_11target_archE906ELNS1_3gpuE6ELNS1_3repE0EEENS1_30default_config_static_selectorELNS0_4arch9wavefront6targetE1EEEvT1_,"axG",@progbits,_ZN7rocprim17ROCPRIM_400000_NS6detail17trampoline_kernelINS0_14default_configENS1_35adjacent_difference_config_selectorILb1EsEEZNS1_24adjacent_difference_implIS3_Lb1ELb0EPsS7_N6thrust23THRUST_200600_302600_NS5minusIsEEEE10hipError_tPvRmT2_T3_mT4_P12ihipStream_tbEUlT_E_NS1_11comp_targetILNS1_3genE2ELNS1_11target_archE906ELNS1_3gpuE6ELNS1_3repE0EEENS1_30default_config_static_selectorELNS0_4arch9wavefront6targetE1EEEvT1_,comdat
	.protected	_ZN7rocprim17ROCPRIM_400000_NS6detail17trampoline_kernelINS0_14default_configENS1_35adjacent_difference_config_selectorILb1EsEEZNS1_24adjacent_difference_implIS3_Lb1ELb0EPsS7_N6thrust23THRUST_200600_302600_NS5minusIsEEEE10hipError_tPvRmT2_T3_mT4_P12ihipStream_tbEUlT_E_NS1_11comp_targetILNS1_3genE2ELNS1_11target_archE906ELNS1_3gpuE6ELNS1_3repE0EEENS1_30default_config_static_selectorELNS0_4arch9wavefront6targetE1EEEvT1_ ; -- Begin function _ZN7rocprim17ROCPRIM_400000_NS6detail17trampoline_kernelINS0_14default_configENS1_35adjacent_difference_config_selectorILb1EsEEZNS1_24adjacent_difference_implIS3_Lb1ELb0EPsS7_N6thrust23THRUST_200600_302600_NS5minusIsEEEE10hipError_tPvRmT2_T3_mT4_P12ihipStream_tbEUlT_E_NS1_11comp_targetILNS1_3genE2ELNS1_11target_archE906ELNS1_3gpuE6ELNS1_3repE0EEENS1_30default_config_static_selectorELNS0_4arch9wavefront6targetE1EEEvT1_
	.globl	_ZN7rocprim17ROCPRIM_400000_NS6detail17trampoline_kernelINS0_14default_configENS1_35adjacent_difference_config_selectorILb1EsEEZNS1_24adjacent_difference_implIS3_Lb1ELb0EPsS7_N6thrust23THRUST_200600_302600_NS5minusIsEEEE10hipError_tPvRmT2_T3_mT4_P12ihipStream_tbEUlT_E_NS1_11comp_targetILNS1_3genE2ELNS1_11target_archE906ELNS1_3gpuE6ELNS1_3repE0EEENS1_30default_config_static_selectorELNS0_4arch9wavefront6targetE1EEEvT1_
	.p2align	8
	.type	_ZN7rocprim17ROCPRIM_400000_NS6detail17trampoline_kernelINS0_14default_configENS1_35adjacent_difference_config_selectorILb1EsEEZNS1_24adjacent_difference_implIS3_Lb1ELb0EPsS7_N6thrust23THRUST_200600_302600_NS5minusIsEEEE10hipError_tPvRmT2_T3_mT4_P12ihipStream_tbEUlT_E_NS1_11comp_targetILNS1_3genE2ELNS1_11target_archE906ELNS1_3gpuE6ELNS1_3repE0EEENS1_30default_config_static_selectorELNS0_4arch9wavefront6targetE1EEEvT1_,@function
_ZN7rocprim17ROCPRIM_400000_NS6detail17trampoline_kernelINS0_14default_configENS1_35adjacent_difference_config_selectorILb1EsEEZNS1_24adjacent_difference_implIS3_Lb1ELb0EPsS7_N6thrust23THRUST_200600_302600_NS5minusIsEEEE10hipError_tPvRmT2_T3_mT4_P12ihipStream_tbEUlT_E_NS1_11comp_targetILNS1_3genE2ELNS1_11target_archE906ELNS1_3gpuE6ELNS1_3repE0EEENS1_30default_config_static_selectorELNS0_4arch9wavefront6targetE1EEEvT1_: ; @_ZN7rocprim17ROCPRIM_400000_NS6detail17trampoline_kernelINS0_14default_configENS1_35adjacent_difference_config_selectorILb1EsEEZNS1_24adjacent_difference_implIS3_Lb1ELb0EPsS7_N6thrust23THRUST_200600_302600_NS5minusIsEEEE10hipError_tPvRmT2_T3_mT4_P12ihipStream_tbEUlT_E_NS1_11comp_targetILNS1_3genE2ELNS1_11target_archE906ELNS1_3gpuE6ELNS1_3repE0EEENS1_30default_config_static_selectorELNS0_4arch9wavefront6targetE1EEEvT1_
; %bb.0:
	.section	.rodata,"a",@progbits
	.p2align	6, 0x0
	.amdhsa_kernel _ZN7rocprim17ROCPRIM_400000_NS6detail17trampoline_kernelINS0_14default_configENS1_35adjacent_difference_config_selectorILb1EsEEZNS1_24adjacent_difference_implIS3_Lb1ELb0EPsS7_N6thrust23THRUST_200600_302600_NS5minusIsEEEE10hipError_tPvRmT2_T3_mT4_P12ihipStream_tbEUlT_E_NS1_11comp_targetILNS1_3genE2ELNS1_11target_archE906ELNS1_3gpuE6ELNS1_3repE0EEENS1_30default_config_static_selectorELNS0_4arch9wavefront6targetE1EEEvT1_
		.amdhsa_group_segment_fixed_size 0
		.amdhsa_private_segment_fixed_size 0
		.amdhsa_kernarg_size 56
		.amdhsa_user_sgpr_count 2
		.amdhsa_user_sgpr_dispatch_ptr 0
		.amdhsa_user_sgpr_queue_ptr 0
		.amdhsa_user_sgpr_kernarg_segment_ptr 1
		.amdhsa_user_sgpr_dispatch_id 0
		.amdhsa_user_sgpr_kernarg_preload_length 0
		.amdhsa_user_sgpr_kernarg_preload_offset 0
		.amdhsa_user_sgpr_private_segment_size 0
		.amdhsa_uses_dynamic_stack 0
		.amdhsa_enable_private_segment 0
		.amdhsa_system_sgpr_workgroup_id_x 1
		.amdhsa_system_sgpr_workgroup_id_y 0
		.amdhsa_system_sgpr_workgroup_id_z 0
		.amdhsa_system_sgpr_workgroup_info 0
		.amdhsa_system_vgpr_workitem_id 0
		.amdhsa_next_free_vgpr 1
		.amdhsa_next_free_sgpr 0
		.amdhsa_accum_offset 4
		.amdhsa_reserve_vcc 0
		.amdhsa_float_round_mode_32 0
		.amdhsa_float_round_mode_16_64 0
		.amdhsa_float_denorm_mode_32 3
		.amdhsa_float_denorm_mode_16_64 3
		.amdhsa_dx10_clamp 1
		.amdhsa_ieee_mode 1
		.amdhsa_fp16_overflow 0
		.amdhsa_tg_split 0
		.amdhsa_exception_fp_ieee_invalid_op 0
		.amdhsa_exception_fp_denorm_src 0
		.amdhsa_exception_fp_ieee_div_zero 0
		.amdhsa_exception_fp_ieee_overflow 0
		.amdhsa_exception_fp_ieee_underflow 0
		.amdhsa_exception_fp_ieee_inexact 0
		.amdhsa_exception_int_div_zero 0
	.end_amdhsa_kernel
	.section	.text._ZN7rocprim17ROCPRIM_400000_NS6detail17trampoline_kernelINS0_14default_configENS1_35adjacent_difference_config_selectorILb1EsEEZNS1_24adjacent_difference_implIS3_Lb1ELb0EPsS7_N6thrust23THRUST_200600_302600_NS5minusIsEEEE10hipError_tPvRmT2_T3_mT4_P12ihipStream_tbEUlT_E_NS1_11comp_targetILNS1_3genE2ELNS1_11target_archE906ELNS1_3gpuE6ELNS1_3repE0EEENS1_30default_config_static_selectorELNS0_4arch9wavefront6targetE1EEEvT1_,"axG",@progbits,_ZN7rocprim17ROCPRIM_400000_NS6detail17trampoline_kernelINS0_14default_configENS1_35adjacent_difference_config_selectorILb1EsEEZNS1_24adjacent_difference_implIS3_Lb1ELb0EPsS7_N6thrust23THRUST_200600_302600_NS5minusIsEEEE10hipError_tPvRmT2_T3_mT4_P12ihipStream_tbEUlT_E_NS1_11comp_targetILNS1_3genE2ELNS1_11target_archE906ELNS1_3gpuE6ELNS1_3repE0EEENS1_30default_config_static_selectorELNS0_4arch9wavefront6targetE1EEEvT1_,comdat
.Lfunc_end74:
	.size	_ZN7rocprim17ROCPRIM_400000_NS6detail17trampoline_kernelINS0_14default_configENS1_35adjacent_difference_config_selectorILb1EsEEZNS1_24adjacent_difference_implIS3_Lb1ELb0EPsS7_N6thrust23THRUST_200600_302600_NS5minusIsEEEE10hipError_tPvRmT2_T3_mT4_P12ihipStream_tbEUlT_E_NS1_11comp_targetILNS1_3genE2ELNS1_11target_archE906ELNS1_3gpuE6ELNS1_3repE0EEENS1_30default_config_static_selectorELNS0_4arch9wavefront6targetE1EEEvT1_, .Lfunc_end74-_ZN7rocprim17ROCPRIM_400000_NS6detail17trampoline_kernelINS0_14default_configENS1_35adjacent_difference_config_selectorILb1EsEEZNS1_24adjacent_difference_implIS3_Lb1ELb0EPsS7_N6thrust23THRUST_200600_302600_NS5minusIsEEEE10hipError_tPvRmT2_T3_mT4_P12ihipStream_tbEUlT_E_NS1_11comp_targetILNS1_3genE2ELNS1_11target_archE906ELNS1_3gpuE6ELNS1_3repE0EEENS1_30default_config_static_selectorELNS0_4arch9wavefront6targetE1EEEvT1_
                                        ; -- End function
	.section	.AMDGPU.csdata,"",@progbits
; Kernel info:
; codeLenInByte = 0
; NumSgprs: 6
; NumVgprs: 0
; NumAgprs: 0
; TotalNumVgprs: 0
; ScratchSize: 0
; MemoryBound: 0
; FloatMode: 240
; IeeeMode: 1
; LDSByteSize: 0 bytes/workgroup (compile time only)
; SGPRBlocks: 0
; VGPRBlocks: 0
; NumSGPRsForWavesPerEU: 6
; NumVGPRsForWavesPerEU: 1
; AccumOffset: 4
; Occupancy: 8
; WaveLimiterHint : 0
; COMPUTE_PGM_RSRC2:SCRATCH_EN: 0
; COMPUTE_PGM_RSRC2:USER_SGPR: 2
; COMPUTE_PGM_RSRC2:TRAP_HANDLER: 0
; COMPUTE_PGM_RSRC2:TGID_X_EN: 1
; COMPUTE_PGM_RSRC2:TGID_Y_EN: 0
; COMPUTE_PGM_RSRC2:TGID_Z_EN: 0
; COMPUTE_PGM_RSRC2:TIDIG_COMP_CNT: 0
; COMPUTE_PGM_RSRC3_GFX90A:ACCUM_OFFSET: 0
; COMPUTE_PGM_RSRC3_GFX90A:TG_SPLIT: 0
	.section	.text._ZN7rocprim17ROCPRIM_400000_NS6detail17trampoline_kernelINS0_14default_configENS1_35adjacent_difference_config_selectorILb1EsEEZNS1_24adjacent_difference_implIS3_Lb1ELb0EPsS7_N6thrust23THRUST_200600_302600_NS5minusIsEEEE10hipError_tPvRmT2_T3_mT4_P12ihipStream_tbEUlT_E_NS1_11comp_targetILNS1_3genE9ELNS1_11target_archE1100ELNS1_3gpuE3ELNS1_3repE0EEENS1_30default_config_static_selectorELNS0_4arch9wavefront6targetE1EEEvT1_,"axG",@progbits,_ZN7rocprim17ROCPRIM_400000_NS6detail17trampoline_kernelINS0_14default_configENS1_35adjacent_difference_config_selectorILb1EsEEZNS1_24adjacent_difference_implIS3_Lb1ELb0EPsS7_N6thrust23THRUST_200600_302600_NS5minusIsEEEE10hipError_tPvRmT2_T3_mT4_P12ihipStream_tbEUlT_E_NS1_11comp_targetILNS1_3genE9ELNS1_11target_archE1100ELNS1_3gpuE3ELNS1_3repE0EEENS1_30default_config_static_selectorELNS0_4arch9wavefront6targetE1EEEvT1_,comdat
	.protected	_ZN7rocprim17ROCPRIM_400000_NS6detail17trampoline_kernelINS0_14default_configENS1_35adjacent_difference_config_selectorILb1EsEEZNS1_24adjacent_difference_implIS3_Lb1ELb0EPsS7_N6thrust23THRUST_200600_302600_NS5minusIsEEEE10hipError_tPvRmT2_T3_mT4_P12ihipStream_tbEUlT_E_NS1_11comp_targetILNS1_3genE9ELNS1_11target_archE1100ELNS1_3gpuE3ELNS1_3repE0EEENS1_30default_config_static_selectorELNS0_4arch9wavefront6targetE1EEEvT1_ ; -- Begin function _ZN7rocprim17ROCPRIM_400000_NS6detail17trampoline_kernelINS0_14default_configENS1_35adjacent_difference_config_selectorILb1EsEEZNS1_24adjacent_difference_implIS3_Lb1ELb0EPsS7_N6thrust23THRUST_200600_302600_NS5minusIsEEEE10hipError_tPvRmT2_T3_mT4_P12ihipStream_tbEUlT_E_NS1_11comp_targetILNS1_3genE9ELNS1_11target_archE1100ELNS1_3gpuE3ELNS1_3repE0EEENS1_30default_config_static_selectorELNS0_4arch9wavefront6targetE1EEEvT1_
	.globl	_ZN7rocprim17ROCPRIM_400000_NS6detail17trampoline_kernelINS0_14default_configENS1_35adjacent_difference_config_selectorILb1EsEEZNS1_24adjacent_difference_implIS3_Lb1ELb0EPsS7_N6thrust23THRUST_200600_302600_NS5minusIsEEEE10hipError_tPvRmT2_T3_mT4_P12ihipStream_tbEUlT_E_NS1_11comp_targetILNS1_3genE9ELNS1_11target_archE1100ELNS1_3gpuE3ELNS1_3repE0EEENS1_30default_config_static_selectorELNS0_4arch9wavefront6targetE1EEEvT1_
	.p2align	8
	.type	_ZN7rocprim17ROCPRIM_400000_NS6detail17trampoline_kernelINS0_14default_configENS1_35adjacent_difference_config_selectorILb1EsEEZNS1_24adjacent_difference_implIS3_Lb1ELb0EPsS7_N6thrust23THRUST_200600_302600_NS5minusIsEEEE10hipError_tPvRmT2_T3_mT4_P12ihipStream_tbEUlT_E_NS1_11comp_targetILNS1_3genE9ELNS1_11target_archE1100ELNS1_3gpuE3ELNS1_3repE0EEENS1_30default_config_static_selectorELNS0_4arch9wavefront6targetE1EEEvT1_,@function
_ZN7rocprim17ROCPRIM_400000_NS6detail17trampoline_kernelINS0_14default_configENS1_35adjacent_difference_config_selectorILb1EsEEZNS1_24adjacent_difference_implIS3_Lb1ELb0EPsS7_N6thrust23THRUST_200600_302600_NS5minusIsEEEE10hipError_tPvRmT2_T3_mT4_P12ihipStream_tbEUlT_E_NS1_11comp_targetILNS1_3genE9ELNS1_11target_archE1100ELNS1_3gpuE3ELNS1_3repE0EEENS1_30default_config_static_selectorELNS0_4arch9wavefront6targetE1EEEvT1_: ; @_ZN7rocprim17ROCPRIM_400000_NS6detail17trampoline_kernelINS0_14default_configENS1_35adjacent_difference_config_selectorILb1EsEEZNS1_24adjacent_difference_implIS3_Lb1ELb0EPsS7_N6thrust23THRUST_200600_302600_NS5minusIsEEEE10hipError_tPvRmT2_T3_mT4_P12ihipStream_tbEUlT_E_NS1_11comp_targetILNS1_3genE9ELNS1_11target_archE1100ELNS1_3gpuE3ELNS1_3repE0EEENS1_30default_config_static_selectorELNS0_4arch9wavefront6targetE1EEEvT1_
; %bb.0:
	.section	.rodata,"a",@progbits
	.p2align	6, 0x0
	.amdhsa_kernel _ZN7rocprim17ROCPRIM_400000_NS6detail17trampoline_kernelINS0_14default_configENS1_35adjacent_difference_config_selectorILb1EsEEZNS1_24adjacent_difference_implIS3_Lb1ELb0EPsS7_N6thrust23THRUST_200600_302600_NS5minusIsEEEE10hipError_tPvRmT2_T3_mT4_P12ihipStream_tbEUlT_E_NS1_11comp_targetILNS1_3genE9ELNS1_11target_archE1100ELNS1_3gpuE3ELNS1_3repE0EEENS1_30default_config_static_selectorELNS0_4arch9wavefront6targetE1EEEvT1_
		.amdhsa_group_segment_fixed_size 0
		.amdhsa_private_segment_fixed_size 0
		.amdhsa_kernarg_size 56
		.amdhsa_user_sgpr_count 2
		.amdhsa_user_sgpr_dispatch_ptr 0
		.amdhsa_user_sgpr_queue_ptr 0
		.amdhsa_user_sgpr_kernarg_segment_ptr 1
		.amdhsa_user_sgpr_dispatch_id 0
		.amdhsa_user_sgpr_kernarg_preload_length 0
		.amdhsa_user_sgpr_kernarg_preload_offset 0
		.amdhsa_user_sgpr_private_segment_size 0
		.amdhsa_uses_dynamic_stack 0
		.amdhsa_enable_private_segment 0
		.amdhsa_system_sgpr_workgroup_id_x 1
		.amdhsa_system_sgpr_workgroup_id_y 0
		.amdhsa_system_sgpr_workgroup_id_z 0
		.amdhsa_system_sgpr_workgroup_info 0
		.amdhsa_system_vgpr_workitem_id 0
		.amdhsa_next_free_vgpr 1
		.amdhsa_next_free_sgpr 0
		.amdhsa_accum_offset 4
		.amdhsa_reserve_vcc 0
		.amdhsa_float_round_mode_32 0
		.amdhsa_float_round_mode_16_64 0
		.amdhsa_float_denorm_mode_32 3
		.amdhsa_float_denorm_mode_16_64 3
		.amdhsa_dx10_clamp 1
		.amdhsa_ieee_mode 1
		.amdhsa_fp16_overflow 0
		.amdhsa_tg_split 0
		.amdhsa_exception_fp_ieee_invalid_op 0
		.amdhsa_exception_fp_denorm_src 0
		.amdhsa_exception_fp_ieee_div_zero 0
		.amdhsa_exception_fp_ieee_overflow 0
		.amdhsa_exception_fp_ieee_underflow 0
		.amdhsa_exception_fp_ieee_inexact 0
		.amdhsa_exception_int_div_zero 0
	.end_amdhsa_kernel
	.section	.text._ZN7rocprim17ROCPRIM_400000_NS6detail17trampoline_kernelINS0_14default_configENS1_35adjacent_difference_config_selectorILb1EsEEZNS1_24adjacent_difference_implIS3_Lb1ELb0EPsS7_N6thrust23THRUST_200600_302600_NS5minusIsEEEE10hipError_tPvRmT2_T3_mT4_P12ihipStream_tbEUlT_E_NS1_11comp_targetILNS1_3genE9ELNS1_11target_archE1100ELNS1_3gpuE3ELNS1_3repE0EEENS1_30default_config_static_selectorELNS0_4arch9wavefront6targetE1EEEvT1_,"axG",@progbits,_ZN7rocprim17ROCPRIM_400000_NS6detail17trampoline_kernelINS0_14default_configENS1_35adjacent_difference_config_selectorILb1EsEEZNS1_24adjacent_difference_implIS3_Lb1ELb0EPsS7_N6thrust23THRUST_200600_302600_NS5minusIsEEEE10hipError_tPvRmT2_T3_mT4_P12ihipStream_tbEUlT_E_NS1_11comp_targetILNS1_3genE9ELNS1_11target_archE1100ELNS1_3gpuE3ELNS1_3repE0EEENS1_30default_config_static_selectorELNS0_4arch9wavefront6targetE1EEEvT1_,comdat
.Lfunc_end75:
	.size	_ZN7rocprim17ROCPRIM_400000_NS6detail17trampoline_kernelINS0_14default_configENS1_35adjacent_difference_config_selectorILb1EsEEZNS1_24adjacent_difference_implIS3_Lb1ELb0EPsS7_N6thrust23THRUST_200600_302600_NS5minusIsEEEE10hipError_tPvRmT2_T3_mT4_P12ihipStream_tbEUlT_E_NS1_11comp_targetILNS1_3genE9ELNS1_11target_archE1100ELNS1_3gpuE3ELNS1_3repE0EEENS1_30default_config_static_selectorELNS0_4arch9wavefront6targetE1EEEvT1_, .Lfunc_end75-_ZN7rocprim17ROCPRIM_400000_NS6detail17trampoline_kernelINS0_14default_configENS1_35adjacent_difference_config_selectorILb1EsEEZNS1_24adjacent_difference_implIS3_Lb1ELb0EPsS7_N6thrust23THRUST_200600_302600_NS5minusIsEEEE10hipError_tPvRmT2_T3_mT4_P12ihipStream_tbEUlT_E_NS1_11comp_targetILNS1_3genE9ELNS1_11target_archE1100ELNS1_3gpuE3ELNS1_3repE0EEENS1_30default_config_static_selectorELNS0_4arch9wavefront6targetE1EEEvT1_
                                        ; -- End function
	.section	.AMDGPU.csdata,"",@progbits
; Kernel info:
; codeLenInByte = 0
; NumSgprs: 6
; NumVgprs: 0
; NumAgprs: 0
; TotalNumVgprs: 0
; ScratchSize: 0
; MemoryBound: 0
; FloatMode: 240
; IeeeMode: 1
; LDSByteSize: 0 bytes/workgroup (compile time only)
; SGPRBlocks: 0
; VGPRBlocks: 0
; NumSGPRsForWavesPerEU: 6
; NumVGPRsForWavesPerEU: 1
; AccumOffset: 4
; Occupancy: 8
; WaveLimiterHint : 0
; COMPUTE_PGM_RSRC2:SCRATCH_EN: 0
; COMPUTE_PGM_RSRC2:USER_SGPR: 2
; COMPUTE_PGM_RSRC2:TRAP_HANDLER: 0
; COMPUTE_PGM_RSRC2:TGID_X_EN: 1
; COMPUTE_PGM_RSRC2:TGID_Y_EN: 0
; COMPUTE_PGM_RSRC2:TGID_Z_EN: 0
; COMPUTE_PGM_RSRC2:TIDIG_COMP_CNT: 0
; COMPUTE_PGM_RSRC3_GFX90A:ACCUM_OFFSET: 0
; COMPUTE_PGM_RSRC3_GFX90A:TG_SPLIT: 0
	.section	.text._ZN7rocprim17ROCPRIM_400000_NS6detail17trampoline_kernelINS0_14default_configENS1_35adjacent_difference_config_selectorILb1EsEEZNS1_24adjacent_difference_implIS3_Lb1ELb0EPsS7_N6thrust23THRUST_200600_302600_NS5minusIsEEEE10hipError_tPvRmT2_T3_mT4_P12ihipStream_tbEUlT_E_NS1_11comp_targetILNS1_3genE8ELNS1_11target_archE1030ELNS1_3gpuE2ELNS1_3repE0EEENS1_30default_config_static_selectorELNS0_4arch9wavefront6targetE1EEEvT1_,"axG",@progbits,_ZN7rocprim17ROCPRIM_400000_NS6detail17trampoline_kernelINS0_14default_configENS1_35adjacent_difference_config_selectorILb1EsEEZNS1_24adjacent_difference_implIS3_Lb1ELb0EPsS7_N6thrust23THRUST_200600_302600_NS5minusIsEEEE10hipError_tPvRmT2_T3_mT4_P12ihipStream_tbEUlT_E_NS1_11comp_targetILNS1_3genE8ELNS1_11target_archE1030ELNS1_3gpuE2ELNS1_3repE0EEENS1_30default_config_static_selectorELNS0_4arch9wavefront6targetE1EEEvT1_,comdat
	.protected	_ZN7rocprim17ROCPRIM_400000_NS6detail17trampoline_kernelINS0_14default_configENS1_35adjacent_difference_config_selectorILb1EsEEZNS1_24adjacent_difference_implIS3_Lb1ELb0EPsS7_N6thrust23THRUST_200600_302600_NS5minusIsEEEE10hipError_tPvRmT2_T3_mT4_P12ihipStream_tbEUlT_E_NS1_11comp_targetILNS1_3genE8ELNS1_11target_archE1030ELNS1_3gpuE2ELNS1_3repE0EEENS1_30default_config_static_selectorELNS0_4arch9wavefront6targetE1EEEvT1_ ; -- Begin function _ZN7rocprim17ROCPRIM_400000_NS6detail17trampoline_kernelINS0_14default_configENS1_35adjacent_difference_config_selectorILb1EsEEZNS1_24adjacent_difference_implIS3_Lb1ELb0EPsS7_N6thrust23THRUST_200600_302600_NS5minusIsEEEE10hipError_tPvRmT2_T3_mT4_P12ihipStream_tbEUlT_E_NS1_11comp_targetILNS1_3genE8ELNS1_11target_archE1030ELNS1_3gpuE2ELNS1_3repE0EEENS1_30default_config_static_selectorELNS0_4arch9wavefront6targetE1EEEvT1_
	.globl	_ZN7rocprim17ROCPRIM_400000_NS6detail17trampoline_kernelINS0_14default_configENS1_35adjacent_difference_config_selectorILb1EsEEZNS1_24adjacent_difference_implIS3_Lb1ELb0EPsS7_N6thrust23THRUST_200600_302600_NS5minusIsEEEE10hipError_tPvRmT2_T3_mT4_P12ihipStream_tbEUlT_E_NS1_11comp_targetILNS1_3genE8ELNS1_11target_archE1030ELNS1_3gpuE2ELNS1_3repE0EEENS1_30default_config_static_selectorELNS0_4arch9wavefront6targetE1EEEvT1_
	.p2align	8
	.type	_ZN7rocprim17ROCPRIM_400000_NS6detail17trampoline_kernelINS0_14default_configENS1_35adjacent_difference_config_selectorILb1EsEEZNS1_24adjacent_difference_implIS3_Lb1ELb0EPsS7_N6thrust23THRUST_200600_302600_NS5minusIsEEEE10hipError_tPvRmT2_T3_mT4_P12ihipStream_tbEUlT_E_NS1_11comp_targetILNS1_3genE8ELNS1_11target_archE1030ELNS1_3gpuE2ELNS1_3repE0EEENS1_30default_config_static_selectorELNS0_4arch9wavefront6targetE1EEEvT1_,@function
_ZN7rocprim17ROCPRIM_400000_NS6detail17trampoline_kernelINS0_14default_configENS1_35adjacent_difference_config_selectorILb1EsEEZNS1_24adjacent_difference_implIS3_Lb1ELb0EPsS7_N6thrust23THRUST_200600_302600_NS5minusIsEEEE10hipError_tPvRmT2_T3_mT4_P12ihipStream_tbEUlT_E_NS1_11comp_targetILNS1_3genE8ELNS1_11target_archE1030ELNS1_3gpuE2ELNS1_3repE0EEENS1_30default_config_static_selectorELNS0_4arch9wavefront6targetE1EEEvT1_: ; @_ZN7rocprim17ROCPRIM_400000_NS6detail17trampoline_kernelINS0_14default_configENS1_35adjacent_difference_config_selectorILb1EsEEZNS1_24adjacent_difference_implIS3_Lb1ELb0EPsS7_N6thrust23THRUST_200600_302600_NS5minusIsEEEE10hipError_tPvRmT2_T3_mT4_P12ihipStream_tbEUlT_E_NS1_11comp_targetILNS1_3genE8ELNS1_11target_archE1030ELNS1_3gpuE2ELNS1_3repE0EEENS1_30default_config_static_selectorELNS0_4arch9wavefront6targetE1EEEvT1_
; %bb.0:
	.section	.rodata,"a",@progbits
	.p2align	6, 0x0
	.amdhsa_kernel _ZN7rocprim17ROCPRIM_400000_NS6detail17trampoline_kernelINS0_14default_configENS1_35adjacent_difference_config_selectorILb1EsEEZNS1_24adjacent_difference_implIS3_Lb1ELb0EPsS7_N6thrust23THRUST_200600_302600_NS5minusIsEEEE10hipError_tPvRmT2_T3_mT4_P12ihipStream_tbEUlT_E_NS1_11comp_targetILNS1_3genE8ELNS1_11target_archE1030ELNS1_3gpuE2ELNS1_3repE0EEENS1_30default_config_static_selectorELNS0_4arch9wavefront6targetE1EEEvT1_
		.amdhsa_group_segment_fixed_size 0
		.amdhsa_private_segment_fixed_size 0
		.amdhsa_kernarg_size 56
		.amdhsa_user_sgpr_count 2
		.amdhsa_user_sgpr_dispatch_ptr 0
		.amdhsa_user_sgpr_queue_ptr 0
		.amdhsa_user_sgpr_kernarg_segment_ptr 1
		.amdhsa_user_sgpr_dispatch_id 0
		.amdhsa_user_sgpr_kernarg_preload_length 0
		.amdhsa_user_sgpr_kernarg_preload_offset 0
		.amdhsa_user_sgpr_private_segment_size 0
		.amdhsa_uses_dynamic_stack 0
		.amdhsa_enable_private_segment 0
		.amdhsa_system_sgpr_workgroup_id_x 1
		.amdhsa_system_sgpr_workgroup_id_y 0
		.amdhsa_system_sgpr_workgroup_id_z 0
		.amdhsa_system_sgpr_workgroup_info 0
		.amdhsa_system_vgpr_workitem_id 0
		.amdhsa_next_free_vgpr 1
		.amdhsa_next_free_sgpr 0
		.amdhsa_accum_offset 4
		.amdhsa_reserve_vcc 0
		.amdhsa_float_round_mode_32 0
		.amdhsa_float_round_mode_16_64 0
		.amdhsa_float_denorm_mode_32 3
		.amdhsa_float_denorm_mode_16_64 3
		.amdhsa_dx10_clamp 1
		.amdhsa_ieee_mode 1
		.amdhsa_fp16_overflow 0
		.amdhsa_tg_split 0
		.amdhsa_exception_fp_ieee_invalid_op 0
		.amdhsa_exception_fp_denorm_src 0
		.amdhsa_exception_fp_ieee_div_zero 0
		.amdhsa_exception_fp_ieee_overflow 0
		.amdhsa_exception_fp_ieee_underflow 0
		.amdhsa_exception_fp_ieee_inexact 0
		.amdhsa_exception_int_div_zero 0
	.end_amdhsa_kernel
	.section	.text._ZN7rocprim17ROCPRIM_400000_NS6detail17trampoline_kernelINS0_14default_configENS1_35adjacent_difference_config_selectorILb1EsEEZNS1_24adjacent_difference_implIS3_Lb1ELb0EPsS7_N6thrust23THRUST_200600_302600_NS5minusIsEEEE10hipError_tPvRmT2_T3_mT4_P12ihipStream_tbEUlT_E_NS1_11comp_targetILNS1_3genE8ELNS1_11target_archE1030ELNS1_3gpuE2ELNS1_3repE0EEENS1_30default_config_static_selectorELNS0_4arch9wavefront6targetE1EEEvT1_,"axG",@progbits,_ZN7rocprim17ROCPRIM_400000_NS6detail17trampoline_kernelINS0_14default_configENS1_35adjacent_difference_config_selectorILb1EsEEZNS1_24adjacent_difference_implIS3_Lb1ELb0EPsS7_N6thrust23THRUST_200600_302600_NS5minusIsEEEE10hipError_tPvRmT2_T3_mT4_P12ihipStream_tbEUlT_E_NS1_11comp_targetILNS1_3genE8ELNS1_11target_archE1030ELNS1_3gpuE2ELNS1_3repE0EEENS1_30default_config_static_selectorELNS0_4arch9wavefront6targetE1EEEvT1_,comdat
.Lfunc_end76:
	.size	_ZN7rocprim17ROCPRIM_400000_NS6detail17trampoline_kernelINS0_14default_configENS1_35adjacent_difference_config_selectorILb1EsEEZNS1_24adjacent_difference_implIS3_Lb1ELb0EPsS7_N6thrust23THRUST_200600_302600_NS5minusIsEEEE10hipError_tPvRmT2_T3_mT4_P12ihipStream_tbEUlT_E_NS1_11comp_targetILNS1_3genE8ELNS1_11target_archE1030ELNS1_3gpuE2ELNS1_3repE0EEENS1_30default_config_static_selectorELNS0_4arch9wavefront6targetE1EEEvT1_, .Lfunc_end76-_ZN7rocprim17ROCPRIM_400000_NS6detail17trampoline_kernelINS0_14default_configENS1_35adjacent_difference_config_selectorILb1EsEEZNS1_24adjacent_difference_implIS3_Lb1ELb0EPsS7_N6thrust23THRUST_200600_302600_NS5minusIsEEEE10hipError_tPvRmT2_T3_mT4_P12ihipStream_tbEUlT_E_NS1_11comp_targetILNS1_3genE8ELNS1_11target_archE1030ELNS1_3gpuE2ELNS1_3repE0EEENS1_30default_config_static_selectorELNS0_4arch9wavefront6targetE1EEEvT1_
                                        ; -- End function
	.section	.AMDGPU.csdata,"",@progbits
; Kernel info:
; codeLenInByte = 0
; NumSgprs: 6
; NumVgprs: 0
; NumAgprs: 0
; TotalNumVgprs: 0
; ScratchSize: 0
; MemoryBound: 0
; FloatMode: 240
; IeeeMode: 1
; LDSByteSize: 0 bytes/workgroup (compile time only)
; SGPRBlocks: 0
; VGPRBlocks: 0
; NumSGPRsForWavesPerEU: 6
; NumVGPRsForWavesPerEU: 1
; AccumOffset: 4
; Occupancy: 8
; WaveLimiterHint : 0
; COMPUTE_PGM_RSRC2:SCRATCH_EN: 0
; COMPUTE_PGM_RSRC2:USER_SGPR: 2
; COMPUTE_PGM_RSRC2:TRAP_HANDLER: 0
; COMPUTE_PGM_RSRC2:TGID_X_EN: 1
; COMPUTE_PGM_RSRC2:TGID_Y_EN: 0
; COMPUTE_PGM_RSRC2:TGID_Z_EN: 0
; COMPUTE_PGM_RSRC2:TIDIG_COMP_CNT: 0
; COMPUTE_PGM_RSRC3_GFX90A:ACCUM_OFFSET: 0
; COMPUTE_PGM_RSRC3_GFX90A:TG_SPLIT: 0
	.section	.text._ZN7rocprim17ROCPRIM_400000_NS6detail17trampoline_kernelINS0_14default_configENS1_35adjacent_difference_config_selectorILb0EsEEZNS1_24adjacent_difference_implIS3_Lb0ELb0EPsS7_N6thrust23THRUST_200600_302600_NS4plusIsEEEE10hipError_tPvRmT2_T3_mT4_P12ihipStream_tbEUlT_E_NS1_11comp_targetILNS1_3genE0ELNS1_11target_archE4294967295ELNS1_3gpuE0ELNS1_3repE0EEENS1_30default_config_static_selectorELNS0_4arch9wavefront6targetE1EEEvT1_,"axG",@progbits,_ZN7rocprim17ROCPRIM_400000_NS6detail17trampoline_kernelINS0_14default_configENS1_35adjacent_difference_config_selectorILb0EsEEZNS1_24adjacent_difference_implIS3_Lb0ELb0EPsS7_N6thrust23THRUST_200600_302600_NS4plusIsEEEE10hipError_tPvRmT2_T3_mT4_P12ihipStream_tbEUlT_E_NS1_11comp_targetILNS1_3genE0ELNS1_11target_archE4294967295ELNS1_3gpuE0ELNS1_3repE0EEENS1_30default_config_static_selectorELNS0_4arch9wavefront6targetE1EEEvT1_,comdat
	.protected	_ZN7rocprim17ROCPRIM_400000_NS6detail17trampoline_kernelINS0_14default_configENS1_35adjacent_difference_config_selectorILb0EsEEZNS1_24adjacent_difference_implIS3_Lb0ELb0EPsS7_N6thrust23THRUST_200600_302600_NS4plusIsEEEE10hipError_tPvRmT2_T3_mT4_P12ihipStream_tbEUlT_E_NS1_11comp_targetILNS1_3genE0ELNS1_11target_archE4294967295ELNS1_3gpuE0ELNS1_3repE0EEENS1_30default_config_static_selectorELNS0_4arch9wavefront6targetE1EEEvT1_ ; -- Begin function _ZN7rocprim17ROCPRIM_400000_NS6detail17trampoline_kernelINS0_14default_configENS1_35adjacent_difference_config_selectorILb0EsEEZNS1_24adjacent_difference_implIS3_Lb0ELb0EPsS7_N6thrust23THRUST_200600_302600_NS4plusIsEEEE10hipError_tPvRmT2_T3_mT4_P12ihipStream_tbEUlT_E_NS1_11comp_targetILNS1_3genE0ELNS1_11target_archE4294967295ELNS1_3gpuE0ELNS1_3repE0EEENS1_30default_config_static_selectorELNS0_4arch9wavefront6targetE1EEEvT1_
	.globl	_ZN7rocprim17ROCPRIM_400000_NS6detail17trampoline_kernelINS0_14default_configENS1_35adjacent_difference_config_selectorILb0EsEEZNS1_24adjacent_difference_implIS3_Lb0ELb0EPsS7_N6thrust23THRUST_200600_302600_NS4plusIsEEEE10hipError_tPvRmT2_T3_mT4_P12ihipStream_tbEUlT_E_NS1_11comp_targetILNS1_3genE0ELNS1_11target_archE4294967295ELNS1_3gpuE0ELNS1_3repE0EEENS1_30default_config_static_selectorELNS0_4arch9wavefront6targetE1EEEvT1_
	.p2align	8
	.type	_ZN7rocprim17ROCPRIM_400000_NS6detail17trampoline_kernelINS0_14default_configENS1_35adjacent_difference_config_selectorILb0EsEEZNS1_24adjacent_difference_implIS3_Lb0ELb0EPsS7_N6thrust23THRUST_200600_302600_NS4plusIsEEEE10hipError_tPvRmT2_T3_mT4_P12ihipStream_tbEUlT_E_NS1_11comp_targetILNS1_3genE0ELNS1_11target_archE4294967295ELNS1_3gpuE0ELNS1_3repE0EEENS1_30default_config_static_selectorELNS0_4arch9wavefront6targetE1EEEvT1_,@function
_ZN7rocprim17ROCPRIM_400000_NS6detail17trampoline_kernelINS0_14default_configENS1_35adjacent_difference_config_selectorILb0EsEEZNS1_24adjacent_difference_implIS3_Lb0ELb0EPsS7_N6thrust23THRUST_200600_302600_NS4plusIsEEEE10hipError_tPvRmT2_T3_mT4_P12ihipStream_tbEUlT_E_NS1_11comp_targetILNS1_3genE0ELNS1_11target_archE4294967295ELNS1_3gpuE0ELNS1_3repE0EEENS1_30default_config_static_selectorELNS0_4arch9wavefront6targetE1EEEvT1_: ; @_ZN7rocprim17ROCPRIM_400000_NS6detail17trampoline_kernelINS0_14default_configENS1_35adjacent_difference_config_selectorILb0EsEEZNS1_24adjacent_difference_implIS3_Lb0ELb0EPsS7_N6thrust23THRUST_200600_302600_NS4plusIsEEEE10hipError_tPvRmT2_T3_mT4_P12ihipStream_tbEUlT_E_NS1_11comp_targetILNS1_3genE0ELNS1_11target_archE4294967295ELNS1_3gpuE0ELNS1_3repE0EEENS1_30default_config_static_selectorELNS0_4arch9wavefront6targetE1EEEvT1_
; %bb.0:
	.section	.rodata,"a",@progbits
	.p2align	6, 0x0
	.amdhsa_kernel _ZN7rocprim17ROCPRIM_400000_NS6detail17trampoline_kernelINS0_14default_configENS1_35adjacent_difference_config_selectorILb0EsEEZNS1_24adjacent_difference_implIS3_Lb0ELb0EPsS7_N6thrust23THRUST_200600_302600_NS4plusIsEEEE10hipError_tPvRmT2_T3_mT4_P12ihipStream_tbEUlT_E_NS1_11comp_targetILNS1_3genE0ELNS1_11target_archE4294967295ELNS1_3gpuE0ELNS1_3repE0EEENS1_30default_config_static_selectorELNS0_4arch9wavefront6targetE1EEEvT1_
		.amdhsa_group_segment_fixed_size 0
		.amdhsa_private_segment_fixed_size 0
		.amdhsa_kernarg_size 56
		.amdhsa_user_sgpr_count 2
		.amdhsa_user_sgpr_dispatch_ptr 0
		.amdhsa_user_sgpr_queue_ptr 0
		.amdhsa_user_sgpr_kernarg_segment_ptr 1
		.amdhsa_user_sgpr_dispatch_id 0
		.amdhsa_user_sgpr_kernarg_preload_length 0
		.amdhsa_user_sgpr_kernarg_preload_offset 0
		.amdhsa_user_sgpr_private_segment_size 0
		.amdhsa_uses_dynamic_stack 0
		.amdhsa_enable_private_segment 0
		.amdhsa_system_sgpr_workgroup_id_x 1
		.amdhsa_system_sgpr_workgroup_id_y 0
		.amdhsa_system_sgpr_workgroup_id_z 0
		.amdhsa_system_sgpr_workgroup_info 0
		.amdhsa_system_vgpr_workitem_id 0
		.amdhsa_next_free_vgpr 1
		.amdhsa_next_free_sgpr 0
		.amdhsa_accum_offset 4
		.amdhsa_reserve_vcc 0
		.amdhsa_float_round_mode_32 0
		.amdhsa_float_round_mode_16_64 0
		.amdhsa_float_denorm_mode_32 3
		.amdhsa_float_denorm_mode_16_64 3
		.amdhsa_dx10_clamp 1
		.amdhsa_ieee_mode 1
		.amdhsa_fp16_overflow 0
		.amdhsa_tg_split 0
		.amdhsa_exception_fp_ieee_invalid_op 0
		.amdhsa_exception_fp_denorm_src 0
		.amdhsa_exception_fp_ieee_div_zero 0
		.amdhsa_exception_fp_ieee_overflow 0
		.amdhsa_exception_fp_ieee_underflow 0
		.amdhsa_exception_fp_ieee_inexact 0
		.amdhsa_exception_int_div_zero 0
	.end_amdhsa_kernel
	.section	.text._ZN7rocprim17ROCPRIM_400000_NS6detail17trampoline_kernelINS0_14default_configENS1_35adjacent_difference_config_selectorILb0EsEEZNS1_24adjacent_difference_implIS3_Lb0ELb0EPsS7_N6thrust23THRUST_200600_302600_NS4plusIsEEEE10hipError_tPvRmT2_T3_mT4_P12ihipStream_tbEUlT_E_NS1_11comp_targetILNS1_3genE0ELNS1_11target_archE4294967295ELNS1_3gpuE0ELNS1_3repE0EEENS1_30default_config_static_selectorELNS0_4arch9wavefront6targetE1EEEvT1_,"axG",@progbits,_ZN7rocprim17ROCPRIM_400000_NS6detail17trampoline_kernelINS0_14default_configENS1_35adjacent_difference_config_selectorILb0EsEEZNS1_24adjacent_difference_implIS3_Lb0ELb0EPsS7_N6thrust23THRUST_200600_302600_NS4plusIsEEEE10hipError_tPvRmT2_T3_mT4_P12ihipStream_tbEUlT_E_NS1_11comp_targetILNS1_3genE0ELNS1_11target_archE4294967295ELNS1_3gpuE0ELNS1_3repE0EEENS1_30default_config_static_selectorELNS0_4arch9wavefront6targetE1EEEvT1_,comdat
.Lfunc_end77:
	.size	_ZN7rocprim17ROCPRIM_400000_NS6detail17trampoline_kernelINS0_14default_configENS1_35adjacent_difference_config_selectorILb0EsEEZNS1_24adjacent_difference_implIS3_Lb0ELb0EPsS7_N6thrust23THRUST_200600_302600_NS4plusIsEEEE10hipError_tPvRmT2_T3_mT4_P12ihipStream_tbEUlT_E_NS1_11comp_targetILNS1_3genE0ELNS1_11target_archE4294967295ELNS1_3gpuE0ELNS1_3repE0EEENS1_30default_config_static_selectorELNS0_4arch9wavefront6targetE1EEEvT1_, .Lfunc_end77-_ZN7rocprim17ROCPRIM_400000_NS6detail17trampoline_kernelINS0_14default_configENS1_35adjacent_difference_config_selectorILb0EsEEZNS1_24adjacent_difference_implIS3_Lb0ELb0EPsS7_N6thrust23THRUST_200600_302600_NS4plusIsEEEE10hipError_tPvRmT2_T3_mT4_P12ihipStream_tbEUlT_E_NS1_11comp_targetILNS1_3genE0ELNS1_11target_archE4294967295ELNS1_3gpuE0ELNS1_3repE0EEENS1_30default_config_static_selectorELNS0_4arch9wavefront6targetE1EEEvT1_
                                        ; -- End function
	.section	.AMDGPU.csdata,"",@progbits
; Kernel info:
; codeLenInByte = 0
; NumSgprs: 6
; NumVgprs: 0
; NumAgprs: 0
; TotalNumVgprs: 0
; ScratchSize: 0
; MemoryBound: 0
; FloatMode: 240
; IeeeMode: 1
; LDSByteSize: 0 bytes/workgroup (compile time only)
; SGPRBlocks: 0
; VGPRBlocks: 0
; NumSGPRsForWavesPerEU: 6
; NumVGPRsForWavesPerEU: 1
; AccumOffset: 4
; Occupancy: 8
; WaveLimiterHint : 0
; COMPUTE_PGM_RSRC2:SCRATCH_EN: 0
; COMPUTE_PGM_RSRC2:USER_SGPR: 2
; COMPUTE_PGM_RSRC2:TRAP_HANDLER: 0
; COMPUTE_PGM_RSRC2:TGID_X_EN: 1
; COMPUTE_PGM_RSRC2:TGID_Y_EN: 0
; COMPUTE_PGM_RSRC2:TGID_Z_EN: 0
; COMPUTE_PGM_RSRC2:TIDIG_COMP_CNT: 0
; COMPUTE_PGM_RSRC3_GFX90A:ACCUM_OFFSET: 0
; COMPUTE_PGM_RSRC3_GFX90A:TG_SPLIT: 0
	.section	.text._ZN7rocprim17ROCPRIM_400000_NS6detail17trampoline_kernelINS0_14default_configENS1_35adjacent_difference_config_selectorILb0EsEEZNS1_24adjacent_difference_implIS3_Lb0ELb0EPsS7_N6thrust23THRUST_200600_302600_NS4plusIsEEEE10hipError_tPvRmT2_T3_mT4_P12ihipStream_tbEUlT_E_NS1_11comp_targetILNS1_3genE10ELNS1_11target_archE1201ELNS1_3gpuE5ELNS1_3repE0EEENS1_30default_config_static_selectorELNS0_4arch9wavefront6targetE1EEEvT1_,"axG",@progbits,_ZN7rocprim17ROCPRIM_400000_NS6detail17trampoline_kernelINS0_14default_configENS1_35adjacent_difference_config_selectorILb0EsEEZNS1_24adjacent_difference_implIS3_Lb0ELb0EPsS7_N6thrust23THRUST_200600_302600_NS4plusIsEEEE10hipError_tPvRmT2_T3_mT4_P12ihipStream_tbEUlT_E_NS1_11comp_targetILNS1_3genE10ELNS1_11target_archE1201ELNS1_3gpuE5ELNS1_3repE0EEENS1_30default_config_static_selectorELNS0_4arch9wavefront6targetE1EEEvT1_,comdat
	.protected	_ZN7rocprim17ROCPRIM_400000_NS6detail17trampoline_kernelINS0_14default_configENS1_35adjacent_difference_config_selectorILb0EsEEZNS1_24adjacent_difference_implIS3_Lb0ELb0EPsS7_N6thrust23THRUST_200600_302600_NS4plusIsEEEE10hipError_tPvRmT2_T3_mT4_P12ihipStream_tbEUlT_E_NS1_11comp_targetILNS1_3genE10ELNS1_11target_archE1201ELNS1_3gpuE5ELNS1_3repE0EEENS1_30default_config_static_selectorELNS0_4arch9wavefront6targetE1EEEvT1_ ; -- Begin function _ZN7rocprim17ROCPRIM_400000_NS6detail17trampoline_kernelINS0_14default_configENS1_35adjacent_difference_config_selectorILb0EsEEZNS1_24adjacent_difference_implIS3_Lb0ELb0EPsS7_N6thrust23THRUST_200600_302600_NS4plusIsEEEE10hipError_tPvRmT2_T3_mT4_P12ihipStream_tbEUlT_E_NS1_11comp_targetILNS1_3genE10ELNS1_11target_archE1201ELNS1_3gpuE5ELNS1_3repE0EEENS1_30default_config_static_selectorELNS0_4arch9wavefront6targetE1EEEvT1_
	.globl	_ZN7rocprim17ROCPRIM_400000_NS6detail17trampoline_kernelINS0_14default_configENS1_35adjacent_difference_config_selectorILb0EsEEZNS1_24adjacent_difference_implIS3_Lb0ELb0EPsS7_N6thrust23THRUST_200600_302600_NS4plusIsEEEE10hipError_tPvRmT2_T3_mT4_P12ihipStream_tbEUlT_E_NS1_11comp_targetILNS1_3genE10ELNS1_11target_archE1201ELNS1_3gpuE5ELNS1_3repE0EEENS1_30default_config_static_selectorELNS0_4arch9wavefront6targetE1EEEvT1_
	.p2align	8
	.type	_ZN7rocprim17ROCPRIM_400000_NS6detail17trampoline_kernelINS0_14default_configENS1_35adjacent_difference_config_selectorILb0EsEEZNS1_24adjacent_difference_implIS3_Lb0ELb0EPsS7_N6thrust23THRUST_200600_302600_NS4plusIsEEEE10hipError_tPvRmT2_T3_mT4_P12ihipStream_tbEUlT_E_NS1_11comp_targetILNS1_3genE10ELNS1_11target_archE1201ELNS1_3gpuE5ELNS1_3repE0EEENS1_30default_config_static_selectorELNS0_4arch9wavefront6targetE1EEEvT1_,@function
_ZN7rocprim17ROCPRIM_400000_NS6detail17trampoline_kernelINS0_14default_configENS1_35adjacent_difference_config_selectorILb0EsEEZNS1_24adjacent_difference_implIS3_Lb0ELb0EPsS7_N6thrust23THRUST_200600_302600_NS4plusIsEEEE10hipError_tPvRmT2_T3_mT4_P12ihipStream_tbEUlT_E_NS1_11comp_targetILNS1_3genE10ELNS1_11target_archE1201ELNS1_3gpuE5ELNS1_3repE0EEENS1_30default_config_static_selectorELNS0_4arch9wavefront6targetE1EEEvT1_: ; @_ZN7rocprim17ROCPRIM_400000_NS6detail17trampoline_kernelINS0_14default_configENS1_35adjacent_difference_config_selectorILb0EsEEZNS1_24adjacent_difference_implIS3_Lb0ELb0EPsS7_N6thrust23THRUST_200600_302600_NS4plusIsEEEE10hipError_tPvRmT2_T3_mT4_P12ihipStream_tbEUlT_E_NS1_11comp_targetILNS1_3genE10ELNS1_11target_archE1201ELNS1_3gpuE5ELNS1_3repE0EEENS1_30default_config_static_selectorELNS0_4arch9wavefront6targetE1EEEvT1_
; %bb.0:
	.section	.rodata,"a",@progbits
	.p2align	6, 0x0
	.amdhsa_kernel _ZN7rocprim17ROCPRIM_400000_NS6detail17trampoline_kernelINS0_14default_configENS1_35adjacent_difference_config_selectorILb0EsEEZNS1_24adjacent_difference_implIS3_Lb0ELb0EPsS7_N6thrust23THRUST_200600_302600_NS4plusIsEEEE10hipError_tPvRmT2_T3_mT4_P12ihipStream_tbEUlT_E_NS1_11comp_targetILNS1_3genE10ELNS1_11target_archE1201ELNS1_3gpuE5ELNS1_3repE0EEENS1_30default_config_static_selectorELNS0_4arch9wavefront6targetE1EEEvT1_
		.amdhsa_group_segment_fixed_size 0
		.amdhsa_private_segment_fixed_size 0
		.amdhsa_kernarg_size 56
		.amdhsa_user_sgpr_count 2
		.amdhsa_user_sgpr_dispatch_ptr 0
		.amdhsa_user_sgpr_queue_ptr 0
		.amdhsa_user_sgpr_kernarg_segment_ptr 1
		.amdhsa_user_sgpr_dispatch_id 0
		.amdhsa_user_sgpr_kernarg_preload_length 0
		.amdhsa_user_sgpr_kernarg_preload_offset 0
		.amdhsa_user_sgpr_private_segment_size 0
		.amdhsa_uses_dynamic_stack 0
		.amdhsa_enable_private_segment 0
		.amdhsa_system_sgpr_workgroup_id_x 1
		.amdhsa_system_sgpr_workgroup_id_y 0
		.amdhsa_system_sgpr_workgroup_id_z 0
		.amdhsa_system_sgpr_workgroup_info 0
		.amdhsa_system_vgpr_workitem_id 0
		.amdhsa_next_free_vgpr 1
		.amdhsa_next_free_sgpr 0
		.amdhsa_accum_offset 4
		.amdhsa_reserve_vcc 0
		.amdhsa_float_round_mode_32 0
		.amdhsa_float_round_mode_16_64 0
		.amdhsa_float_denorm_mode_32 3
		.amdhsa_float_denorm_mode_16_64 3
		.amdhsa_dx10_clamp 1
		.amdhsa_ieee_mode 1
		.amdhsa_fp16_overflow 0
		.amdhsa_tg_split 0
		.amdhsa_exception_fp_ieee_invalid_op 0
		.amdhsa_exception_fp_denorm_src 0
		.amdhsa_exception_fp_ieee_div_zero 0
		.amdhsa_exception_fp_ieee_overflow 0
		.amdhsa_exception_fp_ieee_underflow 0
		.amdhsa_exception_fp_ieee_inexact 0
		.amdhsa_exception_int_div_zero 0
	.end_amdhsa_kernel
	.section	.text._ZN7rocprim17ROCPRIM_400000_NS6detail17trampoline_kernelINS0_14default_configENS1_35adjacent_difference_config_selectorILb0EsEEZNS1_24adjacent_difference_implIS3_Lb0ELb0EPsS7_N6thrust23THRUST_200600_302600_NS4plusIsEEEE10hipError_tPvRmT2_T3_mT4_P12ihipStream_tbEUlT_E_NS1_11comp_targetILNS1_3genE10ELNS1_11target_archE1201ELNS1_3gpuE5ELNS1_3repE0EEENS1_30default_config_static_selectorELNS0_4arch9wavefront6targetE1EEEvT1_,"axG",@progbits,_ZN7rocprim17ROCPRIM_400000_NS6detail17trampoline_kernelINS0_14default_configENS1_35adjacent_difference_config_selectorILb0EsEEZNS1_24adjacent_difference_implIS3_Lb0ELb0EPsS7_N6thrust23THRUST_200600_302600_NS4plusIsEEEE10hipError_tPvRmT2_T3_mT4_P12ihipStream_tbEUlT_E_NS1_11comp_targetILNS1_3genE10ELNS1_11target_archE1201ELNS1_3gpuE5ELNS1_3repE0EEENS1_30default_config_static_selectorELNS0_4arch9wavefront6targetE1EEEvT1_,comdat
.Lfunc_end78:
	.size	_ZN7rocprim17ROCPRIM_400000_NS6detail17trampoline_kernelINS0_14default_configENS1_35adjacent_difference_config_selectorILb0EsEEZNS1_24adjacent_difference_implIS3_Lb0ELb0EPsS7_N6thrust23THRUST_200600_302600_NS4plusIsEEEE10hipError_tPvRmT2_T3_mT4_P12ihipStream_tbEUlT_E_NS1_11comp_targetILNS1_3genE10ELNS1_11target_archE1201ELNS1_3gpuE5ELNS1_3repE0EEENS1_30default_config_static_selectorELNS0_4arch9wavefront6targetE1EEEvT1_, .Lfunc_end78-_ZN7rocprim17ROCPRIM_400000_NS6detail17trampoline_kernelINS0_14default_configENS1_35adjacent_difference_config_selectorILb0EsEEZNS1_24adjacent_difference_implIS3_Lb0ELb0EPsS7_N6thrust23THRUST_200600_302600_NS4plusIsEEEE10hipError_tPvRmT2_T3_mT4_P12ihipStream_tbEUlT_E_NS1_11comp_targetILNS1_3genE10ELNS1_11target_archE1201ELNS1_3gpuE5ELNS1_3repE0EEENS1_30default_config_static_selectorELNS0_4arch9wavefront6targetE1EEEvT1_
                                        ; -- End function
	.section	.AMDGPU.csdata,"",@progbits
; Kernel info:
; codeLenInByte = 0
; NumSgprs: 6
; NumVgprs: 0
; NumAgprs: 0
; TotalNumVgprs: 0
; ScratchSize: 0
; MemoryBound: 0
; FloatMode: 240
; IeeeMode: 1
; LDSByteSize: 0 bytes/workgroup (compile time only)
; SGPRBlocks: 0
; VGPRBlocks: 0
; NumSGPRsForWavesPerEU: 6
; NumVGPRsForWavesPerEU: 1
; AccumOffset: 4
; Occupancy: 8
; WaveLimiterHint : 0
; COMPUTE_PGM_RSRC2:SCRATCH_EN: 0
; COMPUTE_PGM_RSRC2:USER_SGPR: 2
; COMPUTE_PGM_RSRC2:TRAP_HANDLER: 0
; COMPUTE_PGM_RSRC2:TGID_X_EN: 1
; COMPUTE_PGM_RSRC2:TGID_Y_EN: 0
; COMPUTE_PGM_RSRC2:TGID_Z_EN: 0
; COMPUTE_PGM_RSRC2:TIDIG_COMP_CNT: 0
; COMPUTE_PGM_RSRC3_GFX90A:ACCUM_OFFSET: 0
; COMPUTE_PGM_RSRC3_GFX90A:TG_SPLIT: 0
	.section	.text._ZN7rocprim17ROCPRIM_400000_NS6detail17trampoline_kernelINS0_14default_configENS1_35adjacent_difference_config_selectorILb0EsEEZNS1_24adjacent_difference_implIS3_Lb0ELb0EPsS7_N6thrust23THRUST_200600_302600_NS4plusIsEEEE10hipError_tPvRmT2_T3_mT4_P12ihipStream_tbEUlT_E_NS1_11comp_targetILNS1_3genE5ELNS1_11target_archE942ELNS1_3gpuE9ELNS1_3repE0EEENS1_30default_config_static_selectorELNS0_4arch9wavefront6targetE1EEEvT1_,"axG",@progbits,_ZN7rocprim17ROCPRIM_400000_NS6detail17trampoline_kernelINS0_14default_configENS1_35adjacent_difference_config_selectorILb0EsEEZNS1_24adjacent_difference_implIS3_Lb0ELb0EPsS7_N6thrust23THRUST_200600_302600_NS4plusIsEEEE10hipError_tPvRmT2_T3_mT4_P12ihipStream_tbEUlT_E_NS1_11comp_targetILNS1_3genE5ELNS1_11target_archE942ELNS1_3gpuE9ELNS1_3repE0EEENS1_30default_config_static_selectorELNS0_4arch9wavefront6targetE1EEEvT1_,comdat
	.protected	_ZN7rocprim17ROCPRIM_400000_NS6detail17trampoline_kernelINS0_14default_configENS1_35adjacent_difference_config_selectorILb0EsEEZNS1_24adjacent_difference_implIS3_Lb0ELb0EPsS7_N6thrust23THRUST_200600_302600_NS4plusIsEEEE10hipError_tPvRmT2_T3_mT4_P12ihipStream_tbEUlT_E_NS1_11comp_targetILNS1_3genE5ELNS1_11target_archE942ELNS1_3gpuE9ELNS1_3repE0EEENS1_30default_config_static_selectorELNS0_4arch9wavefront6targetE1EEEvT1_ ; -- Begin function _ZN7rocprim17ROCPRIM_400000_NS6detail17trampoline_kernelINS0_14default_configENS1_35adjacent_difference_config_selectorILb0EsEEZNS1_24adjacent_difference_implIS3_Lb0ELb0EPsS7_N6thrust23THRUST_200600_302600_NS4plusIsEEEE10hipError_tPvRmT2_T3_mT4_P12ihipStream_tbEUlT_E_NS1_11comp_targetILNS1_3genE5ELNS1_11target_archE942ELNS1_3gpuE9ELNS1_3repE0EEENS1_30default_config_static_selectorELNS0_4arch9wavefront6targetE1EEEvT1_
	.globl	_ZN7rocprim17ROCPRIM_400000_NS6detail17trampoline_kernelINS0_14default_configENS1_35adjacent_difference_config_selectorILb0EsEEZNS1_24adjacent_difference_implIS3_Lb0ELb0EPsS7_N6thrust23THRUST_200600_302600_NS4plusIsEEEE10hipError_tPvRmT2_T3_mT4_P12ihipStream_tbEUlT_E_NS1_11comp_targetILNS1_3genE5ELNS1_11target_archE942ELNS1_3gpuE9ELNS1_3repE0EEENS1_30default_config_static_selectorELNS0_4arch9wavefront6targetE1EEEvT1_
	.p2align	8
	.type	_ZN7rocprim17ROCPRIM_400000_NS6detail17trampoline_kernelINS0_14default_configENS1_35adjacent_difference_config_selectorILb0EsEEZNS1_24adjacent_difference_implIS3_Lb0ELb0EPsS7_N6thrust23THRUST_200600_302600_NS4plusIsEEEE10hipError_tPvRmT2_T3_mT4_P12ihipStream_tbEUlT_E_NS1_11comp_targetILNS1_3genE5ELNS1_11target_archE942ELNS1_3gpuE9ELNS1_3repE0EEENS1_30default_config_static_selectorELNS0_4arch9wavefront6targetE1EEEvT1_,@function
_ZN7rocprim17ROCPRIM_400000_NS6detail17trampoline_kernelINS0_14default_configENS1_35adjacent_difference_config_selectorILb0EsEEZNS1_24adjacent_difference_implIS3_Lb0ELb0EPsS7_N6thrust23THRUST_200600_302600_NS4plusIsEEEE10hipError_tPvRmT2_T3_mT4_P12ihipStream_tbEUlT_E_NS1_11comp_targetILNS1_3genE5ELNS1_11target_archE942ELNS1_3gpuE9ELNS1_3repE0EEENS1_30default_config_static_selectorELNS0_4arch9wavefront6targetE1EEEvT1_: ; @_ZN7rocprim17ROCPRIM_400000_NS6detail17trampoline_kernelINS0_14default_configENS1_35adjacent_difference_config_selectorILb0EsEEZNS1_24adjacent_difference_implIS3_Lb0ELb0EPsS7_N6thrust23THRUST_200600_302600_NS4plusIsEEEE10hipError_tPvRmT2_T3_mT4_P12ihipStream_tbEUlT_E_NS1_11comp_targetILNS1_3genE5ELNS1_11target_archE942ELNS1_3gpuE9ELNS1_3repE0EEENS1_30default_config_static_selectorELNS0_4arch9wavefront6targetE1EEEvT1_
; %bb.0:
	s_load_dwordx8 s[4:11], s[0:1], 0x0
	s_mov_b32 s12, 0x3f0f0aa0
	v_bfrev_b32_e32 v1, 11
	s_movk_i32 s3, 0x1100
	s_load_dwordx2 s[0:1], s[0:1], 0x30
	s_waitcnt lgkmcnt(0)
	s_lshl_b64 s[6:7], s[6:7], 1
	s_add_u32 s20, s4, s6
	s_addc_u32 s21, s5, s7
	s_add_u32 s12, 0x367, s12
	s_addc_u32 s13, 0, 0
	v_add_co_u32_e32 v1, vcc, s12, v1
	s_cmp_lg_u64 vcc, 0
	v_readfirstlane_b32 s14, v1
	s_addc_u32 s12, s13, 0xf0f0e
	s_mul_hi_u32 s15, s14, 0xffffef00
	s_mul_i32 s13, s12, 0xffffef00
	s_sub_i32 s15, s15, s14
	s_add_i32 s15, s15, s13
	s_mul_i32 s17, s14, 0xffffef00
	s_mul_hi_u32 s13, s14, s15
	s_mul_i32 s16, s14, s15
	s_mul_hi_u32 s14, s14, s17
	s_add_u32 s14, s14, s16
	s_addc_u32 s13, 0, s13
	s_mul_hi_u32 s18, s12, s17
	s_mul_i32 s17, s12, s17
	s_add_u32 s14, s14, s17
	s_mul_hi_u32 s16, s12, s15
	s_addc_u32 s13, s13, s18
	s_addc_u32 s14, s16, 0
	s_mul_i32 s15, s12, s15
	s_add_u32 s13, s13, s15
	s_addc_u32 s14, 0, s14
	v_add_co_u32_e32 v1, vcc, s13, v1
	s_cmp_lg_u64 vcc, 0
	s_addc_u32 s12, s12, s14
	v_readfirstlane_b32 s15, v1
	s_mul_i32 s14, s10, s12
	s_mul_hi_u32 s16, s10, s15
	s_mul_hi_u32 s13, s10, s12
	s_add_u32 s14, s16, s14
	s_addc_u32 s13, 0, s13
	s_mul_hi_u32 s17, s11, s15
	s_mul_i32 s15, s11, s15
	s_add_u32 s14, s14, s15
	s_mul_hi_u32 s16, s11, s12
	s_addc_u32 s13, s13, s17
	s_addc_u32 s14, s16, 0
	s_mul_i32 s12, s11, s12
	s_add_u32 s12, s13, s12
	s_addc_u32 s13, 0, s14
	s_add_u32 s14, s12, 1
	s_addc_u32 s15, s13, 0
	s_add_u32 s16, s12, 2
	s_mul_i32 s18, s13, 0x1100
	s_mul_hi_u32 s19, s12, 0x1100
	s_addc_u32 s17, s13, 0
	s_add_i32 s19, s19, s18
	s_mul_i32 s18, s12, 0x1100
	v_mov_b32_e32 v1, s18
	v_sub_co_u32_e32 v1, vcc, s10, v1
	s_cmp_lg_u64 vcc, 0
	s_subb_u32 s18, s11, s19
	v_subrev_co_u32_e32 v2, vcc, s3, v1
	s_cmp_lg_u64 vcc, 0
	s_subb_u32 s3, s18, 0
	v_readfirstlane_b32 s19, v2
	s_cmpk_gt_u32 s19, 0x10ff
	s_cselect_b32 s19, -1, 0
	s_cmp_eq_u32 s3, 0
	s_cselect_b32 s3, s19, -1
	s_cmp_lg_u32 s3, 0
	s_cselect_b32 s3, s16, s14
	s_cselect_b32 s14, s17, s15
	v_readfirstlane_b32 s15, v1
	s_cmpk_gt_u32 s15, 0x10ff
	s_cselect_b32 s15, -1, 0
	s_cmp_eq_u32 s18, 0
	s_cselect_b32 s15, s15, -1
	s_cmp_lg_u32 s15, 0
	s_cselect_b32 s14, s14, s13
	s_cselect_b32 s3, s3, s12
	s_mul_i32 s12, s14, 0x1100
	s_mul_hi_u32 s13, s3, 0x1100
	s_add_i32 s13, s13, s12
	s_mul_i32 s12, s3, 0x1100
	s_sub_u32 s12, s10, s12
	s_subb_u32 s13, s11, s13
	s_cmp_lg_u64 s[12:13], 0
	s_cselect_b64 s[12:13], -1, 0
	v_cndmask_b32_e64 v1, 0, 1, s[12:13]
	s_mul_i32 s4, s2, 0x1100
	v_readfirstlane_b32 s11, v1
	s_add_u32 s12, s3, s11
	s_addc_u32 s13, s14, 0
	s_add_u32 s2, s0, s2
	s_addc_u32 s3, s1, 0
	s_add_u32 s14, s12, -1
	s_addc_u32 s15, s13, -1
	v_mov_b64_e32 v[2:3], s[14:15]
	v_cmp_ge_u64_e64 s[0:1], s[2:3], v[2:3]
	s_mov_b32 s5, 0
	s_mov_b64 s[16:17], -1
	s_and_b64 vcc, exec, s[0:1]
	s_mul_i32 s11, s14, 0xffffef00
	s_cbranch_vccz .LBB79_36
; %bb.1:
	s_add_i32 s22, s11, s10
	s_lshl_b64 s[16:17], s[4:5], 1
	s_add_u32 s16, s20, s16
	s_addc_u32 s17, s21, s17
	v_cmp_gt_u32_e32 vcc, s22, v0
                                        ; implicit-def: $vgpr1
	s_and_saveexec_b64 s[18:19], vcc
	s_cbranch_execz .LBB79_3
; %bb.2:
	v_lshlrev_b32_e32 v1, 1, v0
	global_load_ushort v1, v1, s[16:17]
.LBB79_3:
	s_or_b64 exec, exec, s[18:19]
	v_or_b32_e32 v2, 0x100, v0
	v_cmp_gt_u32_e32 vcc, s22, v2
                                        ; implicit-def: $vgpr2
	s_and_saveexec_b64 s[18:19], vcc
	s_cbranch_execz .LBB79_5
; %bb.4:
	v_lshlrev_b32_e32 v2, 1, v0
	global_load_ushort v2, v2, s[16:17] offset:512
.LBB79_5:
	s_or_b64 exec, exec, s[18:19]
	v_or_b32_e32 v3, 0x200, v0
	v_cmp_gt_u32_e32 vcc, s22, v3
                                        ; implicit-def: $vgpr3
	s_and_saveexec_b64 s[18:19], vcc
	s_cbranch_execz .LBB79_7
; %bb.6:
	v_lshlrev_b32_e32 v3, 1, v0
	global_load_ushort v3, v3, s[16:17] offset:1024
.LBB79_7:
	s_or_b64 exec, exec, s[18:19]
	v_or_b32_e32 v4, 0x300, v0
	v_cmp_gt_u32_e32 vcc, s22, v4
                                        ; implicit-def: $vgpr4
	s_and_saveexec_b64 s[18:19], vcc
	s_cbranch_execz .LBB79_9
; %bb.8:
	v_lshlrev_b32_e32 v4, 1, v0
	global_load_ushort v4, v4, s[16:17] offset:1536
.LBB79_9:
	s_or_b64 exec, exec, s[18:19]
	v_or_b32_e32 v5, 0x400, v0
	v_cmp_gt_u32_e32 vcc, s22, v5
                                        ; implicit-def: $vgpr5
	s_and_saveexec_b64 s[18:19], vcc
	s_cbranch_execz .LBB79_11
; %bb.10:
	v_lshlrev_b32_e32 v5, 1, v0
	global_load_ushort v5, v5, s[16:17] offset:2048
.LBB79_11:
	s_or_b64 exec, exec, s[18:19]
	v_or_b32_e32 v6, 0x500, v0
	v_cmp_gt_u32_e32 vcc, s22, v6
                                        ; implicit-def: $vgpr6
	s_and_saveexec_b64 s[18:19], vcc
	s_cbranch_execz .LBB79_13
; %bb.12:
	v_lshlrev_b32_e32 v6, 1, v0
	global_load_ushort v6, v6, s[16:17] offset:2560
.LBB79_13:
	s_or_b64 exec, exec, s[18:19]
	v_or_b32_e32 v7, 0x600, v0
	v_cmp_gt_u32_e32 vcc, s22, v7
                                        ; implicit-def: $vgpr7
	s_and_saveexec_b64 s[18:19], vcc
	s_cbranch_execz .LBB79_15
; %bb.14:
	v_lshlrev_b32_e32 v7, 1, v0
	global_load_ushort v7, v7, s[16:17] offset:3072
.LBB79_15:
	s_or_b64 exec, exec, s[18:19]
	v_or_b32_e32 v8, 0x700, v0
	v_cmp_gt_u32_e32 vcc, s22, v8
                                        ; implicit-def: $vgpr8
	s_and_saveexec_b64 s[18:19], vcc
	s_cbranch_execz .LBB79_17
; %bb.16:
	v_lshlrev_b32_e32 v8, 1, v0
	global_load_ushort v8, v8, s[16:17] offset:3584
.LBB79_17:
	s_or_b64 exec, exec, s[18:19]
	v_or_b32_e32 v10, 0x800, v0
	v_cmp_gt_u32_e32 vcc, s22, v10
                                        ; implicit-def: $vgpr9
	s_and_saveexec_b64 s[18:19], vcc
	s_cbranch_execz .LBB79_19
; %bb.18:
	v_lshlrev_b32_e32 v9, 1, v10
	global_load_ushort v9, v9, s[16:17]
.LBB79_19:
	s_or_b64 exec, exec, s[18:19]
	v_or_b32_e32 v11, 0x900, v0
	v_cmp_gt_u32_e32 vcc, s22, v11
                                        ; implicit-def: $vgpr10
	s_and_saveexec_b64 s[18:19], vcc
	s_cbranch_execz .LBB79_21
; %bb.20:
	v_lshlrev_b32_e32 v10, 1, v11
	global_load_ushort v10, v10, s[16:17]
.LBB79_21:
	s_or_b64 exec, exec, s[18:19]
	v_or_b32_e32 v12, 0xa00, v0
	v_cmp_gt_u32_e32 vcc, s22, v12
                                        ; implicit-def: $vgpr11
	s_and_saveexec_b64 s[18:19], vcc
	s_cbranch_execz .LBB79_23
; %bb.22:
	v_lshlrev_b32_e32 v11, 1, v12
	global_load_ushort v11, v11, s[16:17]
.LBB79_23:
	s_or_b64 exec, exec, s[18:19]
	v_or_b32_e32 v13, 0xb00, v0
	v_cmp_gt_u32_e32 vcc, s22, v13
                                        ; implicit-def: $vgpr12
	s_and_saveexec_b64 s[18:19], vcc
	s_cbranch_execz .LBB79_25
; %bb.24:
	v_lshlrev_b32_e32 v12, 1, v13
	global_load_ushort v12, v12, s[16:17]
.LBB79_25:
	s_or_b64 exec, exec, s[18:19]
	v_or_b32_e32 v14, 0xc00, v0
	v_cmp_gt_u32_e32 vcc, s22, v14
                                        ; implicit-def: $vgpr13
	s_and_saveexec_b64 s[18:19], vcc
	s_cbranch_execz .LBB79_27
; %bb.26:
	v_lshlrev_b32_e32 v13, 1, v14
	global_load_ushort v13, v13, s[16:17]
.LBB79_27:
	s_or_b64 exec, exec, s[18:19]
	v_or_b32_e32 v15, 0xd00, v0
	v_cmp_gt_u32_e32 vcc, s22, v15
                                        ; implicit-def: $vgpr14
	s_and_saveexec_b64 s[18:19], vcc
	s_cbranch_execz .LBB79_29
; %bb.28:
	v_lshlrev_b32_e32 v14, 1, v15
	global_load_ushort v14, v14, s[16:17]
.LBB79_29:
	s_or_b64 exec, exec, s[18:19]
	v_or_b32_e32 v16, 0xe00, v0
	v_cmp_gt_u32_e32 vcc, s22, v16
                                        ; implicit-def: $vgpr15
	s_and_saveexec_b64 s[18:19], vcc
	s_cbranch_execz .LBB79_31
; %bb.30:
	v_lshlrev_b32_e32 v15, 1, v16
	global_load_ushort v15, v15, s[16:17]
.LBB79_31:
	s_or_b64 exec, exec, s[18:19]
	v_or_b32_e32 v17, 0xf00, v0
	v_cmp_gt_u32_e32 vcc, s22, v17
                                        ; implicit-def: $vgpr16
	s_and_saveexec_b64 s[18:19], vcc
	s_cbranch_execz .LBB79_33
; %bb.32:
	v_lshlrev_b32_e32 v16, 1, v17
	global_load_ushort v16, v16, s[16:17]
.LBB79_33:
	s_or_b64 exec, exec, s[18:19]
	v_or_b32_e32 v18, 0x1000, v0
	v_cmp_gt_u32_e32 vcc, s22, v18
                                        ; implicit-def: $vgpr17
	s_and_saveexec_b64 s[18:19], vcc
	s_cbranch_execz .LBB79_35
; %bb.34:
	v_lshlrev_b32_e32 v17, 1, v18
	global_load_ushort v17, v17, s[16:17]
.LBB79_35:
	s_or_b64 exec, exec, s[18:19]
	v_lshlrev_b32_e32 v18, 1, v0
	s_mov_b64 s[16:17], 0
	s_waitcnt vmcnt(0)
	ds_write_b16 v18, v1
	ds_write_b16 v18, v2 offset:512
	ds_write_b16 v18, v3 offset:1024
	;; [unrolled: 1-line block ×16, first 2 shown]
	s_waitcnt lgkmcnt(0)
	s_barrier
.LBB79_36:
	s_and_b64 vcc, exec, s[16:17]
	v_lshlrev_b32_e32 v10, 1, v0
	s_cbranch_vccz .LBB79_38
; %bb.37:
	s_lshl_b64 s[16:17], s[4:5], 1
	s_add_u32 s16, s20, s16
	s_addc_u32 s17, s21, s17
	v_mov_b32_e32 v11, 0
	v_lshl_add_u64 v[2:3], s[16:17], 0, v[10:11]
	s_movk_i32 s5, 0x1000
	v_add_co_u32_e32 v4, vcc, s5, v2
	s_movk_i32 s5, 0x2000
	s_nop 0
	v_addc_co_u32_e32 v5, vcc, 0, v3, vcc
	v_add_co_u32_e32 v2, vcc, s5, v2
	global_load_ushort v1, v10, s[16:17]
	s_nop 0
	v_addc_co_u32_e32 v3, vcc, 0, v3, vcc
	global_load_ushort v6, v10, s[16:17] offset:512
	global_load_ushort v7, v10, s[16:17] offset:1024
	;; [unrolled: 1-line block ×7, first 2 shown]
	global_load_ushort v14, v[2:3], off offset:-4096
	global_load_ushort v15, v[4:5], off offset:512
	global_load_ushort v16, v[4:5], off offset:1024
	;; [unrolled: 1-line block ×7, first 2 shown]
                                        ; kill: killed $sgpr16 killed $sgpr17
                                        ; kill: killed $vgpr4 killed $vgpr5
	s_nop 0
	global_load_ushort v2, v[2:3], off
	s_waitcnt vmcnt(16)
	ds_write_b16 v10, v1
	s_waitcnt vmcnt(15)
	ds_write_b16 v10, v6 offset:512
	s_waitcnt vmcnt(14)
	ds_write_b16 v10, v7 offset:1024
	;; [unrolled: 2-line block ×16, first 2 shown]
	s_waitcnt lgkmcnt(0)
	s_barrier
.LBB79_38:
	v_mul_u32_u24_e32 v1, 17, v0
	v_lshlrev_b32_e32 v1, 1, v1
	ds_read_b128 v[6:9], v1
	ds_read_b128 v[2:5], v1 offset:16
	ds_read_u16 v11, v1 offset:32
	s_cmp_eq_u64 s[2:3], 0
	s_waitcnt lgkmcnt(0)
	s_barrier
	s_cbranch_scc1 .LBB79_43
; %bb.39:
	s_mov_b32 s5, 0
	s_lshl_b64 s[16:17], s[4:5], 1
	s_add_u32 s16, s20, s16
	s_addc_u32 s17, s21, s17
	v_mov_b32_e32 v1, 0
	global_load_ushort v20, v1, s[16:17] offset:-2
	s_cmp_eq_u64 s[2:3], s[14:15]
	s_cbranch_scc1 .LBB79_44
; %bb.40:
	v_cmp_ne_u32_e32 vcc, 0, v0
	s_waitcnt vmcnt(0)
	v_mov_b32_e32 v1, v20
	ds_write_b16 v10, v11
	s_waitcnt lgkmcnt(0)
	s_barrier
	s_and_saveexec_b64 s[14:15], vcc
	s_cbranch_execz .LBB79_42
; %bb.41:
	v_add_u32_e32 v1, -2, v10
	ds_read_u16 v1, v1
.LBB79_42:
	s_or_b64 exec, exec, s[14:15]
	s_waitcnt lgkmcnt(0)
	v_add_u16_e32 v1, v1, v6
	s_mov_b64 s[14:15], 0
	s_branch .LBB79_45
.LBB79_43:
                                        ; implicit-def: $vgpr12_vgpr13
                                        ; implicit-def: $vgpr14_vgpr15
                                        ; implicit-def: $vgpr16_vgpr17
                                        ; implicit-def: $vgpr18_vgpr19
                                        ; implicit-def: $vgpr1
	s_branch .LBB79_50
.LBB79_44:
	s_mov_b64 s[14:15], -1
                                        ; implicit-def: $vgpr1
.LBB79_45:
	s_and_b64 vcc, exec, s[14:15]
	v_mov_b64_e32 v[12:13], v[4:5]
	v_mov_b64_e32 v[14:15], v[2:3]
	;; [unrolled: 1-line block ×4, first 2 shown]
	s_cbranch_vccz .LBB79_49
; %bb.46:
	v_mul_u32_u24_e32 v1, 17, v0
	v_cmp_ne_u32_e32 vcc, 0, v0
	ds_write_b16 v10, v11
	s_waitcnt lgkmcnt(0)
	s_barrier
	s_and_saveexec_b64 s[14:15], vcc
	s_cbranch_execz .LBB79_48
; %bb.47:
	v_add_u32_e32 v12, -2, v10
	s_waitcnt vmcnt(0)
	ds_read_u16 v20, v12
.LBB79_48:
	s_or_b64 exec, exec, s[14:15]
	s_mulk_i32 s2, 0xef00
	s_add_i32 s2, s2, s10
	v_add_u32_e32 v12, 15, v1
	v_add_u32_e32 v13, 16, v1
	v_cmp_gt_u32_e32 vcc, s2, v12
	v_add_u32_e32 v14, 13, v1
	v_lshrrev_b32_e32 v16, 16, v5
	v_cndmask_b32_e32 v12, 0, v5, vcc
	v_cmp_gt_u32_e32 vcc, s2, v13
	v_add_u32_e32 v15, 14, v1
	s_mov_b32 s3, 0x5040100
	v_cndmask_b32_e32 v13, 0, v16, vcc
	v_cmp_gt_u32_e32 vcc, s2, v14
	v_perm_b32 v13, v13, v12, s3
	v_lshrrev_b32_e32 v14, 16, v4
	v_cndmask_b32_e32 v12, 0, v4, vcc
	v_cmp_gt_u32_e32 vcc, s2, v15
	v_add_u32_e32 v15, 12, v1
	v_add_u32_e32 v16, 9, v1
	v_cndmask_b32_e32 v14, 0, v14, vcc
	v_perm_b32 v12, v14, v12, s3
	v_add_u32_e32 v14, 11, v1
	v_cmp_gt_u32_e32 vcc, s2, v14
	v_lshrrev_b32_e32 v18, 16, v3
	v_add_u32_e32 v17, 10, v1
	v_cndmask_b32_e32 v14, 0, v3, vcc
	v_cmp_gt_u32_e32 vcc, s2, v15
	v_lshrrev_b32_e32 v21, 16, v9
	v_add_u32_e32 v19, 6, v1
	v_cndmask_b32_e32 v15, 0, v18, vcc
	v_cmp_gt_u32_e32 vcc, s2, v16
	v_perm_b32 v15, v15, v14, s3
	v_lshrrev_b32_e32 v16, 16, v2
	v_cndmask_b32_e32 v14, 0, v2, vcc
	v_cmp_gt_u32_e32 vcc, s2, v17
	v_add_u32_e32 v17, 8, v1
	v_add_u32_e32 v18, 5, v1
	v_cndmask_b32_e32 v16, 0, v16, vcc
	v_perm_b32 v14, v16, v14, s3
	v_add_u32_e32 v16, 7, v1
	v_cmp_gt_u32_e32 vcc, s2, v16
	v_lshrrev_b32_e32 v23, 16, v7
	v_add_u32_e32 v22, 2, v1
	v_cndmask_b32_e32 v16, 0, v9, vcc
	v_cmp_gt_u32_e32 vcc, s2, v17
	s_nop 1
	v_cndmask_b32_e32 v17, 0, v21, vcc
	v_cmp_gt_u32_e32 vcc, s2, v18
	v_perm_b32 v17, v17, v16, s3
	v_lshrrev_b32_e32 v18, 16, v8
	v_cndmask_b32_e32 v16, 0, v8, vcc
	v_cmp_gt_u32_e32 vcc, s2, v19
	v_add_u32_e32 v19, 4, v1
	v_add_u32_e32 v21, 1, v1
	v_cndmask_b32_e32 v18, 0, v18, vcc
	v_perm_b32 v16, v18, v16, s3
	v_add_u32_e32 v18, 3, v1
	v_cmp_gt_u32_e32 vcc, s2, v18
	s_nop 1
	v_cndmask_b32_e32 v18, 0, v7, vcc
	v_cmp_gt_u32_e32 vcc, s2, v19
	s_nop 1
	v_cndmask_b32_e32 v19, 0, v23, vcc
	v_cmp_gt_u32_e32 vcc, s2, v21
	v_perm_b32 v19, v19, v18, s3
	v_lshrrev_b32_e32 v21, 16, v6
	v_cndmask_b32_e32 v18, 0, v6, vcc
	v_cmp_gt_u32_e32 vcc, s2, v22
	s_nop 1
	v_cndmask_b32_e32 v21, 0, v21, vcc
	v_cmp_gt_u32_e32 vcc, s2, v1
	v_perm_b32 v18, v21, v18, s3
	s_waitcnt vmcnt(0) lgkmcnt(0)
	v_cndmask_b32_e32 v1, 0, v20, vcc
	v_add_u16_e32 v1, v1, v6
.LBB79_49:
	s_cbranch_execnz .LBB79_59
.LBB79_50:
	s_cmp_eq_u64 s[12:13], 1
	v_cmp_ne_u32_e32 vcc, 0, v0
	s_cbranch_scc1 .LBB79_54
; %bb.51:
	v_mov_b32_e32 v1, v6
	ds_write_b16 v10, v11
	s_waitcnt lgkmcnt(0)
	s_barrier
	s_and_saveexec_b64 s[2:3], vcc
	s_cbranch_execz .LBB79_53
; %bb.52:
	v_add_u32_e32 v1, -2, v10
	ds_read_u16 v1, v1
	s_waitcnt lgkmcnt(0)
	v_add_u16_e32 v1, v1, v6
.LBB79_53:
	s_or_b64 exec, exec, s[2:3]
	s_mov_b64 s[2:3], 0
	s_branch .LBB79_55
.LBB79_54:
	s_mov_b64 s[2:3], -1
                                        ; implicit-def: $vgpr1
.LBB79_55:
	s_andn2_b64 vcc, exec, s[2:3]
	v_mov_b64_e32 v[12:13], v[4:5]
	v_mov_b64_e32 v[14:15], v[2:3]
	;; [unrolled: 1-line block ×4, first 2 shown]
	s_cbranch_vccnz .LBB79_59
; %bb.56:
	v_mad_u32_u24 v12, v0, 17, 15
	v_mad_u32_u24 v13, v0, 17, 16
	v_cmp_gt_u32_e32 vcc, s10, v12
	v_mad_u32_u24 v14, v0, 17, 13
	v_lshrrev_b32_e32 v16, 16, v5
	v_cndmask_b32_e32 v12, 0, v5, vcc
	v_cmp_gt_u32_e32 vcc, s10, v13
	v_mad_u32_u24 v15, v0, 17, 14
	s_mov_b32 s2, 0x5040100
	v_cndmask_b32_e32 v13, 0, v16, vcc
	v_cmp_gt_u32_e32 vcc, s10, v14
	v_perm_b32 v13, v13, v12, s2
	v_lshrrev_b32_e32 v14, 16, v4
	v_cndmask_b32_e32 v12, 0, v4, vcc
	v_cmp_gt_u32_e32 vcc, s10, v15
	v_mad_u32_u24 v15, v0, 17, 12
	v_mad_u32_u24 v16, v0, 17, 9
	v_cndmask_b32_e32 v14, 0, v14, vcc
	v_perm_b32 v12, v14, v12, s2
	v_mad_u32_u24 v14, v0, 17, 11
	v_cmp_gt_u32_e32 vcc, s10, v14
	v_lshrrev_b32_e32 v18, 16, v3
	v_mad_u32_u24 v17, v0, 17, 10
	v_cndmask_b32_e32 v14, 0, v3, vcc
	v_cmp_gt_u32_e32 vcc, s10, v15
	s_waitcnt vmcnt(0)
	v_lshrrev_b32_e32 v20, 16, v9
	v_mad_u32_u24 v19, v0, 17, 6
	v_cndmask_b32_e32 v15, 0, v18, vcc
	v_cmp_gt_u32_e32 vcc, s10, v16
	v_perm_b32 v15, v15, v14, s2
	v_lshrrev_b32_e32 v16, 16, v2
	v_cndmask_b32_e32 v14, 0, v2, vcc
	v_cmp_gt_u32_e32 vcc, s10, v17
	v_mad_u32_u24 v17, v0, 17, 8
	v_mad_u32_u24 v18, v0, 17, 5
	v_cndmask_b32_e32 v16, 0, v16, vcc
	v_perm_b32 v14, v16, v14, s2
	v_mad_u32_u24 v16, v0, 17, 7
	v_cmp_gt_u32_e32 vcc, s10, v16
	v_lshrrev_b32_e32 v22, 16, v7
	v_mad_u32_u24 v21, v0, 17, 2
	v_cndmask_b32_e32 v16, 0, v9, vcc
	v_cmp_gt_u32_e32 vcc, s10, v17
	v_mul_u32_u24_e32 v1, 17, v0
	ds_write_b16 v10, v11
	v_cndmask_b32_e32 v17, 0, v20, vcc
	v_cmp_gt_u32_e32 vcc, s10, v18
	v_perm_b32 v17, v17, v16, s2
	v_lshrrev_b32_e32 v18, 16, v8
	v_cndmask_b32_e32 v16, 0, v8, vcc
	v_cmp_gt_u32_e32 vcc, s10, v19
	v_mad_u32_u24 v19, v0, 17, 4
	v_mad_u32_u24 v20, v0, 17, 1
	v_cndmask_b32_e32 v18, 0, v18, vcc
	v_perm_b32 v16, v18, v16, s2
	v_mad_u32_u24 v18, v0, 17, 3
	v_cmp_gt_u32_e32 vcc, s10, v18
	s_waitcnt lgkmcnt(0)
	s_barrier
	v_cndmask_b32_e32 v18, 0, v7, vcc
	v_cmp_gt_u32_e32 vcc, s10, v19
	s_nop 1
	v_cndmask_b32_e32 v19, 0, v22, vcc
	v_cmp_gt_u32_e32 vcc, s10, v20
	v_perm_b32 v19, v19, v18, s2
	v_lshrrev_b32_e32 v20, 16, v6
	v_cndmask_b32_e32 v18, 0, v6, vcc
	v_cmp_gt_u32_e32 vcc, s10, v21
	s_nop 1
	v_cndmask_b32_e32 v20, 0, v20, vcc
	v_perm_b32 v18, v20, v18, s2
	v_cmp_ne_u32_e32 vcc, 0, v0
	v_cmp_gt_u32_e64 s[2:3], s10, v1
	s_and_b64 s[12:13], vcc, s[2:3]
	v_mov_b32_e32 v1, v6
	s_and_saveexec_b64 s[2:3], s[12:13]
	s_cbranch_execz .LBB79_58
; %bb.57:
	v_add_u32_e32 v1, -2, v10
	ds_read_u16 v1, v1
	s_waitcnt lgkmcnt(0)
	v_add_u16_e32 v1, v1, v6
.LBB79_58:
	s_or_b64 exec, exec, s[2:3]
.LBB79_59:
	s_add_u32 s6, s8, s6
	v_alignbit_b32 v6, v7, v6, 16
	v_alignbit_b32 v7, v8, v7, 16
	;; [unrolled: 1-line block ×8, first 2 shown]
	s_addc_u32 s7, s9, s7
	v_pk_add_u16 v7, v19, v7
	v_pk_add_u16 v6, v18, v6
	;; [unrolled: 1-line block ×8, first 2 shown]
	s_and_b64 vcc, exec, s[0:1]
	v_mul_u32_u24_e32 v14, 34, v0
	v_lshlrev_b32_e32 v15, 5, v0
	s_barrier
	s_cbranch_vccz .LBB79_93
; %bb.60:
	v_sub_u32_e32 v11, v14, v15
	ds_write_b16 v14, v1
	ds_write_b128 v14, v[6:9] offset:2
	ds_write_b128 v14, v[2:5] offset:18
	s_waitcnt lgkmcnt(0)
	s_barrier
	ds_read_u16 v31, v11 offset:512
	ds_read_u16 v30, v11 offset:1024
	;; [unrolled: 1-line block ×11, first 2 shown]
	s_waitcnt vmcnt(0)
	ds_read_u16 v20, v11 offset:6144
	ds_read_u16 v19, v11 offset:6656
	ds_read_u16 v18, v11 offset:7168
	ds_read_u16 v17, v11 offset:7680
	ds_read_u16 v16, v11 offset:8192
	s_mov_b32 s5, 0
	s_add_i32 s11, s11, s10
	s_lshl_b64 s[0:1], s[4:5], 1
	s_add_u32 s0, s6, s0
	s_addc_u32 s1, s7, s1
	v_mov_b32_e32 v11, 0
	v_lshl_add_u64 v[12:13], s[0:1], 0, v[10:11]
	v_cmp_gt_u32_e32 vcc, s11, v0
	s_and_saveexec_b64 s[0:1], vcc
	s_cbranch_execz .LBB79_62
; %bb.61:
	v_sub_u32_e32 v11, 0, v15
	v_add_u32_e32 v11, v14, v11
	ds_read_u16 v11, v11
	s_waitcnt lgkmcnt(0)
	global_store_short v[12:13], v11, off
.LBB79_62:
	s_or_b64 exec, exec, s[0:1]
	v_or_b32_e32 v11, 0x100, v0
	v_cmp_gt_u32_e32 vcc, s11, v11
	s_and_saveexec_b64 s[0:1], vcc
	s_cbranch_execz .LBB79_64
; %bb.63:
	s_waitcnt lgkmcnt(14)
	global_store_short v[12:13], v31, off offset:512
.LBB79_64:
	s_or_b64 exec, exec, s[0:1]
	v_or_b32_e32 v11, 0x200, v0
	v_cmp_gt_u32_e32 vcc, s11, v11
	s_and_saveexec_b64 s[0:1], vcc
	s_cbranch_execz .LBB79_66
; %bb.65:
	s_waitcnt lgkmcnt(14)
	global_store_short v[12:13], v30, off offset:1024
.LBB79_66:
	;; [unrolled: 9-line block ×7, first 2 shown]
	s_or_b64 exec, exec, s[0:1]
	v_or_b32_e32 v11, 0x800, v0
	v_cmp_gt_u32_e32 vcc, s11, v11
	s_and_saveexec_b64 s[0:1], vcc
	s_cbranch_execz .LBB79_78
; %bb.77:
	s_waitcnt lgkmcnt(10)
	v_add_co_u32_e32 v26, vcc, 0x1000, v12
	s_nop 1
	v_addc_co_u32_e32 v27, vcc, 0, v13, vcc
	s_waitcnt lgkmcnt(8)
	global_store_short v[26:27], v24, off
.LBB79_78:
	s_or_b64 exec, exec, s[0:1]
	v_or_b32_e32 v11, 0x900, v0
	v_cmp_gt_u32_e32 vcc, s11, v11
	s_and_saveexec_b64 s[0:1], vcc
	s_cbranch_execz .LBB79_80
; %bb.79:
	s_waitcnt lgkmcnt(8)
	v_add_co_u32_e32 v24, vcc, 0x1000, v12
	s_nop 1
	v_addc_co_u32_e32 v25, vcc, 0, v13, vcc
	s_waitcnt lgkmcnt(7)
	global_store_short v[24:25], v23, off offset:512
.LBB79_80:
	s_or_b64 exec, exec, s[0:1]
	v_or_b32_e32 v11, 0xa00, v0
	v_cmp_gt_u32_e32 vcc, s11, v11
	s_and_saveexec_b64 s[0:1], vcc
	s_cbranch_execz .LBB79_82
; %bb.81:
	s_waitcnt lgkmcnt(8)
	v_add_co_u32_e32 v24, vcc, 0x1000, v12
	s_nop 1
	v_addc_co_u32_e32 v25, vcc, 0, v13, vcc
	s_waitcnt lgkmcnt(6)
	global_store_short v[24:25], v22, off offset:1024
.LBB79_82:
	;; [unrolled: 13-line block ×7, first 2 shown]
	s_or_b64 exec, exec, s[0:1]
	v_or_b32_e32 v0, 0x1000, v0
	v_cmp_gt_u32_e64 s[0:1], s11, v0
	s_branch .LBB79_95
.LBB79_93:
	s_mov_b64 s[0:1], 0
                                        ; implicit-def: $vgpr16
                                        ; implicit-def: $vgpr12_vgpr13
	s_cbranch_execz .LBB79_95
; %bb.94:
	s_mov_b32 s5, 0
	s_lshl_b64 s[2:3], s[4:5], 1
	s_add_u32 s2, s6, s2
	v_sub_u32_e32 v0, v14, v15
	s_addc_u32 s3, s7, s3
	ds_write_b16 v14, v1
	ds_write_b128 v14, v[6:9] offset:2
	ds_write_b128 v14, v[2:5] offset:18
	s_waitcnt lgkmcnt(0)
	s_barrier
	ds_read_u16 v1, v0
	ds_read_u16 v2, v0 offset:512
	ds_read_u16 v3, v0 offset:1024
	ds_read_u16 v4, v0 offset:1536
	ds_read_u16 v5, v0 offset:2048
	ds_read_u16 v6, v0 offset:2560
	ds_read_u16 v7, v0 offset:3072
	ds_read_u16 v8, v0 offset:3584
	ds_read_u16 v9, v0 offset:4096
	ds_read_u16 v14, v0 offset:4608
	ds_read_u16 v15, v0 offset:5120
	ds_read_u16 v17, v0 offset:5632
	ds_read_u16 v18, v0 offset:6144
	ds_read_u16 v19, v0 offset:6656
	s_waitcnt vmcnt(0)
	ds_read_u16 v20, v0 offset:7168
	ds_read_u16 v21, v0 offset:7680
	;; [unrolled: 1-line block ×3, first 2 shown]
	v_mov_b32_e32 v11, 0
	v_lshl_add_u64 v[12:13], s[2:3], 0, v[10:11]
	v_add_co_u32_e32 v0, vcc, 0x1000, v12
	s_waitcnt lgkmcnt(14)
	global_store_short v10, v1, s[2:3]
	global_store_short v10, v2, s[2:3] offset:512
	global_store_short v10, v3, s[2:3] offset:1024
	s_waitcnt lgkmcnt(13)
	global_store_short v10, v4, s[2:3] offset:1536
	s_waitcnt lgkmcnt(12)
	;; [unrolled: 2-line block ×5, first 2 shown]
	global_store_short v10, v8, s[2:3] offset:3584
	v_addc_co_u32_e32 v1, vcc, 0, v13, vcc
	s_or_b64 s[0:1], s[0:1], exec
	s_waitcnt lgkmcnt(8)
	global_store_short v[0:1], v9, off
	s_waitcnt lgkmcnt(7)
	global_store_short v[0:1], v14, off offset:512
	s_waitcnt lgkmcnt(6)
	global_store_short v[0:1], v15, off offset:1024
	;; [unrolled: 2-line block ×7, first 2 shown]
.LBB79_95:
	s_and_saveexec_b64 s[2:3], s[0:1]
	s_cbranch_execnz .LBB79_97
; %bb.96:
	s_endpgm
.LBB79_97:
	v_add_co_u32_e32 v0, vcc, 0x2000, v12
	s_nop 1
	v_addc_co_u32_e32 v1, vcc, 0, v13, vcc
	s_waitcnt lgkmcnt(0)
	global_store_short v[0:1], v16, off
	s_endpgm
	.section	.rodata,"a",@progbits
	.p2align	6, 0x0
	.amdhsa_kernel _ZN7rocprim17ROCPRIM_400000_NS6detail17trampoline_kernelINS0_14default_configENS1_35adjacent_difference_config_selectorILb0EsEEZNS1_24adjacent_difference_implIS3_Lb0ELb0EPsS7_N6thrust23THRUST_200600_302600_NS4plusIsEEEE10hipError_tPvRmT2_T3_mT4_P12ihipStream_tbEUlT_E_NS1_11comp_targetILNS1_3genE5ELNS1_11target_archE942ELNS1_3gpuE9ELNS1_3repE0EEENS1_30default_config_static_selectorELNS0_4arch9wavefront6targetE1EEEvT1_
		.amdhsa_group_segment_fixed_size 8704
		.amdhsa_private_segment_fixed_size 0
		.amdhsa_kernarg_size 56
		.amdhsa_user_sgpr_count 2
		.amdhsa_user_sgpr_dispatch_ptr 0
		.amdhsa_user_sgpr_queue_ptr 0
		.amdhsa_user_sgpr_kernarg_segment_ptr 1
		.amdhsa_user_sgpr_dispatch_id 0
		.amdhsa_user_sgpr_kernarg_preload_length 0
		.amdhsa_user_sgpr_kernarg_preload_offset 0
		.amdhsa_user_sgpr_private_segment_size 0
		.amdhsa_uses_dynamic_stack 0
		.amdhsa_enable_private_segment 0
		.amdhsa_system_sgpr_workgroup_id_x 1
		.amdhsa_system_sgpr_workgroup_id_y 0
		.amdhsa_system_sgpr_workgroup_id_z 0
		.amdhsa_system_sgpr_workgroup_info 0
		.amdhsa_system_vgpr_workitem_id 0
		.amdhsa_next_free_vgpr 32
		.amdhsa_next_free_sgpr 23
		.amdhsa_accum_offset 32
		.amdhsa_reserve_vcc 1
		.amdhsa_float_round_mode_32 0
		.amdhsa_float_round_mode_16_64 0
		.amdhsa_float_denorm_mode_32 3
		.amdhsa_float_denorm_mode_16_64 3
		.amdhsa_dx10_clamp 1
		.amdhsa_ieee_mode 1
		.amdhsa_fp16_overflow 0
		.amdhsa_tg_split 0
		.amdhsa_exception_fp_ieee_invalid_op 0
		.amdhsa_exception_fp_denorm_src 0
		.amdhsa_exception_fp_ieee_div_zero 0
		.amdhsa_exception_fp_ieee_overflow 0
		.amdhsa_exception_fp_ieee_underflow 0
		.amdhsa_exception_fp_ieee_inexact 0
		.amdhsa_exception_int_div_zero 0
	.end_amdhsa_kernel
	.section	.text._ZN7rocprim17ROCPRIM_400000_NS6detail17trampoline_kernelINS0_14default_configENS1_35adjacent_difference_config_selectorILb0EsEEZNS1_24adjacent_difference_implIS3_Lb0ELb0EPsS7_N6thrust23THRUST_200600_302600_NS4plusIsEEEE10hipError_tPvRmT2_T3_mT4_P12ihipStream_tbEUlT_E_NS1_11comp_targetILNS1_3genE5ELNS1_11target_archE942ELNS1_3gpuE9ELNS1_3repE0EEENS1_30default_config_static_selectorELNS0_4arch9wavefront6targetE1EEEvT1_,"axG",@progbits,_ZN7rocprim17ROCPRIM_400000_NS6detail17trampoline_kernelINS0_14default_configENS1_35adjacent_difference_config_selectorILb0EsEEZNS1_24adjacent_difference_implIS3_Lb0ELb0EPsS7_N6thrust23THRUST_200600_302600_NS4plusIsEEEE10hipError_tPvRmT2_T3_mT4_P12ihipStream_tbEUlT_E_NS1_11comp_targetILNS1_3genE5ELNS1_11target_archE942ELNS1_3gpuE9ELNS1_3repE0EEENS1_30default_config_static_selectorELNS0_4arch9wavefront6targetE1EEEvT1_,comdat
.Lfunc_end79:
	.size	_ZN7rocprim17ROCPRIM_400000_NS6detail17trampoline_kernelINS0_14default_configENS1_35adjacent_difference_config_selectorILb0EsEEZNS1_24adjacent_difference_implIS3_Lb0ELb0EPsS7_N6thrust23THRUST_200600_302600_NS4plusIsEEEE10hipError_tPvRmT2_T3_mT4_P12ihipStream_tbEUlT_E_NS1_11comp_targetILNS1_3genE5ELNS1_11target_archE942ELNS1_3gpuE9ELNS1_3repE0EEENS1_30default_config_static_selectorELNS0_4arch9wavefront6targetE1EEEvT1_, .Lfunc_end79-_ZN7rocprim17ROCPRIM_400000_NS6detail17trampoline_kernelINS0_14default_configENS1_35adjacent_difference_config_selectorILb0EsEEZNS1_24adjacent_difference_implIS3_Lb0ELb0EPsS7_N6thrust23THRUST_200600_302600_NS4plusIsEEEE10hipError_tPvRmT2_T3_mT4_P12ihipStream_tbEUlT_E_NS1_11comp_targetILNS1_3genE5ELNS1_11target_archE942ELNS1_3gpuE9ELNS1_3repE0EEENS1_30default_config_static_selectorELNS0_4arch9wavefront6targetE1EEEvT1_
                                        ; -- End function
	.section	.AMDGPU.csdata,"",@progbits
; Kernel info:
; codeLenInByte = 4392
; NumSgprs: 29
; NumVgprs: 32
; NumAgprs: 0
; TotalNumVgprs: 32
; ScratchSize: 0
; MemoryBound: 0
; FloatMode: 240
; IeeeMode: 1
; LDSByteSize: 8704 bytes/workgroup (compile time only)
; SGPRBlocks: 3
; VGPRBlocks: 3
; NumSGPRsForWavesPerEU: 29
; NumVGPRsForWavesPerEU: 32
; AccumOffset: 32
; Occupancy: 7
; WaveLimiterHint : 1
; COMPUTE_PGM_RSRC2:SCRATCH_EN: 0
; COMPUTE_PGM_RSRC2:USER_SGPR: 2
; COMPUTE_PGM_RSRC2:TRAP_HANDLER: 0
; COMPUTE_PGM_RSRC2:TGID_X_EN: 1
; COMPUTE_PGM_RSRC2:TGID_Y_EN: 0
; COMPUTE_PGM_RSRC2:TGID_Z_EN: 0
; COMPUTE_PGM_RSRC2:TIDIG_COMP_CNT: 0
; COMPUTE_PGM_RSRC3_GFX90A:ACCUM_OFFSET: 7
; COMPUTE_PGM_RSRC3_GFX90A:TG_SPLIT: 0
	.section	.text._ZN7rocprim17ROCPRIM_400000_NS6detail17trampoline_kernelINS0_14default_configENS1_35adjacent_difference_config_selectorILb0EsEEZNS1_24adjacent_difference_implIS3_Lb0ELb0EPsS7_N6thrust23THRUST_200600_302600_NS4plusIsEEEE10hipError_tPvRmT2_T3_mT4_P12ihipStream_tbEUlT_E_NS1_11comp_targetILNS1_3genE4ELNS1_11target_archE910ELNS1_3gpuE8ELNS1_3repE0EEENS1_30default_config_static_selectorELNS0_4arch9wavefront6targetE1EEEvT1_,"axG",@progbits,_ZN7rocprim17ROCPRIM_400000_NS6detail17trampoline_kernelINS0_14default_configENS1_35adjacent_difference_config_selectorILb0EsEEZNS1_24adjacent_difference_implIS3_Lb0ELb0EPsS7_N6thrust23THRUST_200600_302600_NS4plusIsEEEE10hipError_tPvRmT2_T3_mT4_P12ihipStream_tbEUlT_E_NS1_11comp_targetILNS1_3genE4ELNS1_11target_archE910ELNS1_3gpuE8ELNS1_3repE0EEENS1_30default_config_static_selectorELNS0_4arch9wavefront6targetE1EEEvT1_,comdat
	.protected	_ZN7rocprim17ROCPRIM_400000_NS6detail17trampoline_kernelINS0_14default_configENS1_35adjacent_difference_config_selectorILb0EsEEZNS1_24adjacent_difference_implIS3_Lb0ELb0EPsS7_N6thrust23THRUST_200600_302600_NS4plusIsEEEE10hipError_tPvRmT2_T3_mT4_P12ihipStream_tbEUlT_E_NS1_11comp_targetILNS1_3genE4ELNS1_11target_archE910ELNS1_3gpuE8ELNS1_3repE0EEENS1_30default_config_static_selectorELNS0_4arch9wavefront6targetE1EEEvT1_ ; -- Begin function _ZN7rocprim17ROCPRIM_400000_NS6detail17trampoline_kernelINS0_14default_configENS1_35adjacent_difference_config_selectorILb0EsEEZNS1_24adjacent_difference_implIS3_Lb0ELb0EPsS7_N6thrust23THRUST_200600_302600_NS4plusIsEEEE10hipError_tPvRmT2_T3_mT4_P12ihipStream_tbEUlT_E_NS1_11comp_targetILNS1_3genE4ELNS1_11target_archE910ELNS1_3gpuE8ELNS1_3repE0EEENS1_30default_config_static_selectorELNS0_4arch9wavefront6targetE1EEEvT1_
	.globl	_ZN7rocprim17ROCPRIM_400000_NS6detail17trampoline_kernelINS0_14default_configENS1_35adjacent_difference_config_selectorILb0EsEEZNS1_24adjacent_difference_implIS3_Lb0ELb0EPsS7_N6thrust23THRUST_200600_302600_NS4plusIsEEEE10hipError_tPvRmT2_T3_mT4_P12ihipStream_tbEUlT_E_NS1_11comp_targetILNS1_3genE4ELNS1_11target_archE910ELNS1_3gpuE8ELNS1_3repE0EEENS1_30default_config_static_selectorELNS0_4arch9wavefront6targetE1EEEvT1_
	.p2align	8
	.type	_ZN7rocprim17ROCPRIM_400000_NS6detail17trampoline_kernelINS0_14default_configENS1_35adjacent_difference_config_selectorILb0EsEEZNS1_24adjacent_difference_implIS3_Lb0ELb0EPsS7_N6thrust23THRUST_200600_302600_NS4plusIsEEEE10hipError_tPvRmT2_T3_mT4_P12ihipStream_tbEUlT_E_NS1_11comp_targetILNS1_3genE4ELNS1_11target_archE910ELNS1_3gpuE8ELNS1_3repE0EEENS1_30default_config_static_selectorELNS0_4arch9wavefront6targetE1EEEvT1_,@function
_ZN7rocprim17ROCPRIM_400000_NS6detail17trampoline_kernelINS0_14default_configENS1_35adjacent_difference_config_selectorILb0EsEEZNS1_24adjacent_difference_implIS3_Lb0ELb0EPsS7_N6thrust23THRUST_200600_302600_NS4plusIsEEEE10hipError_tPvRmT2_T3_mT4_P12ihipStream_tbEUlT_E_NS1_11comp_targetILNS1_3genE4ELNS1_11target_archE910ELNS1_3gpuE8ELNS1_3repE0EEENS1_30default_config_static_selectorELNS0_4arch9wavefront6targetE1EEEvT1_: ; @_ZN7rocprim17ROCPRIM_400000_NS6detail17trampoline_kernelINS0_14default_configENS1_35adjacent_difference_config_selectorILb0EsEEZNS1_24adjacent_difference_implIS3_Lb0ELb0EPsS7_N6thrust23THRUST_200600_302600_NS4plusIsEEEE10hipError_tPvRmT2_T3_mT4_P12ihipStream_tbEUlT_E_NS1_11comp_targetILNS1_3genE4ELNS1_11target_archE910ELNS1_3gpuE8ELNS1_3repE0EEENS1_30default_config_static_selectorELNS0_4arch9wavefront6targetE1EEEvT1_
; %bb.0:
	.section	.rodata,"a",@progbits
	.p2align	6, 0x0
	.amdhsa_kernel _ZN7rocprim17ROCPRIM_400000_NS6detail17trampoline_kernelINS0_14default_configENS1_35adjacent_difference_config_selectorILb0EsEEZNS1_24adjacent_difference_implIS3_Lb0ELb0EPsS7_N6thrust23THRUST_200600_302600_NS4plusIsEEEE10hipError_tPvRmT2_T3_mT4_P12ihipStream_tbEUlT_E_NS1_11comp_targetILNS1_3genE4ELNS1_11target_archE910ELNS1_3gpuE8ELNS1_3repE0EEENS1_30default_config_static_selectorELNS0_4arch9wavefront6targetE1EEEvT1_
		.amdhsa_group_segment_fixed_size 0
		.amdhsa_private_segment_fixed_size 0
		.amdhsa_kernarg_size 56
		.amdhsa_user_sgpr_count 2
		.amdhsa_user_sgpr_dispatch_ptr 0
		.amdhsa_user_sgpr_queue_ptr 0
		.amdhsa_user_sgpr_kernarg_segment_ptr 1
		.amdhsa_user_sgpr_dispatch_id 0
		.amdhsa_user_sgpr_kernarg_preload_length 0
		.amdhsa_user_sgpr_kernarg_preload_offset 0
		.amdhsa_user_sgpr_private_segment_size 0
		.amdhsa_uses_dynamic_stack 0
		.amdhsa_enable_private_segment 0
		.amdhsa_system_sgpr_workgroup_id_x 1
		.amdhsa_system_sgpr_workgroup_id_y 0
		.amdhsa_system_sgpr_workgroup_id_z 0
		.amdhsa_system_sgpr_workgroup_info 0
		.amdhsa_system_vgpr_workitem_id 0
		.amdhsa_next_free_vgpr 1
		.amdhsa_next_free_sgpr 0
		.amdhsa_accum_offset 4
		.amdhsa_reserve_vcc 0
		.amdhsa_float_round_mode_32 0
		.amdhsa_float_round_mode_16_64 0
		.amdhsa_float_denorm_mode_32 3
		.amdhsa_float_denorm_mode_16_64 3
		.amdhsa_dx10_clamp 1
		.amdhsa_ieee_mode 1
		.amdhsa_fp16_overflow 0
		.amdhsa_tg_split 0
		.amdhsa_exception_fp_ieee_invalid_op 0
		.amdhsa_exception_fp_denorm_src 0
		.amdhsa_exception_fp_ieee_div_zero 0
		.amdhsa_exception_fp_ieee_overflow 0
		.amdhsa_exception_fp_ieee_underflow 0
		.amdhsa_exception_fp_ieee_inexact 0
		.amdhsa_exception_int_div_zero 0
	.end_amdhsa_kernel
	.section	.text._ZN7rocprim17ROCPRIM_400000_NS6detail17trampoline_kernelINS0_14default_configENS1_35adjacent_difference_config_selectorILb0EsEEZNS1_24adjacent_difference_implIS3_Lb0ELb0EPsS7_N6thrust23THRUST_200600_302600_NS4plusIsEEEE10hipError_tPvRmT2_T3_mT4_P12ihipStream_tbEUlT_E_NS1_11comp_targetILNS1_3genE4ELNS1_11target_archE910ELNS1_3gpuE8ELNS1_3repE0EEENS1_30default_config_static_selectorELNS0_4arch9wavefront6targetE1EEEvT1_,"axG",@progbits,_ZN7rocprim17ROCPRIM_400000_NS6detail17trampoline_kernelINS0_14default_configENS1_35adjacent_difference_config_selectorILb0EsEEZNS1_24adjacent_difference_implIS3_Lb0ELb0EPsS7_N6thrust23THRUST_200600_302600_NS4plusIsEEEE10hipError_tPvRmT2_T3_mT4_P12ihipStream_tbEUlT_E_NS1_11comp_targetILNS1_3genE4ELNS1_11target_archE910ELNS1_3gpuE8ELNS1_3repE0EEENS1_30default_config_static_selectorELNS0_4arch9wavefront6targetE1EEEvT1_,comdat
.Lfunc_end80:
	.size	_ZN7rocprim17ROCPRIM_400000_NS6detail17trampoline_kernelINS0_14default_configENS1_35adjacent_difference_config_selectorILb0EsEEZNS1_24adjacent_difference_implIS3_Lb0ELb0EPsS7_N6thrust23THRUST_200600_302600_NS4plusIsEEEE10hipError_tPvRmT2_T3_mT4_P12ihipStream_tbEUlT_E_NS1_11comp_targetILNS1_3genE4ELNS1_11target_archE910ELNS1_3gpuE8ELNS1_3repE0EEENS1_30default_config_static_selectorELNS0_4arch9wavefront6targetE1EEEvT1_, .Lfunc_end80-_ZN7rocprim17ROCPRIM_400000_NS6detail17trampoline_kernelINS0_14default_configENS1_35adjacent_difference_config_selectorILb0EsEEZNS1_24adjacent_difference_implIS3_Lb0ELb0EPsS7_N6thrust23THRUST_200600_302600_NS4plusIsEEEE10hipError_tPvRmT2_T3_mT4_P12ihipStream_tbEUlT_E_NS1_11comp_targetILNS1_3genE4ELNS1_11target_archE910ELNS1_3gpuE8ELNS1_3repE0EEENS1_30default_config_static_selectorELNS0_4arch9wavefront6targetE1EEEvT1_
                                        ; -- End function
	.section	.AMDGPU.csdata,"",@progbits
; Kernel info:
; codeLenInByte = 0
; NumSgprs: 6
; NumVgprs: 0
; NumAgprs: 0
; TotalNumVgprs: 0
; ScratchSize: 0
; MemoryBound: 0
; FloatMode: 240
; IeeeMode: 1
; LDSByteSize: 0 bytes/workgroup (compile time only)
; SGPRBlocks: 0
; VGPRBlocks: 0
; NumSGPRsForWavesPerEU: 6
; NumVGPRsForWavesPerEU: 1
; AccumOffset: 4
; Occupancy: 8
; WaveLimiterHint : 0
; COMPUTE_PGM_RSRC2:SCRATCH_EN: 0
; COMPUTE_PGM_RSRC2:USER_SGPR: 2
; COMPUTE_PGM_RSRC2:TRAP_HANDLER: 0
; COMPUTE_PGM_RSRC2:TGID_X_EN: 1
; COMPUTE_PGM_RSRC2:TGID_Y_EN: 0
; COMPUTE_PGM_RSRC2:TGID_Z_EN: 0
; COMPUTE_PGM_RSRC2:TIDIG_COMP_CNT: 0
; COMPUTE_PGM_RSRC3_GFX90A:ACCUM_OFFSET: 0
; COMPUTE_PGM_RSRC3_GFX90A:TG_SPLIT: 0
	.section	.text._ZN7rocprim17ROCPRIM_400000_NS6detail17trampoline_kernelINS0_14default_configENS1_35adjacent_difference_config_selectorILb0EsEEZNS1_24adjacent_difference_implIS3_Lb0ELb0EPsS7_N6thrust23THRUST_200600_302600_NS4plusIsEEEE10hipError_tPvRmT2_T3_mT4_P12ihipStream_tbEUlT_E_NS1_11comp_targetILNS1_3genE3ELNS1_11target_archE908ELNS1_3gpuE7ELNS1_3repE0EEENS1_30default_config_static_selectorELNS0_4arch9wavefront6targetE1EEEvT1_,"axG",@progbits,_ZN7rocprim17ROCPRIM_400000_NS6detail17trampoline_kernelINS0_14default_configENS1_35adjacent_difference_config_selectorILb0EsEEZNS1_24adjacent_difference_implIS3_Lb0ELb0EPsS7_N6thrust23THRUST_200600_302600_NS4plusIsEEEE10hipError_tPvRmT2_T3_mT4_P12ihipStream_tbEUlT_E_NS1_11comp_targetILNS1_3genE3ELNS1_11target_archE908ELNS1_3gpuE7ELNS1_3repE0EEENS1_30default_config_static_selectorELNS0_4arch9wavefront6targetE1EEEvT1_,comdat
	.protected	_ZN7rocprim17ROCPRIM_400000_NS6detail17trampoline_kernelINS0_14default_configENS1_35adjacent_difference_config_selectorILb0EsEEZNS1_24adjacent_difference_implIS3_Lb0ELb0EPsS7_N6thrust23THRUST_200600_302600_NS4plusIsEEEE10hipError_tPvRmT2_T3_mT4_P12ihipStream_tbEUlT_E_NS1_11comp_targetILNS1_3genE3ELNS1_11target_archE908ELNS1_3gpuE7ELNS1_3repE0EEENS1_30default_config_static_selectorELNS0_4arch9wavefront6targetE1EEEvT1_ ; -- Begin function _ZN7rocprim17ROCPRIM_400000_NS6detail17trampoline_kernelINS0_14default_configENS1_35adjacent_difference_config_selectorILb0EsEEZNS1_24adjacent_difference_implIS3_Lb0ELb0EPsS7_N6thrust23THRUST_200600_302600_NS4plusIsEEEE10hipError_tPvRmT2_T3_mT4_P12ihipStream_tbEUlT_E_NS1_11comp_targetILNS1_3genE3ELNS1_11target_archE908ELNS1_3gpuE7ELNS1_3repE0EEENS1_30default_config_static_selectorELNS0_4arch9wavefront6targetE1EEEvT1_
	.globl	_ZN7rocprim17ROCPRIM_400000_NS6detail17trampoline_kernelINS0_14default_configENS1_35adjacent_difference_config_selectorILb0EsEEZNS1_24adjacent_difference_implIS3_Lb0ELb0EPsS7_N6thrust23THRUST_200600_302600_NS4plusIsEEEE10hipError_tPvRmT2_T3_mT4_P12ihipStream_tbEUlT_E_NS1_11comp_targetILNS1_3genE3ELNS1_11target_archE908ELNS1_3gpuE7ELNS1_3repE0EEENS1_30default_config_static_selectorELNS0_4arch9wavefront6targetE1EEEvT1_
	.p2align	8
	.type	_ZN7rocprim17ROCPRIM_400000_NS6detail17trampoline_kernelINS0_14default_configENS1_35adjacent_difference_config_selectorILb0EsEEZNS1_24adjacent_difference_implIS3_Lb0ELb0EPsS7_N6thrust23THRUST_200600_302600_NS4plusIsEEEE10hipError_tPvRmT2_T3_mT4_P12ihipStream_tbEUlT_E_NS1_11comp_targetILNS1_3genE3ELNS1_11target_archE908ELNS1_3gpuE7ELNS1_3repE0EEENS1_30default_config_static_selectorELNS0_4arch9wavefront6targetE1EEEvT1_,@function
_ZN7rocprim17ROCPRIM_400000_NS6detail17trampoline_kernelINS0_14default_configENS1_35adjacent_difference_config_selectorILb0EsEEZNS1_24adjacent_difference_implIS3_Lb0ELb0EPsS7_N6thrust23THRUST_200600_302600_NS4plusIsEEEE10hipError_tPvRmT2_T3_mT4_P12ihipStream_tbEUlT_E_NS1_11comp_targetILNS1_3genE3ELNS1_11target_archE908ELNS1_3gpuE7ELNS1_3repE0EEENS1_30default_config_static_selectorELNS0_4arch9wavefront6targetE1EEEvT1_: ; @_ZN7rocprim17ROCPRIM_400000_NS6detail17trampoline_kernelINS0_14default_configENS1_35adjacent_difference_config_selectorILb0EsEEZNS1_24adjacent_difference_implIS3_Lb0ELb0EPsS7_N6thrust23THRUST_200600_302600_NS4plusIsEEEE10hipError_tPvRmT2_T3_mT4_P12ihipStream_tbEUlT_E_NS1_11comp_targetILNS1_3genE3ELNS1_11target_archE908ELNS1_3gpuE7ELNS1_3repE0EEENS1_30default_config_static_selectorELNS0_4arch9wavefront6targetE1EEEvT1_
; %bb.0:
	.section	.rodata,"a",@progbits
	.p2align	6, 0x0
	.amdhsa_kernel _ZN7rocprim17ROCPRIM_400000_NS6detail17trampoline_kernelINS0_14default_configENS1_35adjacent_difference_config_selectorILb0EsEEZNS1_24adjacent_difference_implIS3_Lb0ELb0EPsS7_N6thrust23THRUST_200600_302600_NS4plusIsEEEE10hipError_tPvRmT2_T3_mT4_P12ihipStream_tbEUlT_E_NS1_11comp_targetILNS1_3genE3ELNS1_11target_archE908ELNS1_3gpuE7ELNS1_3repE0EEENS1_30default_config_static_selectorELNS0_4arch9wavefront6targetE1EEEvT1_
		.amdhsa_group_segment_fixed_size 0
		.amdhsa_private_segment_fixed_size 0
		.amdhsa_kernarg_size 56
		.amdhsa_user_sgpr_count 2
		.amdhsa_user_sgpr_dispatch_ptr 0
		.amdhsa_user_sgpr_queue_ptr 0
		.amdhsa_user_sgpr_kernarg_segment_ptr 1
		.amdhsa_user_sgpr_dispatch_id 0
		.amdhsa_user_sgpr_kernarg_preload_length 0
		.amdhsa_user_sgpr_kernarg_preload_offset 0
		.amdhsa_user_sgpr_private_segment_size 0
		.amdhsa_uses_dynamic_stack 0
		.amdhsa_enable_private_segment 0
		.amdhsa_system_sgpr_workgroup_id_x 1
		.amdhsa_system_sgpr_workgroup_id_y 0
		.amdhsa_system_sgpr_workgroup_id_z 0
		.amdhsa_system_sgpr_workgroup_info 0
		.amdhsa_system_vgpr_workitem_id 0
		.amdhsa_next_free_vgpr 1
		.amdhsa_next_free_sgpr 0
		.amdhsa_accum_offset 4
		.amdhsa_reserve_vcc 0
		.amdhsa_float_round_mode_32 0
		.amdhsa_float_round_mode_16_64 0
		.amdhsa_float_denorm_mode_32 3
		.amdhsa_float_denorm_mode_16_64 3
		.amdhsa_dx10_clamp 1
		.amdhsa_ieee_mode 1
		.amdhsa_fp16_overflow 0
		.amdhsa_tg_split 0
		.amdhsa_exception_fp_ieee_invalid_op 0
		.amdhsa_exception_fp_denorm_src 0
		.amdhsa_exception_fp_ieee_div_zero 0
		.amdhsa_exception_fp_ieee_overflow 0
		.amdhsa_exception_fp_ieee_underflow 0
		.amdhsa_exception_fp_ieee_inexact 0
		.amdhsa_exception_int_div_zero 0
	.end_amdhsa_kernel
	.section	.text._ZN7rocprim17ROCPRIM_400000_NS6detail17trampoline_kernelINS0_14default_configENS1_35adjacent_difference_config_selectorILb0EsEEZNS1_24adjacent_difference_implIS3_Lb0ELb0EPsS7_N6thrust23THRUST_200600_302600_NS4plusIsEEEE10hipError_tPvRmT2_T3_mT4_P12ihipStream_tbEUlT_E_NS1_11comp_targetILNS1_3genE3ELNS1_11target_archE908ELNS1_3gpuE7ELNS1_3repE0EEENS1_30default_config_static_selectorELNS0_4arch9wavefront6targetE1EEEvT1_,"axG",@progbits,_ZN7rocprim17ROCPRIM_400000_NS6detail17trampoline_kernelINS0_14default_configENS1_35adjacent_difference_config_selectorILb0EsEEZNS1_24adjacent_difference_implIS3_Lb0ELb0EPsS7_N6thrust23THRUST_200600_302600_NS4plusIsEEEE10hipError_tPvRmT2_T3_mT4_P12ihipStream_tbEUlT_E_NS1_11comp_targetILNS1_3genE3ELNS1_11target_archE908ELNS1_3gpuE7ELNS1_3repE0EEENS1_30default_config_static_selectorELNS0_4arch9wavefront6targetE1EEEvT1_,comdat
.Lfunc_end81:
	.size	_ZN7rocprim17ROCPRIM_400000_NS6detail17trampoline_kernelINS0_14default_configENS1_35adjacent_difference_config_selectorILb0EsEEZNS1_24adjacent_difference_implIS3_Lb0ELb0EPsS7_N6thrust23THRUST_200600_302600_NS4plusIsEEEE10hipError_tPvRmT2_T3_mT4_P12ihipStream_tbEUlT_E_NS1_11comp_targetILNS1_3genE3ELNS1_11target_archE908ELNS1_3gpuE7ELNS1_3repE0EEENS1_30default_config_static_selectorELNS0_4arch9wavefront6targetE1EEEvT1_, .Lfunc_end81-_ZN7rocprim17ROCPRIM_400000_NS6detail17trampoline_kernelINS0_14default_configENS1_35adjacent_difference_config_selectorILb0EsEEZNS1_24adjacent_difference_implIS3_Lb0ELb0EPsS7_N6thrust23THRUST_200600_302600_NS4plusIsEEEE10hipError_tPvRmT2_T3_mT4_P12ihipStream_tbEUlT_E_NS1_11comp_targetILNS1_3genE3ELNS1_11target_archE908ELNS1_3gpuE7ELNS1_3repE0EEENS1_30default_config_static_selectorELNS0_4arch9wavefront6targetE1EEEvT1_
                                        ; -- End function
	.section	.AMDGPU.csdata,"",@progbits
; Kernel info:
; codeLenInByte = 0
; NumSgprs: 6
; NumVgprs: 0
; NumAgprs: 0
; TotalNumVgprs: 0
; ScratchSize: 0
; MemoryBound: 0
; FloatMode: 240
; IeeeMode: 1
; LDSByteSize: 0 bytes/workgroup (compile time only)
; SGPRBlocks: 0
; VGPRBlocks: 0
; NumSGPRsForWavesPerEU: 6
; NumVGPRsForWavesPerEU: 1
; AccumOffset: 4
; Occupancy: 8
; WaveLimiterHint : 0
; COMPUTE_PGM_RSRC2:SCRATCH_EN: 0
; COMPUTE_PGM_RSRC2:USER_SGPR: 2
; COMPUTE_PGM_RSRC2:TRAP_HANDLER: 0
; COMPUTE_PGM_RSRC2:TGID_X_EN: 1
; COMPUTE_PGM_RSRC2:TGID_Y_EN: 0
; COMPUTE_PGM_RSRC2:TGID_Z_EN: 0
; COMPUTE_PGM_RSRC2:TIDIG_COMP_CNT: 0
; COMPUTE_PGM_RSRC3_GFX90A:ACCUM_OFFSET: 0
; COMPUTE_PGM_RSRC3_GFX90A:TG_SPLIT: 0
	.section	.text._ZN7rocprim17ROCPRIM_400000_NS6detail17trampoline_kernelINS0_14default_configENS1_35adjacent_difference_config_selectorILb0EsEEZNS1_24adjacent_difference_implIS3_Lb0ELb0EPsS7_N6thrust23THRUST_200600_302600_NS4plusIsEEEE10hipError_tPvRmT2_T3_mT4_P12ihipStream_tbEUlT_E_NS1_11comp_targetILNS1_3genE2ELNS1_11target_archE906ELNS1_3gpuE6ELNS1_3repE0EEENS1_30default_config_static_selectorELNS0_4arch9wavefront6targetE1EEEvT1_,"axG",@progbits,_ZN7rocprim17ROCPRIM_400000_NS6detail17trampoline_kernelINS0_14default_configENS1_35adjacent_difference_config_selectorILb0EsEEZNS1_24adjacent_difference_implIS3_Lb0ELb0EPsS7_N6thrust23THRUST_200600_302600_NS4plusIsEEEE10hipError_tPvRmT2_T3_mT4_P12ihipStream_tbEUlT_E_NS1_11comp_targetILNS1_3genE2ELNS1_11target_archE906ELNS1_3gpuE6ELNS1_3repE0EEENS1_30default_config_static_selectorELNS0_4arch9wavefront6targetE1EEEvT1_,comdat
	.protected	_ZN7rocprim17ROCPRIM_400000_NS6detail17trampoline_kernelINS0_14default_configENS1_35adjacent_difference_config_selectorILb0EsEEZNS1_24adjacent_difference_implIS3_Lb0ELb0EPsS7_N6thrust23THRUST_200600_302600_NS4plusIsEEEE10hipError_tPvRmT2_T3_mT4_P12ihipStream_tbEUlT_E_NS1_11comp_targetILNS1_3genE2ELNS1_11target_archE906ELNS1_3gpuE6ELNS1_3repE0EEENS1_30default_config_static_selectorELNS0_4arch9wavefront6targetE1EEEvT1_ ; -- Begin function _ZN7rocprim17ROCPRIM_400000_NS6detail17trampoline_kernelINS0_14default_configENS1_35adjacent_difference_config_selectorILb0EsEEZNS1_24adjacent_difference_implIS3_Lb0ELb0EPsS7_N6thrust23THRUST_200600_302600_NS4plusIsEEEE10hipError_tPvRmT2_T3_mT4_P12ihipStream_tbEUlT_E_NS1_11comp_targetILNS1_3genE2ELNS1_11target_archE906ELNS1_3gpuE6ELNS1_3repE0EEENS1_30default_config_static_selectorELNS0_4arch9wavefront6targetE1EEEvT1_
	.globl	_ZN7rocprim17ROCPRIM_400000_NS6detail17trampoline_kernelINS0_14default_configENS1_35adjacent_difference_config_selectorILb0EsEEZNS1_24adjacent_difference_implIS3_Lb0ELb0EPsS7_N6thrust23THRUST_200600_302600_NS4plusIsEEEE10hipError_tPvRmT2_T3_mT4_P12ihipStream_tbEUlT_E_NS1_11comp_targetILNS1_3genE2ELNS1_11target_archE906ELNS1_3gpuE6ELNS1_3repE0EEENS1_30default_config_static_selectorELNS0_4arch9wavefront6targetE1EEEvT1_
	.p2align	8
	.type	_ZN7rocprim17ROCPRIM_400000_NS6detail17trampoline_kernelINS0_14default_configENS1_35adjacent_difference_config_selectorILb0EsEEZNS1_24adjacent_difference_implIS3_Lb0ELb0EPsS7_N6thrust23THRUST_200600_302600_NS4plusIsEEEE10hipError_tPvRmT2_T3_mT4_P12ihipStream_tbEUlT_E_NS1_11comp_targetILNS1_3genE2ELNS1_11target_archE906ELNS1_3gpuE6ELNS1_3repE0EEENS1_30default_config_static_selectorELNS0_4arch9wavefront6targetE1EEEvT1_,@function
_ZN7rocprim17ROCPRIM_400000_NS6detail17trampoline_kernelINS0_14default_configENS1_35adjacent_difference_config_selectorILb0EsEEZNS1_24adjacent_difference_implIS3_Lb0ELb0EPsS7_N6thrust23THRUST_200600_302600_NS4plusIsEEEE10hipError_tPvRmT2_T3_mT4_P12ihipStream_tbEUlT_E_NS1_11comp_targetILNS1_3genE2ELNS1_11target_archE906ELNS1_3gpuE6ELNS1_3repE0EEENS1_30default_config_static_selectorELNS0_4arch9wavefront6targetE1EEEvT1_: ; @_ZN7rocprim17ROCPRIM_400000_NS6detail17trampoline_kernelINS0_14default_configENS1_35adjacent_difference_config_selectorILb0EsEEZNS1_24adjacent_difference_implIS3_Lb0ELb0EPsS7_N6thrust23THRUST_200600_302600_NS4plusIsEEEE10hipError_tPvRmT2_T3_mT4_P12ihipStream_tbEUlT_E_NS1_11comp_targetILNS1_3genE2ELNS1_11target_archE906ELNS1_3gpuE6ELNS1_3repE0EEENS1_30default_config_static_selectorELNS0_4arch9wavefront6targetE1EEEvT1_
; %bb.0:
	.section	.rodata,"a",@progbits
	.p2align	6, 0x0
	.amdhsa_kernel _ZN7rocprim17ROCPRIM_400000_NS6detail17trampoline_kernelINS0_14default_configENS1_35adjacent_difference_config_selectorILb0EsEEZNS1_24adjacent_difference_implIS3_Lb0ELb0EPsS7_N6thrust23THRUST_200600_302600_NS4plusIsEEEE10hipError_tPvRmT2_T3_mT4_P12ihipStream_tbEUlT_E_NS1_11comp_targetILNS1_3genE2ELNS1_11target_archE906ELNS1_3gpuE6ELNS1_3repE0EEENS1_30default_config_static_selectorELNS0_4arch9wavefront6targetE1EEEvT1_
		.amdhsa_group_segment_fixed_size 0
		.amdhsa_private_segment_fixed_size 0
		.amdhsa_kernarg_size 56
		.amdhsa_user_sgpr_count 2
		.amdhsa_user_sgpr_dispatch_ptr 0
		.amdhsa_user_sgpr_queue_ptr 0
		.amdhsa_user_sgpr_kernarg_segment_ptr 1
		.amdhsa_user_sgpr_dispatch_id 0
		.amdhsa_user_sgpr_kernarg_preload_length 0
		.amdhsa_user_sgpr_kernarg_preload_offset 0
		.amdhsa_user_sgpr_private_segment_size 0
		.amdhsa_uses_dynamic_stack 0
		.amdhsa_enable_private_segment 0
		.amdhsa_system_sgpr_workgroup_id_x 1
		.amdhsa_system_sgpr_workgroup_id_y 0
		.amdhsa_system_sgpr_workgroup_id_z 0
		.amdhsa_system_sgpr_workgroup_info 0
		.amdhsa_system_vgpr_workitem_id 0
		.amdhsa_next_free_vgpr 1
		.amdhsa_next_free_sgpr 0
		.amdhsa_accum_offset 4
		.amdhsa_reserve_vcc 0
		.amdhsa_float_round_mode_32 0
		.amdhsa_float_round_mode_16_64 0
		.amdhsa_float_denorm_mode_32 3
		.amdhsa_float_denorm_mode_16_64 3
		.amdhsa_dx10_clamp 1
		.amdhsa_ieee_mode 1
		.amdhsa_fp16_overflow 0
		.amdhsa_tg_split 0
		.amdhsa_exception_fp_ieee_invalid_op 0
		.amdhsa_exception_fp_denorm_src 0
		.amdhsa_exception_fp_ieee_div_zero 0
		.amdhsa_exception_fp_ieee_overflow 0
		.amdhsa_exception_fp_ieee_underflow 0
		.amdhsa_exception_fp_ieee_inexact 0
		.amdhsa_exception_int_div_zero 0
	.end_amdhsa_kernel
	.section	.text._ZN7rocprim17ROCPRIM_400000_NS6detail17trampoline_kernelINS0_14default_configENS1_35adjacent_difference_config_selectorILb0EsEEZNS1_24adjacent_difference_implIS3_Lb0ELb0EPsS7_N6thrust23THRUST_200600_302600_NS4plusIsEEEE10hipError_tPvRmT2_T3_mT4_P12ihipStream_tbEUlT_E_NS1_11comp_targetILNS1_3genE2ELNS1_11target_archE906ELNS1_3gpuE6ELNS1_3repE0EEENS1_30default_config_static_selectorELNS0_4arch9wavefront6targetE1EEEvT1_,"axG",@progbits,_ZN7rocprim17ROCPRIM_400000_NS6detail17trampoline_kernelINS0_14default_configENS1_35adjacent_difference_config_selectorILb0EsEEZNS1_24adjacent_difference_implIS3_Lb0ELb0EPsS7_N6thrust23THRUST_200600_302600_NS4plusIsEEEE10hipError_tPvRmT2_T3_mT4_P12ihipStream_tbEUlT_E_NS1_11comp_targetILNS1_3genE2ELNS1_11target_archE906ELNS1_3gpuE6ELNS1_3repE0EEENS1_30default_config_static_selectorELNS0_4arch9wavefront6targetE1EEEvT1_,comdat
.Lfunc_end82:
	.size	_ZN7rocprim17ROCPRIM_400000_NS6detail17trampoline_kernelINS0_14default_configENS1_35adjacent_difference_config_selectorILb0EsEEZNS1_24adjacent_difference_implIS3_Lb0ELb0EPsS7_N6thrust23THRUST_200600_302600_NS4plusIsEEEE10hipError_tPvRmT2_T3_mT4_P12ihipStream_tbEUlT_E_NS1_11comp_targetILNS1_3genE2ELNS1_11target_archE906ELNS1_3gpuE6ELNS1_3repE0EEENS1_30default_config_static_selectorELNS0_4arch9wavefront6targetE1EEEvT1_, .Lfunc_end82-_ZN7rocprim17ROCPRIM_400000_NS6detail17trampoline_kernelINS0_14default_configENS1_35adjacent_difference_config_selectorILb0EsEEZNS1_24adjacent_difference_implIS3_Lb0ELb0EPsS7_N6thrust23THRUST_200600_302600_NS4plusIsEEEE10hipError_tPvRmT2_T3_mT4_P12ihipStream_tbEUlT_E_NS1_11comp_targetILNS1_3genE2ELNS1_11target_archE906ELNS1_3gpuE6ELNS1_3repE0EEENS1_30default_config_static_selectorELNS0_4arch9wavefront6targetE1EEEvT1_
                                        ; -- End function
	.section	.AMDGPU.csdata,"",@progbits
; Kernel info:
; codeLenInByte = 0
; NumSgprs: 6
; NumVgprs: 0
; NumAgprs: 0
; TotalNumVgprs: 0
; ScratchSize: 0
; MemoryBound: 0
; FloatMode: 240
; IeeeMode: 1
; LDSByteSize: 0 bytes/workgroup (compile time only)
; SGPRBlocks: 0
; VGPRBlocks: 0
; NumSGPRsForWavesPerEU: 6
; NumVGPRsForWavesPerEU: 1
; AccumOffset: 4
; Occupancy: 8
; WaveLimiterHint : 0
; COMPUTE_PGM_RSRC2:SCRATCH_EN: 0
; COMPUTE_PGM_RSRC2:USER_SGPR: 2
; COMPUTE_PGM_RSRC2:TRAP_HANDLER: 0
; COMPUTE_PGM_RSRC2:TGID_X_EN: 1
; COMPUTE_PGM_RSRC2:TGID_Y_EN: 0
; COMPUTE_PGM_RSRC2:TGID_Z_EN: 0
; COMPUTE_PGM_RSRC2:TIDIG_COMP_CNT: 0
; COMPUTE_PGM_RSRC3_GFX90A:ACCUM_OFFSET: 0
; COMPUTE_PGM_RSRC3_GFX90A:TG_SPLIT: 0
	.section	.text._ZN7rocprim17ROCPRIM_400000_NS6detail17trampoline_kernelINS0_14default_configENS1_35adjacent_difference_config_selectorILb0EsEEZNS1_24adjacent_difference_implIS3_Lb0ELb0EPsS7_N6thrust23THRUST_200600_302600_NS4plusIsEEEE10hipError_tPvRmT2_T3_mT4_P12ihipStream_tbEUlT_E_NS1_11comp_targetILNS1_3genE9ELNS1_11target_archE1100ELNS1_3gpuE3ELNS1_3repE0EEENS1_30default_config_static_selectorELNS0_4arch9wavefront6targetE1EEEvT1_,"axG",@progbits,_ZN7rocprim17ROCPRIM_400000_NS6detail17trampoline_kernelINS0_14default_configENS1_35adjacent_difference_config_selectorILb0EsEEZNS1_24adjacent_difference_implIS3_Lb0ELb0EPsS7_N6thrust23THRUST_200600_302600_NS4plusIsEEEE10hipError_tPvRmT2_T3_mT4_P12ihipStream_tbEUlT_E_NS1_11comp_targetILNS1_3genE9ELNS1_11target_archE1100ELNS1_3gpuE3ELNS1_3repE0EEENS1_30default_config_static_selectorELNS0_4arch9wavefront6targetE1EEEvT1_,comdat
	.protected	_ZN7rocprim17ROCPRIM_400000_NS6detail17trampoline_kernelINS0_14default_configENS1_35adjacent_difference_config_selectorILb0EsEEZNS1_24adjacent_difference_implIS3_Lb0ELb0EPsS7_N6thrust23THRUST_200600_302600_NS4plusIsEEEE10hipError_tPvRmT2_T3_mT4_P12ihipStream_tbEUlT_E_NS1_11comp_targetILNS1_3genE9ELNS1_11target_archE1100ELNS1_3gpuE3ELNS1_3repE0EEENS1_30default_config_static_selectorELNS0_4arch9wavefront6targetE1EEEvT1_ ; -- Begin function _ZN7rocprim17ROCPRIM_400000_NS6detail17trampoline_kernelINS0_14default_configENS1_35adjacent_difference_config_selectorILb0EsEEZNS1_24adjacent_difference_implIS3_Lb0ELb0EPsS7_N6thrust23THRUST_200600_302600_NS4plusIsEEEE10hipError_tPvRmT2_T3_mT4_P12ihipStream_tbEUlT_E_NS1_11comp_targetILNS1_3genE9ELNS1_11target_archE1100ELNS1_3gpuE3ELNS1_3repE0EEENS1_30default_config_static_selectorELNS0_4arch9wavefront6targetE1EEEvT1_
	.globl	_ZN7rocprim17ROCPRIM_400000_NS6detail17trampoline_kernelINS0_14default_configENS1_35adjacent_difference_config_selectorILb0EsEEZNS1_24adjacent_difference_implIS3_Lb0ELb0EPsS7_N6thrust23THRUST_200600_302600_NS4plusIsEEEE10hipError_tPvRmT2_T3_mT4_P12ihipStream_tbEUlT_E_NS1_11comp_targetILNS1_3genE9ELNS1_11target_archE1100ELNS1_3gpuE3ELNS1_3repE0EEENS1_30default_config_static_selectorELNS0_4arch9wavefront6targetE1EEEvT1_
	.p2align	8
	.type	_ZN7rocprim17ROCPRIM_400000_NS6detail17trampoline_kernelINS0_14default_configENS1_35adjacent_difference_config_selectorILb0EsEEZNS1_24adjacent_difference_implIS3_Lb0ELb0EPsS7_N6thrust23THRUST_200600_302600_NS4plusIsEEEE10hipError_tPvRmT2_T3_mT4_P12ihipStream_tbEUlT_E_NS1_11comp_targetILNS1_3genE9ELNS1_11target_archE1100ELNS1_3gpuE3ELNS1_3repE0EEENS1_30default_config_static_selectorELNS0_4arch9wavefront6targetE1EEEvT1_,@function
_ZN7rocprim17ROCPRIM_400000_NS6detail17trampoline_kernelINS0_14default_configENS1_35adjacent_difference_config_selectorILb0EsEEZNS1_24adjacent_difference_implIS3_Lb0ELb0EPsS7_N6thrust23THRUST_200600_302600_NS4plusIsEEEE10hipError_tPvRmT2_T3_mT4_P12ihipStream_tbEUlT_E_NS1_11comp_targetILNS1_3genE9ELNS1_11target_archE1100ELNS1_3gpuE3ELNS1_3repE0EEENS1_30default_config_static_selectorELNS0_4arch9wavefront6targetE1EEEvT1_: ; @_ZN7rocprim17ROCPRIM_400000_NS6detail17trampoline_kernelINS0_14default_configENS1_35adjacent_difference_config_selectorILb0EsEEZNS1_24adjacent_difference_implIS3_Lb0ELb0EPsS7_N6thrust23THRUST_200600_302600_NS4plusIsEEEE10hipError_tPvRmT2_T3_mT4_P12ihipStream_tbEUlT_E_NS1_11comp_targetILNS1_3genE9ELNS1_11target_archE1100ELNS1_3gpuE3ELNS1_3repE0EEENS1_30default_config_static_selectorELNS0_4arch9wavefront6targetE1EEEvT1_
; %bb.0:
	.section	.rodata,"a",@progbits
	.p2align	6, 0x0
	.amdhsa_kernel _ZN7rocprim17ROCPRIM_400000_NS6detail17trampoline_kernelINS0_14default_configENS1_35adjacent_difference_config_selectorILb0EsEEZNS1_24adjacent_difference_implIS3_Lb0ELb0EPsS7_N6thrust23THRUST_200600_302600_NS4plusIsEEEE10hipError_tPvRmT2_T3_mT4_P12ihipStream_tbEUlT_E_NS1_11comp_targetILNS1_3genE9ELNS1_11target_archE1100ELNS1_3gpuE3ELNS1_3repE0EEENS1_30default_config_static_selectorELNS0_4arch9wavefront6targetE1EEEvT1_
		.amdhsa_group_segment_fixed_size 0
		.amdhsa_private_segment_fixed_size 0
		.amdhsa_kernarg_size 56
		.amdhsa_user_sgpr_count 2
		.amdhsa_user_sgpr_dispatch_ptr 0
		.amdhsa_user_sgpr_queue_ptr 0
		.amdhsa_user_sgpr_kernarg_segment_ptr 1
		.amdhsa_user_sgpr_dispatch_id 0
		.amdhsa_user_sgpr_kernarg_preload_length 0
		.amdhsa_user_sgpr_kernarg_preload_offset 0
		.amdhsa_user_sgpr_private_segment_size 0
		.amdhsa_uses_dynamic_stack 0
		.amdhsa_enable_private_segment 0
		.amdhsa_system_sgpr_workgroup_id_x 1
		.amdhsa_system_sgpr_workgroup_id_y 0
		.amdhsa_system_sgpr_workgroup_id_z 0
		.amdhsa_system_sgpr_workgroup_info 0
		.amdhsa_system_vgpr_workitem_id 0
		.amdhsa_next_free_vgpr 1
		.amdhsa_next_free_sgpr 0
		.amdhsa_accum_offset 4
		.amdhsa_reserve_vcc 0
		.amdhsa_float_round_mode_32 0
		.amdhsa_float_round_mode_16_64 0
		.amdhsa_float_denorm_mode_32 3
		.amdhsa_float_denorm_mode_16_64 3
		.amdhsa_dx10_clamp 1
		.amdhsa_ieee_mode 1
		.amdhsa_fp16_overflow 0
		.amdhsa_tg_split 0
		.amdhsa_exception_fp_ieee_invalid_op 0
		.amdhsa_exception_fp_denorm_src 0
		.amdhsa_exception_fp_ieee_div_zero 0
		.amdhsa_exception_fp_ieee_overflow 0
		.amdhsa_exception_fp_ieee_underflow 0
		.amdhsa_exception_fp_ieee_inexact 0
		.amdhsa_exception_int_div_zero 0
	.end_amdhsa_kernel
	.section	.text._ZN7rocprim17ROCPRIM_400000_NS6detail17trampoline_kernelINS0_14default_configENS1_35adjacent_difference_config_selectorILb0EsEEZNS1_24adjacent_difference_implIS3_Lb0ELb0EPsS7_N6thrust23THRUST_200600_302600_NS4plusIsEEEE10hipError_tPvRmT2_T3_mT4_P12ihipStream_tbEUlT_E_NS1_11comp_targetILNS1_3genE9ELNS1_11target_archE1100ELNS1_3gpuE3ELNS1_3repE0EEENS1_30default_config_static_selectorELNS0_4arch9wavefront6targetE1EEEvT1_,"axG",@progbits,_ZN7rocprim17ROCPRIM_400000_NS6detail17trampoline_kernelINS0_14default_configENS1_35adjacent_difference_config_selectorILb0EsEEZNS1_24adjacent_difference_implIS3_Lb0ELb0EPsS7_N6thrust23THRUST_200600_302600_NS4plusIsEEEE10hipError_tPvRmT2_T3_mT4_P12ihipStream_tbEUlT_E_NS1_11comp_targetILNS1_3genE9ELNS1_11target_archE1100ELNS1_3gpuE3ELNS1_3repE0EEENS1_30default_config_static_selectorELNS0_4arch9wavefront6targetE1EEEvT1_,comdat
.Lfunc_end83:
	.size	_ZN7rocprim17ROCPRIM_400000_NS6detail17trampoline_kernelINS0_14default_configENS1_35adjacent_difference_config_selectorILb0EsEEZNS1_24adjacent_difference_implIS3_Lb0ELb0EPsS7_N6thrust23THRUST_200600_302600_NS4plusIsEEEE10hipError_tPvRmT2_T3_mT4_P12ihipStream_tbEUlT_E_NS1_11comp_targetILNS1_3genE9ELNS1_11target_archE1100ELNS1_3gpuE3ELNS1_3repE0EEENS1_30default_config_static_selectorELNS0_4arch9wavefront6targetE1EEEvT1_, .Lfunc_end83-_ZN7rocprim17ROCPRIM_400000_NS6detail17trampoline_kernelINS0_14default_configENS1_35adjacent_difference_config_selectorILb0EsEEZNS1_24adjacent_difference_implIS3_Lb0ELb0EPsS7_N6thrust23THRUST_200600_302600_NS4plusIsEEEE10hipError_tPvRmT2_T3_mT4_P12ihipStream_tbEUlT_E_NS1_11comp_targetILNS1_3genE9ELNS1_11target_archE1100ELNS1_3gpuE3ELNS1_3repE0EEENS1_30default_config_static_selectorELNS0_4arch9wavefront6targetE1EEEvT1_
                                        ; -- End function
	.section	.AMDGPU.csdata,"",@progbits
; Kernel info:
; codeLenInByte = 0
; NumSgprs: 6
; NumVgprs: 0
; NumAgprs: 0
; TotalNumVgprs: 0
; ScratchSize: 0
; MemoryBound: 0
; FloatMode: 240
; IeeeMode: 1
; LDSByteSize: 0 bytes/workgroup (compile time only)
; SGPRBlocks: 0
; VGPRBlocks: 0
; NumSGPRsForWavesPerEU: 6
; NumVGPRsForWavesPerEU: 1
; AccumOffset: 4
; Occupancy: 8
; WaveLimiterHint : 0
; COMPUTE_PGM_RSRC2:SCRATCH_EN: 0
; COMPUTE_PGM_RSRC2:USER_SGPR: 2
; COMPUTE_PGM_RSRC2:TRAP_HANDLER: 0
; COMPUTE_PGM_RSRC2:TGID_X_EN: 1
; COMPUTE_PGM_RSRC2:TGID_Y_EN: 0
; COMPUTE_PGM_RSRC2:TGID_Z_EN: 0
; COMPUTE_PGM_RSRC2:TIDIG_COMP_CNT: 0
; COMPUTE_PGM_RSRC3_GFX90A:ACCUM_OFFSET: 0
; COMPUTE_PGM_RSRC3_GFX90A:TG_SPLIT: 0
	.section	.text._ZN7rocprim17ROCPRIM_400000_NS6detail17trampoline_kernelINS0_14default_configENS1_35adjacent_difference_config_selectorILb0EsEEZNS1_24adjacent_difference_implIS3_Lb0ELb0EPsS7_N6thrust23THRUST_200600_302600_NS4plusIsEEEE10hipError_tPvRmT2_T3_mT4_P12ihipStream_tbEUlT_E_NS1_11comp_targetILNS1_3genE8ELNS1_11target_archE1030ELNS1_3gpuE2ELNS1_3repE0EEENS1_30default_config_static_selectorELNS0_4arch9wavefront6targetE1EEEvT1_,"axG",@progbits,_ZN7rocprim17ROCPRIM_400000_NS6detail17trampoline_kernelINS0_14default_configENS1_35adjacent_difference_config_selectorILb0EsEEZNS1_24adjacent_difference_implIS3_Lb0ELb0EPsS7_N6thrust23THRUST_200600_302600_NS4plusIsEEEE10hipError_tPvRmT2_T3_mT4_P12ihipStream_tbEUlT_E_NS1_11comp_targetILNS1_3genE8ELNS1_11target_archE1030ELNS1_3gpuE2ELNS1_3repE0EEENS1_30default_config_static_selectorELNS0_4arch9wavefront6targetE1EEEvT1_,comdat
	.protected	_ZN7rocprim17ROCPRIM_400000_NS6detail17trampoline_kernelINS0_14default_configENS1_35adjacent_difference_config_selectorILb0EsEEZNS1_24adjacent_difference_implIS3_Lb0ELb0EPsS7_N6thrust23THRUST_200600_302600_NS4plusIsEEEE10hipError_tPvRmT2_T3_mT4_P12ihipStream_tbEUlT_E_NS1_11comp_targetILNS1_3genE8ELNS1_11target_archE1030ELNS1_3gpuE2ELNS1_3repE0EEENS1_30default_config_static_selectorELNS0_4arch9wavefront6targetE1EEEvT1_ ; -- Begin function _ZN7rocprim17ROCPRIM_400000_NS6detail17trampoline_kernelINS0_14default_configENS1_35adjacent_difference_config_selectorILb0EsEEZNS1_24adjacent_difference_implIS3_Lb0ELb0EPsS7_N6thrust23THRUST_200600_302600_NS4plusIsEEEE10hipError_tPvRmT2_T3_mT4_P12ihipStream_tbEUlT_E_NS1_11comp_targetILNS1_3genE8ELNS1_11target_archE1030ELNS1_3gpuE2ELNS1_3repE0EEENS1_30default_config_static_selectorELNS0_4arch9wavefront6targetE1EEEvT1_
	.globl	_ZN7rocprim17ROCPRIM_400000_NS6detail17trampoline_kernelINS0_14default_configENS1_35adjacent_difference_config_selectorILb0EsEEZNS1_24adjacent_difference_implIS3_Lb0ELb0EPsS7_N6thrust23THRUST_200600_302600_NS4plusIsEEEE10hipError_tPvRmT2_T3_mT4_P12ihipStream_tbEUlT_E_NS1_11comp_targetILNS1_3genE8ELNS1_11target_archE1030ELNS1_3gpuE2ELNS1_3repE0EEENS1_30default_config_static_selectorELNS0_4arch9wavefront6targetE1EEEvT1_
	.p2align	8
	.type	_ZN7rocprim17ROCPRIM_400000_NS6detail17trampoline_kernelINS0_14default_configENS1_35adjacent_difference_config_selectorILb0EsEEZNS1_24adjacent_difference_implIS3_Lb0ELb0EPsS7_N6thrust23THRUST_200600_302600_NS4plusIsEEEE10hipError_tPvRmT2_T3_mT4_P12ihipStream_tbEUlT_E_NS1_11comp_targetILNS1_3genE8ELNS1_11target_archE1030ELNS1_3gpuE2ELNS1_3repE0EEENS1_30default_config_static_selectorELNS0_4arch9wavefront6targetE1EEEvT1_,@function
_ZN7rocprim17ROCPRIM_400000_NS6detail17trampoline_kernelINS0_14default_configENS1_35adjacent_difference_config_selectorILb0EsEEZNS1_24adjacent_difference_implIS3_Lb0ELb0EPsS7_N6thrust23THRUST_200600_302600_NS4plusIsEEEE10hipError_tPvRmT2_T3_mT4_P12ihipStream_tbEUlT_E_NS1_11comp_targetILNS1_3genE8ELNS1_11target_archE1030ELNS1_3gpuE2ELNS1_3repE0EEENS1_30default_config_static_selectorELNS0_4arch9wavefront6targetE1EEEvT1_: ; @_ZN7rocprim17ROCPRIM_400000_NS6detail17trampoline_kernelINS0_14default_configENS1_35adjacent_difference_config_selectorILb0EsEEZNS1_24adjacent_difference_implIS3_Lb0ELb0EPsS7_N6thrust23THRUST_200600_302600_NS4plusIsEEEE10hipError_tPvRmT2_T3_mT4_P12ihipStream_tbEUlT_E_NS1_11comp_targetILNS1_3genE8ELNS1_11target_archE1030ELNS1_3gpuE2ELNS1_3repE0EEENS1_30default_config_static_selectorELNS0_4arch9wavefront6targetE1EEEvT1_
; %bb.0:
	.section	.rodata,"a",@progbits
	.p2align	6, 0x0
	.amdhsa_kernel _ZN7rocprim17ROCPRIM_400000_NS6detail17trampoline_kernelINS0_14default_configENS1_35adjacent_difference_config_selectorILb0EsEEZNS1_24adjacent_difference_implIS3_Lb0ELb0EPsS7_N6thrust23THRUST_200600_302600_NS4plusIsEEEE10hipError_tPvRmT2_T3_mT4_P12ihipStream_tbEUlT_E_NS1_11comp_targetILNS1_3genE8ELNS1_11target_archE1030ELNS1_3gpuE2ELNS1_3repE0EEENS1_30default_config_static_selectorELNS0_4arch9wavefront6targetE1EEEvT1_
		.amdhsa_group_segment_fixed_size 0
		.amdhsa_private_segment_fixed_size 0
		.amdhsa_kernarg_size 56
		.amdhsa_user_sgpr_count 2
		.amdhsa_user_sgpr_dispatch_ptr 0
		.amdhsa_user_sgpr_queue_ptr 0
		.amdhsa_user_sgpr_kernarg_segment_ptr 1
		.amdhsa_user_sgpr_dispatch_id 0
		.amdhsa_user_sgpr_kernarg_preload_length 0
		.amdhsa_user_sgpr_kernarg_preload_offset 0
		.amdhsa_user_sgpr_private_segment_size 0
		.amdhsa_uses_dynamic_stack 0
		.amdhsa_enable_private_segment 0
		.amdhsa_system_sgpr_workgroup_id_x 1
		.amdhsa_system_sgpr_workgroup_id_y 0
		.amdhsa_system_sgpr_workgroup_id_z 0
		.amdhsa_system_sgpr_workgroup_info 0
		.amdhsa_system_vgpr_workitem_id 0
		.amdhsa_next_free_vgpr 1
		.amdhsa_next_free_sgpr 0
		.amdhsa_accum_offset 4
		.amdhsa_reserve_vcc 0
		.amdhsa_float_round_mode_32 0
		.amdhsa_float_round_mode_16_64 0
		.amdhsa_float_denorm_mode_32 3
		.amdhsa_float_denorm_mode_16_64 3
		.amdhsa_dx10_clamp 1
		.amdhsa_ieee_mode 1
		.amdhsa_fp16_overflow 0
		.amdhsa_tg_split 0
		.amdhsa_exception_fp_ieee_invalid_op 0
		.amdhsa_exception_fp_denorm_src 0
		.amdhsa_exception_fp_ieee_div_zero 0
		.amdhsa_exception_fp_ieee_overflow 0
		.amdhsa_exception_fp_ieee_underflow 0
		.amdhsa_exception_fp_ieee_inexact 0
		.amdhsa_exception_int_div_zero 0
	.end_amdhsa_kernel
	.section	.text._ZN7rocprim17ROCPRIM_400000_NS6detail17trampoline_kernelINS0_14default_configENS1_35adjacent_difference_config_selectorILb0EsEEZNS1_24adjacent_difference_implIS3_Lb0ELb0EPsS7_N6thrust23THRUST_200600_302600_NS4plusIsEEEE10hipError_tPvRmT2_T3_mT4_P12ihipStream_tbEUlT_E_NS1_11comp_targetILNS1_3genE8ELNS1_11target_archE1030ELNS1_3gpuE2ELNS1_3repE0EEENS1_30default_config_static_selectorELNS0_4arch9wavefront6targetE1EEEvT1_,"axG",@progbits,_ZN7rocprim17ROCPRIM_400000_NS6detail17trampoline_kernelINS0_14default_configENS1_35adjacent_difference_config_selectorILb0EsEEZNS1_24adjacent_difference_implIS3_Lb0ELb0EPsS7_N6thrust23THRUST_200600_302600_NS4plusIsEEEE10hipError_tPvRmT2_T3_mT4_P12ihipStream_tbEUlT_E_NS1_11comp_targetILNS1_3genE8ELNS1_11target_archE1030ELNS1_3gpuE2ELNS1_3repE0EEENS1_30default_config_static_selectorELNS0_4arch9wavefront6targetE1EEEvT1_,comdat
.Lfunc_end84:
	.size	_ZN7rocprim17ROCPRIM_400000_NS6detail17trampoline_kernelINS0_14default_configENS1_35adjacent_difference_config_selectorILb0EsEEZNS1_24adjacent_difference_implIS3_Lb0ELb0EPsS7_N6thrust23THRUST_200600_302600_NS4plusIsEEEE10hipError_tPvRmT2_T3_mT4_P12ihipStream_tbEUlT_E_NS1_11comp_targetILNS1_3genE8ELNS1_11target_archE1030ELNS1_3gpuE2ELNS1_3repE0EEENS1_30default_config_static_selectorELNS0_4arch9wavefront6targetE1EEEvT1_, .Lfunc_end84-_ZN7rocprim17ROCPRIM_400000_NS6detail17trampoline_kernelINS0_14default_configENS1_35adjacent_difference_config_selectorILb0EsEEZNS1_24adjacent_difference_implIS3_Lb0ELb0EPsS7_N6thrust23THRUST_200600_302600_NS4plusIsEEEE10hipError_tPvRmT2_T3_mT4_P12ihipStream_tbEUlT_E_NS1_11comp_targetILNS1_3genE8ELNS1_11target_archE1030ELNS1_3gpuE2ELNS1_3repE0EEENS1_30default_config_static_selectorELNS0_4arch9wavefront6targetE1EEEvT1_
                                        ; -- End function
	.section	.AMDGPU.csdata,"",@progbits
; Kernel info:
; codeLenInByte = 0
; NumSgprs: 6
; NumVgprs: 0
; NumAgprs: 0
; TotalNumVgprs: 0
; ScratchSize: 0
; MemoryBound: 0
; FloatMode: 240
; IeeeMode: 1
; LDSByteSize: 0 bytes/workgroup (compile time only)
; SGPRBlocks: 0
; VGPRBlocks: 0
; NumSGPRsForWavesPerEU: 6
; NumVGPRsForWavesPerEU: 1
; AccumOffset: 4
; Occupancy: 8
; WaveLimiterHint : 0
; COMPUTE_PGM_RSRC2:SCRATCH_EN: 0
; COMPUTE_PGM_RSRC2:USER_SGPR: 2
; COMPUTE_PGM_RSRC2:TRAP_HANDLER: 0
; COMPUTE_PGM_RSRC2:TGID_X_EN: 1
; COMPUTE_PGM_RSRC2:TGID_Y_EN: 0
; COMPUTE_PGM_RSRC2:TGID_Z_EN: 0
; COMPUTE_PGM_RSRC2:TIDIG_COMP_CNT: 0
; COMPUTE_PGM_RSRC3_GFX90A:ACCUM_OFFSET: 0
; COMPUTE_PGM_RSRC3_GFX90A:TG_SPLIT: 0
	.section	.text._ZN7rocprim17ROCPRIM_400000_NS6detail17trampoline_kernelINS0_14default_configENS1_25transform_config_selectorIsLb0EEEZNS1_14transform_implILb0ES3_S5_NS0_18transform_iteratorINS0_17counting_iteratorImlEEZNS1_24adjacent_difference_implIS3_Lb1ELb0EPsSB_N6thrust23THRUST_200600_302600_NS4plusIsEEEE10hipError_tPvRmT2_T3_mT4_P12ihipStream_tbEUlmE_sEESB_NS0_8identityIvEEEESG_SJ_SK_mSL_SN_bEUlT_E_NS1_11comp_targetILNS1_3genE0ELNS1_11target_archE4294967295ELNS1_3gpuE0ELNS1_3repE0EEENS1_30default_config_static_selectorELNS0_4arch9wavefront6targetE1EEEvT1_,"axG",@progbits,_ZN7rocprim17ROCPRIM_400000_NS6detail17trampoline_kernelINS0_14default_configENS1_25transform_config_selectorIsLb0EEEZNS1_14transform_implILb0ES3_S5_NS0_18transform_iteratorINS0_17counting_iteratorImlEEZNS1_24adjacent_difference_implIS3_Lb1ELb0EPsSB_N6thrust23THRUST_200600_302600_NS4plusIsEEEE10hipError_tPvRmT2_T3_mT4_P12ihipStream_tbEUlmE_sEESB_NS0_8identityIvEEEESG_SJ_SK_mSL_SN_bEUlT_E_NS1_11comp_targetILNS1_3genE0ELNS1_11target_archE4294967295ELNS1_3gpuE0ELNS1_3repE0EEENS1_30default_config_static_selectorELNS0_4arch9wavefront6targetE1EEEvT1_,comdat
	.protected	_ZN7rocprim17ROCPRIM_400000_NS6detail17trampoline_kernelINS0_14default_configENS1_25transform_config_selectorIsLb0EEEZNS1_14transform_implILb0ES3_S5_NS0_18transform_iteratorINS0_17counting_iteratorImlEEZNS1_24adjacent_difference_implIS3_Lb1ELb0EPsSB_N6thrust23THRUST_200600_302600_NS4plusIsEEEE10hipError_tPvRmT2_T3_mT4_P12ihipStream_tbEUlmE_sEESB_NS0_8identityIvEEEESG_SJ_SK_mSL_SN_bEUlT_E_NS1_11comp_targetILNS1_3genE0ELNS1_11target_archE4294967295ELNS1_3gpuE0ELNS1_3repE0EEENS1_30default_config_static_selectorELNS0_4arch9wavefront6targetE1EEEvT1_ ; -- Begin function _ZN7rocprim17ROCPRIM_400000_NS6detail17trampoline_kernelINS0_14default_configENS1_25transform_config_selectorIsLb0EEEZNS1_14transform_implILb0ES3_S5_NS0_18transform_iteratorINS0_17counting_iteratorImlEEZNS1_24adjacent_difference_implIS3_Lb1ELb0EPsSB_N6thrust23THRUST_200600_302600_NS4plusIsEEEE10hipError_tPvRmT2_T3_mT4_P12ihipStream_tbEUlmE_sEESB_NS0_8identityIvEEEESG_SJ_SK_mSL_SN_bEUlT_E_NS1_11comp_targetILNS1_3genE0ELNS1_11target_archE4294967295ELNS1_3gpuE0ELNS1_3repE0EEENS1_30default_config_static_selectorELNS0_4arch9wavefront6targetE1EEEvT1_
	.globl	_ZN7rocprim17ROCPRIM_400000_NS6detail17trampoline_kernelINS0_14default_configENS1_25transform_config_selectorIsLb0EEEZNS1_14transform_implILb0ES3_S5_NS0_18transform_iteratorINS0_17counting_iteratorImlEEZNS1_24adjacent_difference_implIS3_Lb1ELb0EPsSB_N6thrust23THRUST_200600_302600_NS4plusIsEEEE10hipError_tPvRmT2_T3_mT4_P12ihipStream_tbEUlmE_sEESB_NS0_8identityIvEEEESG_SJ_SK_mSL_SN_bEUlT_E_NS1_11comp_targetILNS1_3genE0ELNS1_11target_archE4294967295ELNS1_3gpuE0ELNS1_3repE0EEENS1_30default_config_static_selectorELNS0_4arch9wavefront6targetE1EEEvT1_
	.p2align	8
	.type	_ZN7rocprim17ROCPRIM_400000_NS6detail17trampoline_kernelINS0_14default_configENS1_25transform_config_selectorIsLb0EEEZNS1_14transform_implILb0ES3_S5_NS0_18transform_iteratorINS0_17counting_iteratorImlEEZNS1_24adjacent_difference_implIS3_Lb1ELb0EPsSB_N6thrust23THRUST_200600_302600_NS4plusIsEEEE10hipError_tPvRmT2_T3_mT4_P12ihipStream_tbEUlmE_sEESB_NS0_8identityIvEEEESG_SJ_SK_mSL_SN_bEUlT_E_NS1_11comp_targetILNS1_3genE0ELNS1_11target_archE4294967295ELNS1_3gpuE0ELNS1_3repE0EEENS1_30default_config_static_selectorELNS0_4arch9wavefront6targetE1EEEvT1_,@function
_ZN7rocprim17ROCPRIM_400000_NS6detail17trampoline_kernelINS0_14default_configENS1_25transform_config_selectorIsLb0EEEZNS1_14transform_implILb0ES3_S5_NS0_18transform_iteratorINS0_17counting_iteratorImlEEZNS1_24adjacent_difference_implIS3_Lb1ELb0EPsSB_N6thrust23THRUST_200600_302600_NS4plusIsEEEE10hipError_tPvRmT2_T3_mT4_P12ihipStream_tbEUlmE_sEESB_NS0_8identityIvEEEESG_SJ_SK_mSL_SN_bEUlT_E_NS1_11comp_targetILNS1_3genE0ELNS1_11target_archE4294967295ELNS1_3gpuE0ELNS1_3repE0EEENS1_30default_config_static_selectorELNS0_4arch9wavefront6targetE1EEEvT1_: ; @_ZN7rocprim17ROCPRIM_400000_NS6detail17trampoline_kernelINS0_14default_configENS1_25transform_config_selectorIsLb0EEEZNS1_14transform_implILb0ES3_S5_NS0_18transform_iteratorINS0_17counting_iteratorImlEEZNS1_24adjacent_difference_implIS3_Lb1ELb0EPsSB_N6thrust23THRUST_200600_302600_NS4plusIsEEEE10hipError_tPvRmT2_T3_mT4_P12ihipStream_tbEUlmE_sEESB_NS0_8identityIvEEEESG_SJ_SK_mSL_SN_bEUlT_E_NS1_11comp_targetILNS1_3genE0ELNS1_11target_archE4294967295ELNS1_3gpuE0ELNS1_3repE0EEENS1_30default_config_static_selectorELNS0_4arch9wavefront6targetE1EEEvT1_
; %bb.0:
	.section	.rodata,"a",@progbits
	.p2align	6, 0x0
	.amdhsa_kernel _ZN7rocprim17ROCPRIM_400000_NS6detail17trampoline_kernelINS0_14default_configENS1_25transform_config_selectorIsLb0EEEZNS1_14transform_implILb0ES3_S5_NS0_18transform_iteratorINS0_17counting_iteratorImlEEZNS1_24adjacent_difference_implIS3_Lb1ELb0EPsSB_N6thrust23THRUST_200600_302600_NS4plusIsEEEE10hipError_tPvRmT2_T3_mT4_P12ihipStream_tbEUlmE_sEESB_NS0_8identityIvEEEESG_SJ_SK_mSL_SN_bEUlT_E_NS1_11comp_targetILNS1_3genE0ELNS1_11target_archE4294967295ELNS1_3gpuE0ELNS1_3repE0EEENS1_30default_config_static_selectorELNS0_4arch9wavefront6targetE1EEEvT1_
		.amdhsa_group_segment_fixed_size 0
		.amdhsa_private_segment_fixed_size 0
		.amdhsa_kernarg_size 56
		.amdhsa_user_sgpr_count 2
		.amdhsa_user_sgpr_dispatch_ptr 0
		.amdhsa_user_sgpr_queue_ptr 0
		.amdhsa_user_sgpr_kernarg_segment_ptr 1
		.amdhsa_user_sgpr_dispatch_id 0
		.amdhsa_user_sgpr_kernarg_preload_length 0
		.amdhsa_user_sgpr_kernarg_preload_offset 0
		.amdhsa_user_sgpr_private_segment_size 0
		.amdhsa_uses_dynamic_stack 0
		.amdhsa_enable_private_segment 0
		.amdhsa_system_sgpr_workgroup_id_x 1
		.amdhsa_system_sgpr_workgroup_id_y 0
		.amdhsa_system_sgpr_workgroup_id_z 0
		.amdhsa_system_sgpr_workgroup_info 0
		.amdhsa_system_vgpr_workitem_id 0
		.amdhsa_next_free_vgpr 1
		.amdhsa_next_free_sgpr 0
		.amdhsa_accum_offset 4
		.amdhsa_reserve_vcc 0
		.amdhsa_float_round_mode_32 0
		.amdhsa_float_round_mode_16_64 0
		.amdhsa_float_denorm_mode_32 3
		.amdhsa_float_denorm_mode_16_64 3
		.amdhsa_dx10_clamp 1
		.amdhsa_ieee_mode 1
		.amdhsa_fp16_overflow 0
		.amdhsa_tg_split 0
		.amdhsa_exception_fp_ieee_invalid_op 0
		.amdhsa_exception_fp_denorm_src 0
		.amdhsa_exception_fp_ieee_div_zero 0
		.amdhsa_exception_fp_ieee_overflow 0
		.amdhsa_exception_fp_ieee_underflow 0
		.amdhsa_exception_fp_ieee_inexact 0
		.amdhsa_exception_int_div_zero 0
	.end_amdhsa_kernel
	.section	.text._ZN7rocprim17ROCPRIM_400000_NS6detail17trampoline_kernelINS0_14default_configENS1_25transform_config_selectorIsLb0EEEZNS1_14transform_implILb0ES3_S5_NS0_18transform_iteratorINS0_17counting_iteratorImlEEZNS1_24adjacent_difference_implIS3_Lb1ELb0EPsSB_N6thrust23THRUST_200600_302600_NS4plusIsEEEE10hipError_tPvRmT2_T3_mT4_P12ihipStream_tbEUlmE_sEESB_NS0_8identityIvEEEESG_SJ_SK_mSL_SN_bEUlT_E_NS1_11comp_targetILNS1_3genE0ELNS1_11target_archE4294967295ELNS1_3gpuE0ELNS1_3repE0EEENS1_30default_config_static_selectorELNS0_4arch9wavefront6targetE1EEEvT1_,"axG",@progbits,_ZN7rocprim17ROCPRIM_400000_NS6detail17trampoline_kernelINS0_14default_configENS1_25transform_config_selectorIsLb0EEEZNS1_14transform_implILb0ES3_S5_NS0_18transform_iteratorINS0_17counting_iteratorImlEEZNS1_24adjacent_difference_implIS3_Lb1ELb0EPsSB_N6thrust23THRUST_200600_302600_NS4plusIsEEEE10hipError_tPvRmT2_T3_mT4_P12ihipStream_tbEUlmE_sEESB_NS0_8identityIvEEEESG_SJ_SK_mSL_SN_bEUlT_E_NS1_11comp_targetILNS1_3genE0ELNS1_11target_archE4294967295ELNS1_3gpuE0ELNS1_3repE0EEENS1_30default_config_static_selectorELNS0_4arch9wavefront6targetE1EEEvT1_,comdat
.Lfunc_end85:
	.size	_ZN7rocprim17ROCPRIM_400000_NS6detail17trampoline_kernelINS0_14default_configENS1_25transform_config_selectorIsLb0EEEZNS1_14transform_implILb0ES3_S5_NS0_18transform_iteratorINS0_17counting_iteratorImlEEZNS1_24adjacent_difference_implIS3_Lb1ELb0EPsSB_N6thrust23THRUST_200600_302600_NS4plusIsEEEE10hipError_tPvRmT2_T3_mT4_P12ihipStream_tbEUlmE_sEESB_NS0_8identityIvEEEESG_SJ_SK_mSL_SN_bEUlT_E_NS1_11comp_targetILNS1_3genE0ELNS1_11target_archE4294967295ELNS1_3gpuE0ELNS1_3repE0EEENS1_30default_config_static_selectorELNS0_4arch9wavefront6targetE1EEEvT1_, .Lfunc_end85-_ZN7rocprim17ROCPRIM_400000_NS6detail17trampoline_kernelINS0_14default_configENS1_25transform_config_selectorIsLb0EEEZNS1_14transform_implILb0ES3_S5_NS0_18transform_iteratorINS0_17counting_iteratorImlEEZNS1_24adjacent_difference_implIS3_Lb1ELb0EPsSB_N6thrust23THRUST_200600_302600_NS4plusIsEEEE10hipError_tPvRmT2_T3_mT4_P12ihipStream_tbEUlmE_sEESB_NS0_8identityIvEEEESG_SJ_SK_mSL_SN_bEUlT_E_NS1_11comp_targetILNS1_3genE0ELNS1_11target_archE4294967295ELNS1_3gpuE0ELNS1_3repE0EEENS1_30default_config_static_selectorELNS0_4arch9wavefront6targetE1EEEvT1_
                                        ; -- End function
	.section	.AMDGPU.csdata,"",@progbits
; Kernel info:
; codeLenInByte = 0
; NumSgprs: 6
; NumVgprs: 0
; NumAgprs: 0
; TotalNumVgprs: 0
; ScratchSize: 0
; MemoryBound: 0
; FloatMode: 240
; IeeeMode: 1
; LDSByteSize: 0 bytes/workgroup (compile time only)
; SGPRBlocks: 0
; VGPRBlocks: 0
; NumSGPRsForWavesPerEU: 6
; NumVGPRsForWavesPerEU: 1
; AccumOffset: 4
; Occupancy: 8
; WaveLimiterHint : 0
; COMPUTE_PGM_RSRC2:SCRATCH_EN: 0
; COMPUTE_PGM_RSRC2:USER_SGPR: 2
; COMPUTE_PGM_RSRC2:TRAP_HANDLER: 0
; COMPUTE_PGM_RSRC2:TGID_X_EN: 1
; COMPUTE_PGM_RSRC2:TGID_Y_EN: 0
; COMPUTE_PGM_RSRC2:TGID_Z_EN: 0
; COMPUTE_PGM_RSRC2:TIDIG_COMP_CNT: 0
; COMPUTE_PGM_RSRC3_GFX90A:ACCUM_OFFSET: 0
; COMPUTE_PGM_RSRC3_GFX90A:TG_SPLIT: 0
	.section	.text._ZN7rocprim17ROCPRIM_400000_NS6detail17trampoline_kernelINS0_14default_configENS1_25transform_config_selectorIsLb0EEEZNS1_14transform_implILb0ES3_S5_NS0_18transform_iteratorINS0_17counting_iteratorImlEEZNS1_24adjacent_difference_implIS3_Lb1ELb0EPsSB_N6thrust23THRUST_200600_302600_NS4plusIsEEEE10hipError_tPvRmT2_T3_mT4_P12ihipStream_tbEUlmE_sEESB_NS0_8identityIvEEEESG_SJ_SK_mSL_SN_bEUlT_E_NS1_11comp_targetILNS1_3genE5ELNS1_11target_archE942ELNS1_3gpuE9ELNS1_3repE0EEENS1_30default_config_static_selectorELNS0_4arch9wavefront6targetE1EEEvT1_,"axG",@progbits,_ZN7rocprim17ROCPRIM_400000_NS6detail17trampoline_kernelINS0_14default_configENS1_25transform_config_selectorIsLb0EEEZNS1_14transform_implILb0ES3_S5_NS0_18transform_iteratorINS0_17counting_iteratorImlEEZNS1_24adjacent_difference_implIS3_Lb1ELb0EPsSB_N6thrust23THRUST_200600_302600_NS4plusIsEEEE10hipError_tPvRmT2_T3_mT4_P12ihipStream_tbEUlmE_sEESB_NS0_8identityIvEEEESG_SJ_SK_mSL_SN_bEUlT_E_NS1_11comp_targetILNS1_3genE5ELNS1_11target_archE942ELNS1_3gpuE9ELNS1_3repE0EEENS1_30default_config_static_selectorELNS0_4arch9wavefront6targetE1EEEvT1_,comdat
	.protected	_ZN7rocprim17ROCPRIM_400000_NS6detail17trampoline_kernelINS0_14default_configENS1_25transform_config_selectorIsLb0EEEZNS1_14transform_implILb0ES3_S5_NS0_18transform_iteratorINS0_17counting_iteratorImlEEZNS1_24adjacent_difference_implIS3_Lb1ELb0EPsSB_N6thrust23THRUST_200600_302600_NS4plusIsEEEE10hipError_tPvRmT2_T3_mT4_P12ihipStream_tbEUlmE_sEESB_NS0_8identityIvEEEESG_SJ_SK_mSL_SN_bEUlT_E_NS1_11comp_targetILNS1_3genE5ELNS1_11target_archE942ELNS1_3gpuE9ELNS1_3repE0EEENS1_30default_config_static_selectorELNS0_4arch9wavefront6targetE1EEEvT1_ ; -- Begin function _ZN7rocprim17ROCPRIM_400000_NS6detail17trampoline_kernelINS0_14default_configENS1_25transform_config_selectorIsLb0EEEZNS1_14transform_implILb0ES3_S5_NS0_18transform_iteratorINS0_17counting_iteratorImlEEZNS1_24adjacent_difference_implIS3_Lb1ELb0EPsSB_N6thrust23THRUST_200600_302600_NS4plusIsEEEE10hipError_tPvRmT2_T3_mT4_P12ihipStream_tbEUlmE_sEESB_NS0_8identityIvEEEESG_SJ_SK_mSL_SN_bEUlT_E_NS1_11comp_targetILNS1_3genE5ELNS1_11target_archE942ELNS1_3gpuE9ELNS1_3repE0EEENS1_30default_config_static_selectorELNS0_4arch9wavefront6targetE1EEEvT1_
	.globl	_ZN7rocprim17ROCPRIM_400000_NS6detail17trampoline_kernelINS0_14default_configENS1_25transform_config_selectorIsLb0EEEZNS1_14transform_implILb0ES3_S5_NS0_18transform_iteratorINS0_17counting_iteratorImlEEZNS1_24adjacent_difference_implIS3_Lb1ELb0EPsSB_N6thrust23THRUST_200600_302600_NS4plusIsEEEE10hipError_tPvRmT2_T3_mT4_P12ihipStream_tbEUlmE_sEESB_NS0_8identityIvEEEESG_SJ_SK_mSL_SN_bEUlT_E_NS1_11comp_targetILNS1_3genE5ELNS1_11target_archE942ELNS1_3gpuE9ELNS1_3repE0EEENS1_30default_config_static_selectorELNS0_4arch9wavefront6targetE1EEEvT1_
	.p2align	8
	.type	_ZN7rocprim17ROCPRIM_400000_NS6detail17trampoline_kernelINS0_14default_configENS1_25transform_config_selectorIsLb0EEEZNS1_14transform_implILb0ES3_S5_NS0_18transform_iteratorINS0_17counting_iteratorImlEEZNS1_24adjacent_difference_implIS3_Lb1ELb0EPsSB_N6thrust23THRUST_200600_302600_NS4plusIsEEEE10hipError_tPvRmT2_T3_mT4_P12ihipStream_tbEUlmE_sEESB_NS0_8identityIvEEEESG_SJ_SK_mSL_SN_bEUlT_E_NS1_11comp_targetILNS1_3genE5ELNS1_11target_archE942ELNS1_3gpuE9ELNS1_3repE0EEENS1_30default_config_static_selectorELNS0_4arch9wavefront6targetE1EEEvT1_,@function
_ZN7rocprim17ROCPRIM_400000_NS6detail17trampoline_kernelINS0_14default_configENS1_25transform_config_selectorIsLb0EEEZNS1_14transform_implILb0ES3_S5_NS0_18transform_iteratorINS0_17counting_iteratorImlEEZNS1_24adjacent_difference_implIS3_Lb1ELb0EPsSB_N6thrust23THRUST_200600_302600_NS4plusIsEEEE10hipError_tPvRmT2_T3_mT4_P12ihipStream_tbEUlmE_sEESB_NS0_8identityIvEEEESG_SJ_SK_mSL_SN_bEUlT_E_NS1_11comp_targetILNS1_3genE5ELNS1_11target_archE942ELNS1_3gpuE9ELNS1_3repE0EEENS1_30default_config_static_selectorELNS0_4arch9wavefront6targetE1EEEvT1_: ; @_ZN7rocprim17ROCPRIM_400000_NS6detail17trampoline_kernelINS0_14default_configENS1_25transform_config_selectorIsLb0EEEZNS1_14transform_implILb0ES3_S5_NS0_18transform_iteratorINS0_17counting_iteratorImlEEZNS1_24adjacent_difference_implIS3_Lb1ELb0EPsSB_N6thrust23THRUST_200600_302600_NS4plusIsEEEE10hipError_tPvRmT2_T3_mT4_P12ihipStream_tbEUlmE_sEESB_NS0_8identityIvEEEESG_SJ_SK_mSL_SN_bEUlT_E_NS1_11comp_targetILNS1_3genE5ELNS1_11target_archE942ELNS1_3gpuE9ELNS1_3repE0EEENS1_30default_config_static_selectorELNS0_4arch9wavefront6targetE1EEEvT1_
; %bb.0:
	s_load_dwordx4 s[4:7], s[0:1], 0x18
	s_load_dwordx2 s[8:9], s[0:1], 0x28
	s_load_dwordx4 s[12:15], s[0:1], 0x0
	s_load_dword s20, s[0:1], 0x10
	s_load_dword s3, s[0:1], 0x38
	s_waitcnt lgkmcnt(0)
	s_lshl_b64 s[0:1], s[4:5], 1
	s_add_u32 s26, s8, s0
	s_addc_u32 s27, s9, s1
	s_lshl_b32 s18, s2, 11
	s_add_i32 s3, s3, -1
	s_add_u32 s0, s12, s18
	s_addc_u32 s1, s13, 0
	s_add_u32 s22, s0, s4
	s_addc_u32 s23, s1, s5
	s_mov_b32 s19, 0
	s_cmp_lg_u32 s2, s3
	v_lshlrev_b32_e32 v6, 1, v0
	s_cbranch_scc0 .LBB86_2
; %bb.1:
	v_mov_b32_e32 v1, 0
	v_lshl_add_u64 v[2:3], s[22:23], 0, v[0:1]
	v_mad_u64_u32 v[4:5], s[0:1], v2, s20, 0
	v_mov_b32_e32 v2, v5
	v_mad_u64_u32 v[2:3], s[0:1], v3, s20, v[2:3]
	s_mov_b32 s21, s19
	v_mov_b32_e32 v5, v2
	v_lshl_add_u64 v[2:3], v[4:5], 1, s[14:15]
	s_lshl_b64 s[0:1], s[20:21], 9
	v_lshl_add_u64 v[4:5], v[2:3], 0, s[0:1]
	v_lshl_add_u64 v[8:9], v[4:5], 0, s[0:1]
	;; [unrolled: 1-line block ×4, first 2 shown]
	global_load_ushort v14, v[2:3], off
	global_load_ushort v15, v[4:5], off
	;; [unrolled: 1-line block ×5, first 2 shown]
	v_lshl_add_u64 v[2:3], v[12:13], 0, s[0:1]
	global_load_ushort v4, v[2:3], off
	v_lshl_add_u64 v[2:3], v[2:3], 0, s[0:1]
	global_load_ushort v5, v[2:3], off
	;; [unrolled: 2-line block ×3, first 2 shown]
	s_lshl_b64 s[2:3], s[18:19], 1
	s_add_u32 s2, s26, s2
	v_mov_b32_e32 v7, v1
	s_addc_u32 s3, s27, s3
	v_lshl_add_u64 v[8:9], s[2:3], 0, v[6:7]
	s_mov_b64 s[16:17], -1
	s_waitcnt vmcnt(7)
	global_store_short v6, v14, s[2:3]
	s_waitcnt vmcnt(7)
	global_store_short v6, v15, s[2:3] offset:512
	s_waitcnt vmcnt(7)
	global_store_short v6, v16, s[2:3] offset:1024
	;; [unrolled: 2-line block ×6, first 2 shown]
	s_cbranch_execz .LBB86_3
	s_branch .LBB86_32
.LBB86_2:
	s_mov_b64 s[16:17], 0
                                        ; implicit-def: $vgpr2
                                        ; implicit-def: $vgpr8_vgpr9
.LBB86_3:
	s_sub_i32 s21, s6, s18
	v_cmp_gt_u32_e32 vcc, s21, v0
                                        ; implicit-def: $vgpr2_vgpr3_vgpr4_vgpr5
	s_and_saveexec_b64 s[0:1], vcc
	s_cbranch_execz .LBB86_5
; %bb.4:
	v_mov_b32_e32 v1, 0
	s_waitcnt vmcnt(7)
	v_lshl_add_u64 v[2:3], s[22:23], 0, v[0:1]
	v_mad_u64_u32 v[4:5], s[2:3], v2, s20, 0
	v_mov_b32_e32 v2, v5
	v_mad_u64_u32 v[2:3], s[2:3], v3, s20, v[2:3]
	v_mov_b32_e32 v5, v2
	v_lshl_add_u64 v[2:3], v[4:5], 1, s[14:15]
	global_load_ushort v2, v[2:3], off
.LBB86_5:
	s_or_b64 exec, exec, s[0:1]
	v_or_b32_e32 v8, 0x100, v0
	v_cmp_gt_u32_e64 s[0:1], s21, v8
	s_and_saveexec_b64 s[2:3], s[0:1]
	s_cbranch_execz .LBB86_7
; %bb.6:
	v_mov_b32_e32 v9, 0
	v_lshl_add_u64 v[8:9], s[22:23], 0, v[8:9]
	v_mad_u64_u32 v[10:11], s[4:5], v8, s20, 0
	v_mov_b32_e32 v8, v11
	v_mad_u64_u32 v[8:9], s[4:5], v9, s20, v[8:9]
	v_mov_b32_e32 v11, v8
	v_lshl_add_u64 v[8:9], v[10:11], 1, s[14:15]
	global_load_ushort v1, v[8:9], off
	s_mov_b32 s4, 0x5040100
	s_waitcnt vmcnt(0)
	v_perm_b32 v2, v1, v2, s4
.LBB86_7:
	s_or_b64 exec, exec, s[2:3]
	v_or_b32_e32 v8, 0x200, v0
	v_cmp_gt_u32_e64 s[2:3], s21, v8
	s_and_saveexec_b64 s[4:5], s[2:3]
	s_cbranch_execz .LBB86_9
; %bb.8:
	v_mov_b32_e32 v9, 0
	v_lshl_add_u64 v[8:9], s[22:23], 0, v[8:9]
	v_mad_u64_u32 v[10:11], s[6:7], v8, s20, 0
	v_mov_b32_e32 v8, v11
	v_mad_u64_u32 v[8:9], s[6:7], v9, s20, v[8:9]
	v_mov_b32_e32 v11, v8
	v_lshl_add_u64 v[8:9], v[10:11], 1, s[14:15]
	global_load_ushort v1, v[8:9], off
	s_mov_b32 s6, 0xffff
	s_waitcnt vmcnt(0)
	v_bfi_b32 v3, s6, v1, v3
.LBB86_9:
	s_or_b64 exec, exec, s[4:5]
	v_or_b32_e32 v8, 0x300, v0
	v_cmp_gt_u32_e64 s[4:5], s21, v8
	s_and_saveexec_b64 s[6:7], s[4:5]
	s_cbranch_execz .LBB86_11
; %bb.10:
	v_mov_b32_e32 v9, 0
	v_lshl_add_u64 v[8:9], s[22:23], 0, v[8:9]
	v_mad_u64_u32 v[10:11], s[8:9], v8, s20, 0
	v_mov_b32_e32 v8, v11
	v_mad_u64_u32 v[8:9], s[8:9], v9, s20, v[8:9]
	v_mov_b32_e32 v11, v8
	v_lshl_add_u64 v[8:9], v[10:11], 1, s[14:15]
	global_load_ushort v1, v[8:9], off
	s_mov_b32 s8, 0x5040100
	s_waitcnt vmcnt(0)
	v_perm_b32 v3, v1, v3, s8
.LBB86_11:
	s_or_b64 exec, exec, s[6:7]
	v_or_b32_e32 v8, 0x400, v0
	v_cmp_gt_u32_e64 s[6:7], s21, v8
	s_and_saveexec_b64 s[8:9], s[6:7]
	s_cbranch_execz .LBB86_13
; %bb.12:
	v_mov_b32_e32 v9, 0
	v_lshl_add_u64 v[8:9], s[22:23], 0, v[8:9]
	v_mad_u64_u32 v[10:11], s[10:11], v8, s20, 0
	v_mov_b32_e32 v8, v11
	v_mad_u64_u32 v[8:9], s[10:11], v9, s20, v[8:9]
	v_mov_b32_e32 v11, v8
	v_lshl_add_u64 v[8:9], v[10:11], 1, s[14:15]
	global_load_ushort v1, v[8:9], off
	s_mov_b32 s10, 0xffff
	s_waitcnt vmcnt(0)
	v_bfi_b32 v4, s10, v1, v4
.LBB86_13:
	;; [unrolled: 36-line block ×3, first 2 shown]
	s_or_b64 exec, exec, s[12:13]
	v_or_b32_e32 v0, 0x700, v0
	v_cmp_gt_u32_e64 s[12:13], s21, v0
	s_and_saveexec_b64 s[24:25], s[12:13]
	s_cbranch_execz .LBB86_19
; %bb.18:
	v_mov_b32_e32 v1, 0
	v_lshl_add_u64 v[0:1], s[22:23], 0, v[0:1]
	v_mad_u64_u32 v[8:9], s[22:23], v0, s20, 0
	v_mov_b32_e32 v0, v9
	v_mad_u64_u32 v[0:1], s[20:21], v1, s20, v[0:1]
	v_mov_b32_e32 v9, v0
	v_lshl_add_u64 v[0:1], v[8:9], 1, s[14:15]
	global_load_ushort v0, v[0:1], off
	s_mov_b32 s14, 0x5040100
	s_waitcnt vmcnt(0)
	v_perm_b32 v5, v0, v5, s14
.LBB86_19:
	s_or_b64 exec, exec, s[24:25]
	s_lshl_b64 s[14:15], s[18:19], 1
	s_add_u32 s14, s26, s14
	s_addc_u32 s15, s27, s15
	v_mov_b32_e32 v7, 0
	v_lshl_add_u64 v[8:9], s[14:15], 0, v[6:7]
	s_and_saveexec_b64 s[14:15], vcc
	s_cbranch_execnz .LBB86_35
; %bb.20:
	s_or_b64 exec, exec, s[14:15]
	s_and_saveexec_b64 s[14:15], s[0:1]
	s_cbranch_execnz .LBB86_36
.LBB86_21:
	s_or_b64 exec, exec, s[14:15]
	s_mov_b32 s14, 0xffff
	s_and_saveexec_b64 s[0:1], s[2:3]
	s_cbranch_execz .LBB86_23
.LBB86_22:
	global_store_short v[8:9], v3, off offset:1024
.LBB86_23:
	s_or_b64 exec, exec, s[0:1]
	v_bfi_b32 v0, s14, v3, v3
	v_cndmask_b32_e64 v0, v0, v3, s[4:5]
	s_and_saveexec_b64 s[0:1], s[4:5]
	s_cbranch_execz .LBB86_25
; %bb.24:
	global_store_short_d16_hi v[8:9], v0, off offset:1536
.LBB86_25:
	s_or_b64 exec, exec, s[0:1]
	s_mov_b32 s2, 0xffff
	v_cndmask_b32_e64 v0, v4, v4, s[6:7]
	s_and_saveexec_b64 s[0:1], s[6:7]
	s_cbranch_execz .LBB86_27
; %bb.26:
	global_store_short v[8:9], v0, off offset:2048
.LBB86_27:
	s_or_b64 exec, exec, s[0:1]
	v_bfi_b32 v0, s2, v0, v4
	v_cndmask_b32_e64 v0, v0, v4, s[8:9]
	s_and_saveexec_b64 s[0:1], s[8:9]
	s_cbranch_execnz .LBB86_37
; %bb.28:
	s_or_b64 exec, exec, s[0:1]
	s_and_saveexec_b64 s[0:1], s[10:11]
	s_cbranch_execnz .LBB86_38
.LBB86_29:
	s_or_b64 exec, exec, s[0:1]
                                        ; implicit-def: $vgpr2
	s_and_saveexec_b64 s[0:1], s[12:13]
	s_cbranch_execz .LBB86_31
.LBB86_30:
	v_cndmask_b32_e64 v0, v5, v5, s[12:13]
	s_waitcnt vmcnt(0)
	v_lshrrev_b32_e32 v2, 16, v0
	s_or_b64 s[16:17], s[16:17], exec
.LBB86_31:
	s_or_b64 exec, exec, s[0:1]
.LBB86_32:
	s_and_saveexec_b64 s[0:1], s[16:17]
	s_cbranch_execnz .LBB86_34
; %bb.33:
	s_endpgm
.LBB86_34:
	s_waitcnt vmcnt(0)
	global_store_short v[8:9], v2, off offset:3584
	s_endpgm
.LBB86_35:
	s_waitcnt vmcnt(0)
	global_store_short v[8:9], v2, off
	s_or_b64 exec, exec, s[14:15]
	s_and_saveexec_b64 s[14:15], s[0:1]
	s_cbranch_execz .LBB86_21
.LBB86_36:
	s_waitcnt vmcnt(0)
	global_store_short_d16_hi v[8:9], v2, off offset:512
	s_or_b64 exec, exec, s[14:15]
	s_mov_b32 s14, 0xffff
	s_and_saveexec_b64 s[0:1], s[2:3]
	s_cbranch_execnz .LBB86_22
	s_branch .LBB86_23
.LBB86_37:
	global_store_short_d16_hi v[8:9], v0, off offset:2560
	s_or_b64 exec, exec, s[0:1]
	s_and_saveexec_b64 s[0:1], s[10:11]
	s_cbranch_execz .LBB86_29
.LBB86_38:
	v_cndmask_b32_e64 v0, v5, v5, s[10:11]
	global_store_short v[8:9], v0, off offset:3072
	s_or_b64 exec, exec, s[0:1]
                                        ; implicit-def: $vgpr2
	s_and_saveexec_b64 s[0:1], s[12:13]
	s_cbranch_execnz .LBB86_30
	s_branch .LBB86_31
	.section	.rodata,"a",@progbits
	.p2align	6, 0x0
	.amdhsa_kernel _ZN7rocprim17ROCPRIM_400000_NS6detail17trampoline_kernelINS0_14default_configENS1_25transform_config_selectorIsLb0EEEZNS1_14transform_implILb0ES3_S5_NS0_18transform_iteratorINS0_17counting_iteratorImlEEZNS1_24adjacent_difference_implIS3_Lb1ELb0EPsSB_N6thrust23THRUST_200600_302600_NS4plusIsEEEE10hipError_tPvRmT2_T3_mT4_P12ihipStream_tbEUlmE_sEESB_NS0_8identityIvEEEESG_SJ_SK_mSL_SN_bEUlT_E_NS1_11comp_targetILNS1_3genE5ELNS1_11target_archE942ELNS1_3gpuE9ELNS1_3repE0EEENS1_30default_config_static_selectorELNS0_4arch9wavefront6targetE1EEEvT1_
		.amdhsa_group_segment_fixed_size 0
		.amdhsa_private_segment_fixed_size 0
		.amdhsa_kernarg_size 312
		.amdhsa_user_sgpr_count 2
		.amdhsa_user_sgpr_dispatch_ptr 0
		.amdhsa_user_sgpr_queue_ptr 0
		.amdhsa_user_sgpr_kernarg_segment_ptr 1
		.amdhsa_user_sgpr_dispatch_id 0
		.amdhsa_user_sgpr_kernarg_preload_length 0
		.amdhsa_user_sgpr_kernarg_preload_offset 0
		.amdhsa_user_sgpr_private_segment_size 0
		.amdhsa_uses_dynamic_stack 0
		.amdhsa_enable_private_segment 0
		.amdhsa_system_sgpr_workgroup_id_x 1
		.amdhsa_system_sgpr_workgroup_id_y 0
		.amdhsa_system_sgpr_workgroup_id_z 0
		.amdhsa_system_sgpr_workgroup_info 0
		.amdhsa_system_vgpr_workitem_id 0
		.amdhsa_next_free_vgpr 19
		.amdhsa_next_free_sgpr 28
		.amdhsa_accum_offset 20
		.amdhsa_reserve_vcc 1
		.amdhsa_float_round_mode_32 0
		.amdhsa_float_round_mode_16_64 0
		.amdhsa_float_denorm_mode_32 3
		.amdhsa_float_denorm_mode_16_64 3
		.amdhsa_dx10_clamp 1
		.amdhsa_ieee_mode 1
		.amdhsa_fp16_overflow 0
		.amdhsa_tg_split 0
		.amdhsa_exception_fp_ieee_invalid_op 0
		.amdhsa_exception_fp_denorm_src 0
		.amdhsa_exception_fp_ieee_div_zero 0
		.amdhsa_exception_fp_ieee_overflow 0
		.amdhsa_exception_fp_ieee_underflow 0
		.amdhsa_exception_fp_ieee_inexact 0
		.amdhsa_exception_int_div_zero 0
	.end_amdhsa_kernel
	.section	.text._ZN7rocprim17ROCPRIM_400000_NS6detail17trampoline_kernelINS0_14default_configENS1_25transform_config_selectorIsLb0EEEZNS1_14transform_implILb0ES3_S5_NS0_18transform_iteratorINS0_17counting_iteratorImlEEZNS1_24adjacent_difference_implIS3_Lb1ELb0EPsSB_N6thrust23THRUST_200600_302600_NS4plusIsEEEE10hipError_tPvRmT2_T3_mT4_P12ihipStream_tbEUlmE_sEESB_NS0_8identityIvEEEESG_SJ_SK_mSL_SN_bEUlT_E_NS1_11comp_targetILNS1_3genE5ELNS1_11target_archE942ELNS1_3gpuE9ELNS1_3repE0EEENS1_30default_config_static_selectorELNS0_4arch9wavefront6targetE1EEEvT1_,"axG",@progbits,_ZN7rocprim17ROCPRIM_400000_NS6detail17trampoline_kernelINS0_14default_configENS1_25transform_config_selectorIsLb0EEEZNS1_14transform_implILb0ES3_S5_NS0_18transform_iteratorINS0_17counting_iteratorImlEEZNS1_24adjacent_difference_implIS3_Lb1ELb0EPsSB_N6thrust23THRUST_200600_302600_NS4plusIsEEEE10hipError_tPvRmT2_T3_mT4_P12ihipStream_tbEUlmE_sEESB_NS0_8identityIvEEEESG_SJ_SK_mSL_SN_bEUlT_E_NS1_11comp_targetILNS1_3genE5ELNS1_11target_archE942ELNS1_3gpuE9ELNS1_3repE0EEENS1_30default_config_static_selectorELNS0_4arch9wavefront6targetE1EEEvT1_,comdat
.Lfunc_end86:
	.size	_ZN7rocprim17ROCPRIM_400000_NS6detail17trampoline_kernelINS0_14default_configENS1_25transform_config_selectorIsLb0EEEZNS1_14transform_implILb0ES3_S5_NS0_18transform_iteratorINS0_17counting_iteratorImlEEZNS1_24adjacent_difference_implIS3_Lb1ELb0EPsSB_N6thrust23THRUST_200600_302600_NS4plusIsEEEE10hipError_tPvRmT2_T3_mT4_P12ihipStream_tbEUlmE_sEESB_NS0_8identityIvEEEESG_SJ_SK_mSL_SN_bEUlT_E_NS1_11comp_targetILNS1_3genE5ELNS1_11target_archE942ELNS1_3gpuE9ELNS1_3repE0EEENS1_30default_config_static_selectorELNS0_4arch9wavefront6targetE1EEEvT1_, .Lfunc_end86-_ZN7rocprim17ROCPRIM_400000_NS6detail17trampoline_kernelINS0_14default_configENS1_25transform_config_selectorIsLb0EEEZNS1_14transform_implILb0ES3_S5_NS0_18transform_iteratorINS0_17counting_iteratorImlEEZNS1_24adjacent_difference_implIS3_Lb1ELb0EPsSB_N6thrust23THRUST_200600_302600_NS4plusIsEEEE10hipError_tPvRmT2_T3_mT4_P12ihipStream_tbEUlmE_sEESB_NS0_8identityIvEEEESG_SJ_SK_mSL_SN_bEUlT_E_NS1_11comp_targetILNS1_3genE5ELNS1_11target_archE942ELNS1_3gpuE9ELNS1_3repE0EEENS1_30default_config_static_selectorELNS0_4arch9wavefront6targetE1EEEvT1_
                                        ; -- End function
	.section	.AMDGPU.csdata,"",@progbits
; Kernel info:
; codeLenInByte = 1528
; NumSgprs: 34
; NumVgprs: 19
; NumAgprs: 0
; TotalNumVgprs: 19
; ScratchSize: 0
; MemoryBound: 0
; FloatMode: 240
; IeeeMode: 1
; LDSByteSize: 0 bytes/workgroup (compile time only)
; SGPRBlocks: 4
; VGPRBlocks: 2
; NumSGPRsForWavesPerEU: 34
; NumVGPRsForWavesPerEU: 19
; AccumOffset: 20
; Occupancy: 8
; WaveLimiterHint : 1
; COMPUTE_PGM_RSRC2:SCRATCH_EN: 0
; COMPUTE_PGM_RSRC2:USER_SGPR: 2
; COMPUTE_PGM_RSRC2:TRAP_HANDLER: 0
; COMPUTE_PGM_RSRC2:TGID_X_EN: 1
; COMPUTE_PGM_RSRC2:TGID_Y_EN: 0
; COMPUTE_PGM_RSRC2:TGID_Z_EN: 0
; COMPUTE_PGM_RSRC2:TIDIG_COMP_CNT: 0
; COMPUTE_PGM_RSRC3_GFX90A:ACCUM_OFFSET: 4
; COMPUTE_PGM_RSRC3_GFX90A:TG_SPLIT: 0
	.section	.text._ZN7rocprim17ROCPRIM_400000_NS6detail17trampoline_kernelINS0_14default_configENS1_25transform_config_selectorIsLb0EEEZNS1_14transform_implILb0ES3_S5_NS0_18transform_iteratorINS0_17counting_iteratorImlEEZNS1_24adjacent_difference_implIS3_Lb1ELb0EPsSB_N6thrust23THRUST_200600_302600_NS4plusIsEEEE10hipError_tPvRmT2_T3_mT4_P12ihipStream_tbEUlmE_sEESB_NS0_8identityIvEEEESG_SJ_SK_mSL_SN_bEUlT_E_NS1_11comp_targetILNS1_3genE4ELNS1_11target_archE910ELNS1_3gpuE8ELNS1_3repE0EEENS1_30default_config_static_selectorELNS0_4arch9wavefront6targetE1EEEvT1_,"axG",@progbits,_ZN7rocprim17ROCPRIM_400000_NS6detail17trampoline_kernelINS0_14default_configENS1_25transform_config_selectorIsLb0EEEZNS1_14transform_implILb0ES3_S5_NS0_18transform_iteratorINS0_17counting_iteratorImlEEZNS1_24adjacent_difference_implIS3_Lb1ELb0EPsSB_N6thrust23THRUST_200600_302600_NS4plusIsEEEE10hipError_tPvRmT2_T3_mT4_P12ihipStream_tbEUlmE_sEESB_NS0_8identityIvEEEESG_SJ_SK_mSL_SN_bEUlT_E_NS1_11comp_targetILNS1_3genE4ELNS1_11target_archE910ELNS1_3gpuE8ELNS1_3repE0EEENS1_30default_config_static_selectorELNS0_4arch9wavefront6targetE1EEEvT1_,comdat
	.protected	_ZN7rocprim17ROCPRIM_400000_NS6detail17trampoline_kernelINS0_14default_configENS1_25transform_config_selectorIsLb0EEEZNS1_14transform_implILb0ES3_S5_NS0_18transform_iteratorINS0_17counting_iteratorImlEEZNS1_24adjacent_difference_implIS3_Lb1ELb0EPsSB_N6thrust23THRUST_200600_302600_NS4plusIsEEEE10hipError_tPvRmT2_T3_mT4_P12ihipStream_tbEUlmE_sEESB_NS0_8identityIvEEEESG_SJ_SK_mSL_SN_bEUlT_E_NS1_11comp_targetILNS1_3genE4ELNS1_11target_archE910ELNS1_3gpuE8ELNS1_3repE0EEENS1_30default_config_static_selectorELNS0_4arch9wavefront6targetE1EEEvT1_ ; -- Begin function _ZN7rocprim17ROCPRIM_400000_NS6detail17trampoline_kernelINS0_14default_configENS1_25transform_config_selectorIsLb0EEEZNS1_14transform_implILb0ES3_S5_NS0_18transform_iteratorINS0_17counting_iteratorImlEEZNS1_24adjacent_difference_implIS3_Lb1ELb0EPsSB_N6thrust23THRUST_200600_302600_NS4plusIsEEEE10hipError_tPvRmT2_T3_mT4_P12ihipStream_tbEUlmE_sEESB_NS0_8identityIvEEEESG_SJ_SK_mSL_SN_bEUlT_E_NS1_11comp_targetILNS1_3genE4ELNS1_11target_archE910ELNS1_3gpuE8ELNS1_3repE0EEENS1_30default_config_static_selectorELNS0_4arch9wavefront6targetE1EEEvT1_
	.globl	_ZN7rocprim17ROCPRIM_400000_NS6detail17trampoline_kernelINS0_14default_configENS1_25transform_config_selectorIsLb0EEEZNS1_14transform_implILb0ES3_S5_NS0_18transform_iteratorINS0_17counting_iteratorImlEEZNS1_24adjacent_difference_implIS3_Lb1ELb0EPsSB_N6thrust23THRUST_200600_302600_NS4plusIsEEEE10hipError_tPvRmT2_T3_mT4_P12ihipStream_tbEUlmE_sEESB_NS0_8identityIvEEEESG_SJ_SK_mSL_SN_bEUlT_E_NS1_11comp_targetILNS1_3genE4ELNS1_11target_archE910ELNS1_3gpuE8ELNS1_3repE0EEENS1_30default_config_static_selectorELNS0_4arch9wavefront6targetE1EEEvT1_
	.p2align	8
	.type	_ZN7rocprim17ROCPRIM_400000_NS6detail17trampoline_kernelINS0_14default_configENS1_25transform_config_selectorIsLb0EEEZNS1_14transform_implILb0ES3_S5_NS0_18transform_iteratorINS0_17counting_iteratorImlEEZNS1_24adjacent_difference_implIS3_Lb1ELb0EPsSB_N6thrust23THRUST_200600_302600_NS4plusIsEEEE10hipError_tPvRmT2_T3_mT4_P12ihipStream_tbEUlmE_sEESB_NS0_8identityIvEEEESG_SJ_SK_mSL_SN_bEUlT_E_NS1_11comp_targetILNS1_3genE4ELNS1_11target_archE910ELNS1_3gpuE8ELNS1_3repE0EEENS1_30default_config_static_selectorELNS0_4arch9wavefront6targetE1EEEvT1_,@function
_ZN7rocprim17ROCPRIM_400000_NS6detail17trampoline_kernelINS0_14default_configENS1_25transform_config_selectorIsLb0EEEZNS1_14transform_implILb0ES3_S5_NS0_18transform_iteratorINS0_17counting_iteratorImlEEZNS1_24adjacent_difference_implIS3_Lb1ELb0EPsSB_N6thrust23THRUST_200600_302600_NS4plusIsEEEE10hipError_tPvRmT2_T3_mT4_P12ihipStream_tbEUlmE_sEESB_NS0_8identityIvEEEESG_SJ_SK_mSL_SN_bEUlT_E_NS1_11comp_targetILNS1_3genE4ELNS1_11target_archE910ELNS1_3gpuE8ELNS1_3repE0EEENS1_30default_config_static_selectorELNS0_4arch9wavefront6targetE1EEEvT1_: ; @_ZN7rocprim17ROCPRIM_400000_NS6detail17trampoline_kernelINS0_14default_configENS1_25transform_config_selectorIsLb0EEEZNS1_14transform_implILb0ES3_S5_NS0_18transform_iteratorINS0_17counting_iteratorImlEEZNS1_24adjacent_difference_implIS3_Lb1ELb0EPsSB_N6thrust23THRUST_200600_302600_NS4plusIsEEEE10hipError_tPvRmT2_T3_mT4_P12ihipStream_tbEUlmE_sEESB_NS0_8identityIvEEEESG_SJ_SK_mSL_SN_bEUlT_E_NS1_11comp_targetILNS1_3genE4ELNS1_11target_archE910ELNS1_3gpuE8ELNS1_3repE0EEENS1_30default_config_static_selectorELNS0_4arch9wavefront6targetE1EEEvT1_
; %bb.0:
	.section	.rodata,"a",@progbits
	.p2align	6, 0x0
	.amdhsa_kernel _ZN7rocprim17ROCPRIM_400000_NS6detail17trampoline_kernelINS0_14default_configENS1_25transform_config_selectorIsLb0EEEZNS1_14transform_implILb0ES3_S5_NS0_18transform_iteratorINS0_17counting_iteratorImlEEZNS1_24adjacent_difference_implIS3_Lb1ELb0EPsSB_N6thrust23THRUST_200600_302600_NS4plusIsEEEE10hipError_tPvRmT2_T3_mT4_P12ihipStream_tbEUlmE_sEESB_NS0_8identityIvEEEESG_SJ_SK_mSL_SN_bEUlT_E_NS1_11comp_targetILNS1_3genE4ELNS1_11target_archE910ELNS1_3gpuE8ELNS1_3repE0EEENS1_30default_config_static_selectorELNS0_4arch9wavefront6targetE1EEEvT1_
		.amdhsa_group_segment_fixed_size 0
		.amdhsa_private_segment_fixed_size 0
		.amdhsa_kernarg_size 56
		.amdhsa_user_sgpr_count 2
		.amdhsa_user_sgpr_dispatch_ptr 0
		.amdhsa_user_sgpr_queue_ptr 0
		.amdhsa_user_sgpr_kernarg_segment_ptr 1
		.amdhsa_user_sgpr_dispatch_id 0
		.amdhsa_user_sgpr_kernarg_preload_length 0
		.amdhsa_user_sgpr_kernarg_preload_offset 0
		.amdhsa_user_sgpr_private_segment_size 0
		.amdhsa_uses_dynamic_stack 0
		.amdhsa_enable_private_segment 0
		.amdhsa_system_sgpr_workgroup_id_x 1
		.amdhsa_system_sgpr_workgroup_id_y 0
		.amdhsa_system_sgpr_workgroup_id_z 0
		.amdhsa_system_sgpr_workgroup_info 0
		.amdhsa_system_vgpr_workitem_id 0
		.amdhsa_next_free_vgpr 1
		.amdhsa_next_free_sgpr 0
		.amdhsa_accum_offset 4
		.amdhsa_reserve_vcc 0
		.amdhsa_float_round_mode_32 0
		.amdhsa_float_round_mode_16_64 0
		.amdhsa_float_denorm_mode_32 3
		.amdhsa_float_denorm_mode_16_64 3
		.amdhsa_dx10_clamp 1
		.amdhsa_ieee_mode 1
		.amdhsa_fp16_overflow 0
		.amdhsa_tg_split 0
		.amdhsa_exception_fp_ieee_invalid_op 0
		.amdhsa_exception_fp_denorm_src 0
		.amdhsa_exception_fp_ieee_div_zero 0
		.amdhsa_exception_fp_ieee_overflow 0
		.amdhsa_exception_fp_ieee_underflow 0
		.amdhsa_exception_fp_ieee_inexact 0
		.amdhsa_exception_int_div_zero 0
	.end_amdhsa_kernel
	.section	.text._ZN7rocprim17ROCPRIM_400000_NS6detail17trampoline_kernelINS0_14default_configENS1_25transform_config_selectorIsLb0EEEZNS1_14transform_implILb0ES3_S5_NS0_18transform_iteratorINS0_17counting_iteratorImlEEZNS1_24adjacent_difference_implIS3_Lb1ELb0EPsSB_N6thrust23THRUST_200600_302600_NS4plusIsEEEE10hipError_tPvRmT2_T3_mT4_P12ihipStream_tbEUlmE_sEESB_NS0_8identityIvEEEESG_SJ_SK_mSL_SN_bEUlT_E_NS1_11comp_targetILNS1_3genE4ELNS1_11target_archE910ELNS1_3gpuE8ELNS1_3repE0EEENS1_30default_config_static_selectorELNS0_4arch9wavefront6targetE1EEEvT1_,"axG",@progbits,_ZN7rocprim17ROCPRIM_400000_NS6detail17trampoline_kernelINS0_14default_configENS1_25transform_config_selectorIsLb0EEEZNS1_14transform_implILb0ES3_S5_NS0_18transform_iteratorINS0_17counting_iteratorImlEEZNS1_24adjacent_difference_implIS3_Lb1ELb0EPsSB_N6thrust23THRUST_200600_302600_NS4plusIsEEEE10hipError_tPvRmT2_T3_mT4_P12ihipStream_tbEUlmE_sEESB_NS0_8identityIvEEEESG_SJ_SK_mSL_SN_bEUlT_E_NS1_11comp_targetILNS1_3genE4ELNS1_11target_archE910ELNS1_3gpuE8ELNS1_3repE0EEENS1_30default_config_static_selectorELNS0_4arch9wavefront6targetE1EEEvT1_,comdat
.Lfunc_end87:
	.size	_ZN7rocprim17ROCPRIM_400000_NS6detail17trampoline_kernelINS0_14default_configENS1_25transform_config_selectorIsLb0EEEZNS1_14transform_implILb0ES3_S5_NS0_18transform_iteratorINS0_17counting_iteratorImlEEZNS1_24adjacent_difference_implIS3_Lb1ELb0EPsSB_N6thrust23THRUST_200600_302600_NS4plusIsEEEE10hipError_tPvRmT2_T3_mT4_P12ihipStream_tbEUlmE_sEESB_NS0_8identityIvEEEESG_SJ_SK_mSL_SN_bEUlT_E_NS1_11comp_targetILNS1_3genE4ELNS1_11target_archE910ELNS1_3gpuE8ELNS1_3repE0EEENS1_30default_config_static_selectorELNS0_4arch9wavefront6targetE1EEEvT1_, .Lfunc_end87-_ZN7rocprim17ROCPRIM_400000_NS6detail17trampoline_kernelINS0_14default_configENS1_25transform_config_selectorIsLb0EEEZNS1_14transform_implILb0ES3_S5_NS0_18transform_iteratorINS0_17counting_iteratorImlEEZNS1_24adjacent_difference_implIS3_Lb1ELb0EPsSB_N6thrust23THRUST_200600_302600_NS4plusIsEEEE10hipError_tPvRmT2_T3_mT4_P12ihipStream_tbEUlmE_sEESB_NS0_8identityIvEEEESG_SJ_SK_mSL_SN_bEUlT_E_NS1_11comp_targetILNS1_3genE4ELNS1_11target_archE910ELNS1_3gpuE8ELNS1_3repE0EEENS1_30default_config_static_selectorELNS0_4arch9wavefront6targetE1EEEvT1_
                                        ; -- End function
	.section	.AMDGPU.csdata,"",@progbits
; Kernel info:
; codeLenInByte = 0
; NumSgprs: 6
; NumVgprs: 0
; NumAgprs: 0
; TotalNumVgprs: 0
; ScratchSize: 0
; MemoryBound: 0
; FloatMode: 240
; IeeeMode: 1
; LDSByteSize: 0 bytes/workgroup (compile time only)
; SGPRBlocks: 0
; VGPRBlocks: 0
; NumSGPRsForWavesPerEU: 6
; NumVGPRsForWavesPerEU: 1
; AccumOffset: 4
; Occupancy: 8
; WaveLimiterHint : 0
; COMPUTE_PGM_RSRC2:SCRATCH_EN: 0
; COMPUTE_PGM_RSRC2:USER_SGPR: 2
; COMPUTE_PGM_RSRC2:TRAP_HANDLER: 0
; COMPUTE_PGM_RSRC2:TGID_X_EN: 1
; COMPUTE_PGM_RSRC2:TGID_Y_EN: 0
; COMPUTE_PGM_RSRC2:TGID_Z_EN: 0
; COMPUTE_PGM_RSRC2:TIDIG_COMP_CNT: 0
; COMPUTE_PGM_RSRC3_GFX90A:ACCUM_OFFSET: 0
; COMPUTE_PGM_RSRC3_GFX90A:TG_SPLIT: 0
	.section	.text._ZN7rocprim17ROCPRIM_400000_NS6detail17trampoline_kernelINS0_14default_configENS1_25transform_config_selectorIsLb0EEEZNS1_14transform_implILb0ES3_S5_NS0_18transform_iteratorINS0_17counting_iteratorImlEEZNS1_24adjacent_difference_implIS3_Lb1ELb0EPsSB_N6thrust23THRUST_200600_302600_NS4plusIsEEEE10hipError_tPvRmT2_T3_mT4_P12ihipStream_tbEUlmE_sEESB_NS0_8identityIvEEEESG_SJ_SK_mSL_SN_bEUlT_E_NS1_11comp_targetILNS1_3genE3ELNS1_11target_archE908ELNS1_3gpuE7ELNS1_3repE0EEENS1_30default_config_static_selectorELNS0_4arch9wavefront6targetE1EEEvT1_,"axG",@progbits,_ZN7rocprim17ROCPRIM_400000_NS6detail17trampoline_kernelINS0_14default_configENS1_25transform_config_selectorIsLb0EEEZNS1_14transform_implILb0ES3_S5_NS0_18transform_iteratorINS0_17counting_iteratorImlEEZNS1_24adjacent_difference_implIS3_Lb1ELb0EPsSB_N6thrust23THRUST_200600_302600_NS4plusIsEEEE10hipError_tPvRmT2_T3_mT4_P12ihipStream_tbEUlmE_sEESB_NS0_8identityIvEEEESG_SJ_SK_mSL_SN_bEUlT_E_NS1_11comp_targetILNS1_3genE3ELNS1_11target_archE908ELNS1_3gpuE7ELNS1_3repE0EEENS1_30default_config_static_selectorELNS0_4arch9wavefront6targetE1EEEvT1_,comdat
	.protected	_ZN7rocprim17ROCPRIM_400000_NS6detail17trampoline_kernelINS0_14default_configENS1_25transform_config_selectorIsLb0EEEZNS1_14transform_implILb0ES3_S5_NS0_18transform_iteratorINS0_17counting_iteratorImlEEZNS1_24adjacent_difference_implIS3_Lb1ELb0EPsSB_N6thrust23THRUST_200600_302600_NS4plusIsEEEE10hipError_tPvRmT2_T3_mT4_P12ihipStream_tbEUlmE_sEESB_NS0_8identityIvEEEESG_SJ_SK_mSL_SN_bEUlT_E_NS1_11comp_targetILNS1_3genE3ELNS1_11target_archE908ELNS1_3gpuE7ELNS1_3repE0EEENS1_30default_config_static_selectorELNS0_4arch9wavefront6targetE1EEEvT1_ ; -- Begin function _ZN7rocprim17ROCPRIM_400000_NS6detail17trampoline_kernelINS0_14default_configENS1_25transform_config_selectorIsLb0EEEZNS1_14transform_implILb0ES3_S5_NS0_18transform_iteratorINS0_17counting_iteratorImlEEZNS1_24adjacent_difference_implIS3_Lb1ELb0EPsSB_N6thrust23THRUST_200600_302600_NS4plusIsEEEE10hipError_tPvRmT2_T3_mT4_P12ihipStream_tbEUlmE_sEESB_NS0_8identityIvEEEESG_SJ_SK_mSL_SN_bEUlT_E_NS1_11comp_targetILNS1_3genE3ELNS1_11target_archE908ELNS1_3gpuE7ELNS1_3repE0EEENS1_30default_config_static_selectorELNS0_4arch9wavefront6targetE1EEEvT1_
	.globl	_ZN7rocprim17ROCPRIM_400000_NS6detail17trampoline_kernelINS0_14default_configENS1_25transform_config_selectorIsLb0EEEZNS1_14transform_implILb0ES3_S5_NS0_18transform_iteratorINS0_17counting_iteratorImlEEZNS1_24adjacent_difference_implIS3_Lb1ELb0EPsSB_N6thrust23THRUST_200600_302600_NS4plusIsEEEE10hipError_tPvRmT2_T3_mT4_P12ihipStream_tbEUlmE_sEESB_NS0_8identityIvEEEESG_SJ_SK_mSL_SN_bEUlT_E_NS1_11comp_targetILNS1_3genE3ELNS1_11target_archE908ELNS1_3gpuE7ELNS1_3repE0EEENS1_30default_config_static_selectorELNS0_4arch9wavefront6targetE1EEEvT1_
	.p2align	8
	.type	_ZN7rocprim17ROCPRIM_400000_NS6detail17trampoline_kernelINS0_14default_configENS1_25transform_config_selectorIsLb0EEEZNS1_14transform_implILb0ES3_S5_NS0_18transform_iteratorINS0_17counting_iteratorImlEEZNS1_24adjacent_difference_implIS3_Lb1ELb0EPsSB_N6thrust23THRUST_200600_302600_NS4plusIsEEEE10hipError_tPvRmT2_T3_mT4_P12ihipStream_tbEUlmE_sEESB_NS0_8identityIvEEEESG_SJ_SK_mSL_SN_bEUlT_E_NS1_11comp_targetILNS1_3genE3ELNS1_11target_archE908ELNS1_3gpuE7ELNS1_3repE0EEENS1_30default_config_static_selectorELNS0_4arch9wavefront6targetE1EEEvT1_,@function
_ZN7rocprim17ROCPRIM_400000_NS6detail17trampoline_kernelINS0_14default_configENS1_25transform_config_selectorIsLb0EEEZNS1_14transform_implILb0ES3_S5_NS0_18transform_iteratorINS0_17counting_iteratorImlEEZNS1_24adjacent_difference_implIS3_Lb1ELb0EPsSB_N6thrust23THRUST_200600_302600_NS4plusIsEEEE10hipError_tPvRmT2_T3_mT4_P12ihipStream_tbEUlmE_sEESB_NS0_8identityIvEEEESG_SJ_SK_mSL_SN_bEUlT_E_NS1_11comp_targetILNS1_3genE3ELNS1_11target_archE908ELNS1_3gpuE7ELNS1_3repE0EEENS1_30default_config_static_selectorELNS0_4arch9wavefront6targetE1EEEvT1_: ; @_ZN7rocprim17ROCPRIM_400000_NS6detail17trampoline_kernelINS0_14default_configENS1_25transform_config_selectorIsLb0EEEZNS1_14transform_implILb0ES3_S5_NS0_18transform_iteratorINS0_17counting_iteratorImlEEZNS1_24adjacent_difference_implIS3_Lb1ELb0EPsSB_N6thrust23THRUST_200600_302600_NS4plusIsEEEE10hipError_tPvRmT2_T3_mT4_P12ihipStream_tbEUlmE_sEESB_NS0_8identityIvEEEESG_SJ_SK_mSL_SN_bEUlT_E_NS1_11comp_targetILNS1_3genE3ELNS1_11target_archE908ELNS1_3gpuE7ELNS1_3repE0EEENS1_30default_config_static_selectorELNS0_4arch9wavefront6targetE1EEEvT1_
; %bb.0:
	.section	.rodata,"a",@progbits
	.p2align	6, 0x0
	.amdhsa_kernel _ZN7rocprim17ROCPRIM_400000_NS6detail17trampoline_kernelINS0_14default_configENS1_25transform_config_selectorIsLb0EEEZNS1_14transform_implILb0ES3_S5_NS0_18transform_iteratorINS0_17counting_iteratorImlEEZNS1_24adjacent_difference_implIS3_Lb1ELb0EPsSB_N6thrust23THRUST_200600_302600_NS4plusIsEEEE10hipError_tPvRmT2_T3_mT4_P12ihipStream_tbEUlmE_sEESB_NS0_8identityIvEEEESG_SJ_SK_mSL_SN_bEUlT_E_NS1_11comp_targetILNS1_3genE3ELNS1_11target_archE908ELNS1_3gpuE7ELNS1_3repE0EEENS1_30default_config_static_selectorELNS0_4arch9wavefront6targetE1EEEvT1_
		.amdhsa_group_segment_fixed_size 0
		.amdhsa_private_segment_fixed_size 0
		.amdhsa_kernarg_size 56
		.amdhsa_user_sgpr_count 2
		.amdhsa_user_sgpr_dispatch_ptr 0
		.amdhsa_user_sgpr_queue_ptr 0
		.amdhsa_user_sgpr_kernarg_segment_ptr 1
		.amdhsa_user_sgpr_dispatch_id 0
		.amdhsa_user_sgpr_kernarg_preload_length 0
		.amdhsa_user_sgpr_kernarg_preload_offset 0
		.amdhsa_user_sgpr_private_segment_size 0
		.amdhsa_uses_dynamic_stack 0
		.amdhsa_enable_private_segment 0
		.amdhsa_system_sgpr_workgroup_id_x 1
		.amdhsa_system_sgpr_workgroup_id_y 0
		.amdhsa_system_sgpr_workgroup_id_z 0
		.amdhsa_system_sgpr_workgroup_info 0
		.amdhsa_system_vgpr_workitem_id 0
		.amdhsa_next_free_vgpr 1
		.amdhsa_next_free_sgpr 0
		.amdhsa_accum_offset 4
		.amdhsa_reserve_vcc 0
		.amdhsa_float_round_mode_32 0
		.amdhsa_float_round_mode_16_64 0
		.amdhsa_float_denorm_mode_32 3
		.amdhsa_float_denorm_mode_16_64 3
		.amdhsa_dx10_clamp 1
		.amdhsa_ieee_mode 1
		.amdhsa_fp16_overflow 0
		.amdhsa_tg_split 0
		.amdhsa_exception_fp_ieee_invalid_op 0
		.amdhsa_exception_fp_denorm_src 0
		.amdhsa_exception_fp_ieee_div_zero 0
		.amdhsa_exception_fp_ieee_overflow 0
		.amdhsa_exception_fp_ieee_underflow 0
		.amdhsa_exception_fp_ieee_inexact 0
		.amdhsa_exception_int_div_zero 0
	.end_amdhsa_kernel
	.section	.text._ZN7rocprim17ROCPRIM_400000_NS6detail17trampoline_kernelINS0_14default_configENS1_25transform_config_selectorIsLb0EEEZNS1_14transform_implILb0ES3_S5_NS0_18transform_iteratorINS0_17counting_iteratorImlEEZNS1_24adjacent_difference_implIS3_Lb1ELb0EPsSB_N6thrust23THRUST_200600_302600_NS4plusIsEEEE10hipError_tPvRmT2_T3_mT4_P12ihipStream_tbEUlmE_sEESB_NS0_8identityIvEEEESG_SJ_SK_mSL_SN_bEUlT_E_NS1_11comp_targetILNS1_3genE3ELNS1_11target_archE908ELNS1_3gpuE7ELNS1_3repE0EEENS1_30default_config_static_selectorELNS0_4arch9wavefront6targetE1EEEvT1_,"axG",@progbits,_ZN7rocprim17ROCPRIM_400000_NS6detail17trampoline_kernelINS0_14default_configENS1_25transform_config_selectorIsLb0EEEZNS1_14transform_implILb0ES3_S5_NS0_18transform_iteratorINS0_17counting_iteratorImlEEZNS1_24adjacent_difference_implIS3_Lb1ELb0EPsSB_N6thrust23THRUST_200600_302600_NS4plusIsEEEE10hipError_tPvRmT2_T3_mT4_P12ihipStream_tbEUlmE_sEESB_NS0_8identityIvEEEESG_SJ_SK_mSL_SN_bEUlT_E_NS1_11comp_targetILNS1_3genE3ELNS1_11target_archE908ELNS1_3gpuE7ELNS1_3repE0EEENS1_30default_config_static_selectorELNS0_4arch9wavefront6targetE1EEEvT1_,comdat
.Lfunc_end88:
	.size	_ZN7rocprim17ROCPRIM_400000_NS6detail17trampoline_kernelINS0_14default_configENS1_25transform_config_selectorIsLb0EEEZNS1_14transform_implILb0ES3_S5_NS0_18transform_iteratorINS0_17counting_iteratorImlEEZNS1_24adjacent_difference_implIS3_Lb1ELb0EPsSB_N6thrust23THRUST_200600_302600_NS4plusIsEEEE10hipError_tPvRmT2_T3_mT4_P12ihipStream_tbEUlmE_sEESB_NS0_8identityIvEEEESG_SJ_SK_mSL_SN_bEUlT_E_NS1_11comp_targetILNS1_3genE3ELNS1_11target_archE908ELNS1_3gpuE7ELNS1_3repE0EEENS1_30default_config_static_selectorELNS0_4arch9wavefront6targetE1EEEvT1_, .Lfunc_end88-_ZN7rocprim17ROCPRIM_400000_NS6detail17trampoline_kernelINS0_14default_configENS1_25transform_config_selectorIsLb0EEEZNS1_14transform_implILb0ES3_S5_NS0_18transform_iteratorINS0_17counting_iteratorImlEEZNS1_24adjacent_difference_implIS3_Lb1ELb0EPsSB_N6thrust23THRUST_200600_302600_NS4plusIsEEEE10hipError_tPvRmT2_T3_mT4_P12ihipStream_tbEUlmE_sEESB_NS0_8identityIvEEEESG_SJ_SK_mSL_SN_bEUlT_E_NS1_11comp_targetILNS1_3genE3ELNS1_11target_archE908ELNS1_3gpuE7ELNS1_3repE0EEENS1_30default_config_static_selectorELNS0_4arch9wavefront6targetE1EEEvT1_
                                        ; -- End function
	.section	.AMDGPU.csdata,"",@progbits
; Kernel info:
; codeLenInByte = 0
; NumSgprs: 6
; NumVgprs: 0
; NumAgprs: 0
; TotalNumVgprs: 0
; ScratchSize: 0
; MemoryBound: 0
; FloatMode: 240
; IeeeMode: 1
; LDSByteSize: 0 bytes/workgroup (compile time only)
; SGPRBlocks: 0
; VGPRBlocks: 0
; NumSGPRsForWavesPerEU: 6
; NumVGPRsForWavesPerEU: 1
; AccumOffset: 4
; Occupancy: 8
; WaveLimiterHint : 0
; COMPUTE_PGM_RSRC2:SCRATCH_EN: 0
; COMPUTE_PGM_RSRC2:USER_SGPR: 2
; COMPUTE_PGM_RSRC2:TRAP_HANDLER: 0
; COMPUTE_PGM_RSRC2:TGID_X_EN: 1
; COMPUTE_PGM_RSRC2:TGID_Y_EN: 0
; COMPUTE_PGM_RSRC2:TGID_Z_EN: 0
; COMPUTE_PGM_RSRC2:TIDIG_COMP_CNT: 0
; COMPUTE_PGM_RSRC3_GFX90A:ACCUM_OFFSET: 0
; COMPUTE_PGM_RSRC3_GFX90A:TG_SPLIT: 0
	.section	.text._ZN7rocprim17ROCPRIM_400000_NS6detail17trampoline_kernelINS0_14default_configENS1_25transform_config_selectorIsLb0EEEZNS1_14transform_implILb0ES3_S5_NS0_18transform_iteratorINS0_17counting_iteratorImlEEZNS1_24adjacent_difference_implIS3_Lb1ELb0EPsSB_N6thrust23THRUST_200600_302600_NS4plusIsEEEE10hipError_tPvRmT2_T3_mT4_P12ihipStream_tbEUlmE_sEESB_NS0_8identityIvEEEESG_SJ_SK_mSL_SN_bEUlT_E_NS1_11comp_targetILNS1_3genE2ELNS1_11target_archE906ELNS1_3gpuE6ELNS1_3repE0EEENS1_30default_config_static_selectorELNS0_4arch9wavefront6targetE1EEEvT1_,"axG",@progbits,_ZN7rocprim17ROCPRIM_400000_NS6detail17trampoline_kernelINS0_14default_configENS1_25transform_config_selectorIsLb0EEEZNS1_14transform_implILb0ES3_S5_NS0_18transform_iteratorINS0_17counting_iteratorImlEEZNS1_24adjacent_difference_implIS3_Lb1ELb0EPsSB_N6thrust23THRUST_200600_302600_NS4plusIsEEEE10hipError_tPvRmT2_T3_mT4_P12ihipStream_tbEUlmE_sEESB_NS0_8identityIvEEEESG_SJ_SK_mSL_SN_bEUlT_E_NS1_11comp_targetILNS1_3genE2ELNS1_11target_archE906ELNS1_3gpuE6ELNS1_3repE0EEENS1_30default_config_static_selectorELNS0_4arch9wavefront6targetE1EEEvT1_,comdat
	.protected	_ZN7rocprim17ROCPRIM_400000_NS6detail17trampoline_kernelINS0_14default_configENS1_25transform_config_selectorIsLb0EEEZNS1_14transform_implILb0ES3_S5_NS0_18transform_iteratorINS0_17counting_iteratorImlEEZNS1_24adjacent_difference_implIS3_Lb1ELb0EPsSB_N6thrust23THRUST_200600_302600_NS4plusIsEEEE10hipError_tPvRmT2_T3_mT4_P12ihipStream_tbEUlmE_sEESB_NS0_8identityIvEEEESG_SJ_SK_mSL_SN_bEUlT_E_NS1_11comp_targetILNS1_3genE2ELNS1_11target_archE906ELNS1_3gpuE6ELNS1_3repE0EEENS1_30default_config_static_selectorELNS0_4arch9wavefront6targetE1EEEvT1_ ; -- Begin function _ZN7rocprim17ROCPRIM_400000_NS6detail17trampoline_kernelINS0_14default_configENS1_25transform_config_selectorIsLb0EEEZNS1_14transform_implILb0ES3_S5_NS0_18transform_iteratorINS0_17counting_iteratorImlEEZNS1_24adjacent_difference_implIS3_Lb1ELb0EPsSB_N6thrust23THRUST_200600_302600_NS4plusIsEEEE10hipError_tPvRmT2_T3_mT4_P12ihipStream_tbEUlmE_sEESB_NS0_8identityIvEEEESG_SJ_SK_mSL_SN_bEUlT_E_NS1_11comp_targetILNS1_3genE2ELNS1_11target_archE906ELNS1_3gpuE6ELNS1_3repE0EEENS1_30default_config_static_selectorELNS0_4arch9wavefront6targetE1EEEvT1_
	.globl	_ZN7rocprim17ROCPRIM_400000_NS6detail17trampoline_kernelINS0_14default_configENS1_25transform_config_selectorIsLb0EEEZNS1_14transform_implILb0ES3_S5_NS0_18transform_iteratorINS0_17counting_iteratorImlEEZNS1_24adjacent_difference_implIS3_Lb1ELb0EPsSB_N6thrust23THRUST_200600_302600_NS4plusIsEEEE10hipError_tPvRmT2_T3_mT4_P12ihipStream_tbEUlmE_sEESB_NS0_8identityIvEEEESG_SJ_SK_mSL_SN_bEUlT_E_NS1_11comp_targetILNS1_3genE2ELNS1_11target_archE906ELNS1_3gpuE6ELNS1_3repE0EEENS1_30default_config_static_selectorELNS0_4arch9wavefront6targetE1EEEvT1_
	.p2align	8
	.type	_ZN7rocprim17ROCPRIM_400000_NS6detail17trampoline_kernelINS0_14default_configENS1_25transform_config_selectorIsLb0EEEZNS1_14transform_implILb0ES3_S5_NS0_18transform_iteratorINS0_17counting_iteratorImlEEZNS1_24adjacent_difference_implIS3_Lb1ELb0EPsSB_N6thrust23THRUST_200600_302600_NS4plusIsEEEE10hipError_tPvRmT2_T3_mT4_P12ihipStream_tbEUlmE_sEESB_NS0_8identityIvEEEESG_SJ_SK_mSL_SN_bEUlT_E_NS1_11comp_targetILNS1_3genE2ELNS1_11target_archE906ELNS1_3gpuE6ELNS1_3repE0EEENS1_30default_config_static_selectorELNS0_4arch9wavefront6targetE1EEEvT1_,@function
_ZN7rocprim17ROCPRIM_400000_NS6detail17trampoline_kernelINS0_14default_configENS1_25transform_config_selectorIsLb0EEEZNS1_14transform_implILb0ES3_S5_NS0_18transform_iteratorINS0_17counting_iteratorImlEEZNS1_24adjacent_difference_implIS3_Lb1ELb0EPsSB_N6thrust23THRUST_200600_302600_NS4plusIsEEEE10hipError_tPvRmT2_T3_mT4_P12ihipStream_tbEUlmE_sEESB_NS0_8identityIvEEEESG_SJ_SK_mSL_SN_bEUlT_E_NS1_11comp_targetILNS1_3genE2ELNS1_11target_archE906ELNS1_3gpuE6ELNS1_3repE0EEENS1_30default_config_static_selectorELNS0_4arch9wavefront6targetE1EEEvT1_: ; @_ZN7rocprim17ROCPRIM_400000_NS6detail17trampoline_kernelINS0_14default_configENS1_25transform_config_selectorIsLb0EEEZNS1_14transform_implILb0ES3_S5_NS0_18transform_iteratorINS0_17counting_iteratorImlEEZNS1_24adjacent_difference_implIS3_Lb1ELb0EPsSB_N6thrust23THRUST_200600_302600_NS4plusIsEEEE10hipError_tPvRmT2_T3_mT4_P12ihipStream_tbEUlmE_sEESB_NS0_8identityIvEEEESG_SJ_SK_mSL_SN_bEUlT_E_NS1_11comp_targetILNS1_3genE2ELNS1_11target_archE906ELNS1_3gpuE6ELNS1_3repE0EEENS1_30default_config_static_selectorELNS0_4arch9wavefront6targetE1EEEvT1_
; %bb.0:
	.section	.rodata,"a",@progbits
	.p2align	6, 0x0
	.amdhsa_kernel _ZN7rocprim17ROCPRIM_400000_NS6detail17trampoline_kernelINS0_14default_configENS1_25transform_config_selectorIsLb0EEEZNS1_14transform_implILb0ES3_S5_NS0_18transform_iteratorINS0_17counting_iteratorImlEEZNS1_24adjacent_difference_implIS3_Lb1ELb0EPsSB_N6thrust23THRUST_200600_302600_NS4plusIsEEEE10hipError_tPvRmT2_T3_mT4_P12ihipStream_tbEUlmE_sEESB_NS0_8identityIvEEEESG_SJ_SK_mSL_SN_bEUlT_E_NS1_11comp_targetILNS1_3genE2ELNS1_11target_archE906ELNS1_3gpuE6ELNS1_3repE0EEENS1_30default_config_static_selectorELNS0_4arch9wavefront6targetE1EEEvT1_
		.amdhsa_group_segment_fixed_size 0
		.amdhsa_private_segment_fixed_size 0
		.amdhsa_kernarg_size 56
		.amdhsa_user_sgpr_count 2
		.amdhsa_user_sgpr_dispatch_ptr 0
		.amdhsa_user_sgpr_queue_ptr 0
		.amdhsa_user_sgpr_kernarg_segment_ptr 1
		.amdhsa_user_sgpr_dispatch_id 0
		.amdhsa_user_sgpr_kernarg_preload_length 0
		.amdhsa_user_sgpr_kernarg_preload_offset 0
		.amdhsa_user_sgpr_private_segment_size 0
		.amdhsa_uses_dynamic_stack 0
		.amdhsa_enable_private_segment 0
		.amdhsa_system_sgpr_workgroup_id_x 1
		.amdhsa_system_sgpr_workgroup_id_y 0
		.amdhsa_system_sgpr_workgroup_id_z 0
		.amdhsa_system_sgpr_workgroup_info 0
		.amdhsa_system_vgpr_workitem_id 0
		.amdhsa_next_free_vgpr 1
		.amdhsa_next_free_sgpr 0
		.amdhsa_accum_offset 4
		.amdhsa_reserve_vcc 0
		.amdhsa_float_round_mode_32 0
		.amdhsa_float_round_mode_16_64 0
		.amdhsa_float_denorm_mode_32 3
		.amdhsa_float_denorm_mode_16_64 3
		.amdhsa_dx10_clamp 1
		.amdhsa_ieee_mode 1
		.amdhsa_fp16_overflow 0
		.amdhsa_tg_split 0
		.amdhsa_exception_fp_ieee_invalid_op 0
		.amdhsa_exception_fp_denorm_src 0
		.amdhsa_exception_fp_ieee_div_zero 0
		.amdhsa_exception_fp_ieee_overflow 0
		.amdhsa_exception_fp_ieee_underflow 0
		.amdhsa_exception_fp_ieee_inexact 0
		.amdhsa_exception_int_div_zero 0
	.end_amdhsa_kernel
	.section	.text._ZN7rocprim17ROCPRIM_400000_NS6detail17trampoline_kernelINS0_14default_configENS1_25transform_config_selectorIsLb0EEEZNS1_14transform_implILb0ES3_S5_NS0_18transform_iteratorINS0_17counting_iteratorImlEEZNS1_24adjacent_difference_implIS3_Lb1ELb0EPsSB_N6thrust23THRUST_200600_302600_NS4plusIsEEEE10hipError_tPvRmT2_T3_mT4_P12ihipStream_tbEUlmE_sEESB_NS0_8identityIvEEEESG_SJ_SK_mSL_SN_bEUlT_E_NS1_11comp_targetILNS1_3genE2ELNS1_11target_archE906ELNS1_3gpuE6ELNS1_3repE0EEENS1_30default_config_static_selectorELNS0_4arch9wavefront6targetE1EEEvT1_,"axG",@progbits,_ZN7rocprim17ROCPRIM_400000_NS6detail17trampoline_kernelINS0_14default_configENS1_25transform_config_selectorIsLb0EEEZNS1_14transform_implILb0ES3_S5_NS0_18transform_iteratorINS0_17counting_iteratorImlEEZNS1_24adjacent_difference_implIS3_Lb1ELb0EPsSB_N6thrust23THRUST_200600_302600_NS4plusIsEEEE10hipError_tPvRmT2_T3_mT4_P12ihipStream_tbEUlmE_sEESB_NS0_8identityIvEEEESG_SJ_SK_mSL_SN_bEUlT_E_NS1_11comp_targetILNS1_3genE2ELNS1_11target_archE906ELNS1_3gpuE6ELNS1_3repE0EEENS1_30default_config_static_selectorELNS0_4arch9wavefront6targetE1EEEvT1_,comdat
.Lfunc_end89:
	.size	_ZN7rocprim17ROCPRIM_400000_NS6detail17trampoline_kernelINS0_14default_configENS1_25transform_config_selectorIsLb0EEEZNS1_14transform_implILb0ES3_S5_NS0_18transform_iteratorINS0_17counting_iteratorImlEEZNS1_24adjacent_difference_implIS3_Lb1ELb0EPsSB_N6thrust23THRUST_200600_302600_NS4plusIsEEEE10hipError_tPvRmT2_T3_mT4_P12ihipStream_tbEUlmE_sEESB_NS0_8identityIvEEEESG_SJ_SK_mSL_SN_bEUlT_E_NS1_11comp_targetILNS1_3genE2ELNS1_11target_archE906ELNS1_3gpuE6ELNS1_3repE0EEENS1_30default_config_static_selectorELNS0_4arch9wavefront6targetE1EEEvT1_, .Lfunc_end89-_ZN7rocprim17ROCPRIM_400000_NS6detail17trampoline_kernelINS0_14default_configENS1_25transform_config_selectorIsLb0EEEZNS1_14transform_implILb0ES3_S5_NS0_18transform_iteratorINS0_17counting_iteratorImlEEZNS1_24adjacent_difference_implIS3_Lb1ELb0EPsSB_N6thrust23THRUST_200600_302600_NS4plusIsEEEE10hipError_tPvRmT2_T3_mT4_P12ihipStream_tbEUlmE_sEESB_NS0_8identityIvEEEESG_SJ_SK_mSL_SN_bEUlT_E_NS1_11comp_targetILNS1_3genE2ELNS1_11target_archE906ELNS1_3gpuE6ELNS1_3repE0EEENS1_30default_config_static_selectorELNS0_4arch9wavefront6targetE1EEEvT1_
                                        ; -- End function
	.section	.AMDGPU.csdata,"",@progbits
; Kernel info:
; codeLenInByte = 0
; NumSgprs: 6
; NumVgprs: 0
; NumAgprs: 0
; TotalNumVgprs: 0
; ScratchSize: 0
; MemoryBound: 0
; FloatMode: 240
; IeeeMode: 1
; LDSByteSize: 0 bytes/workgroup (compile time only)
; SGPRBlocks: 0
; VGPRBlocks: 0
; NumSGPRsForWavesPerEU: 6
; NumVGPRsForWavesPerEU: 1
; AccumOffset: 4
; Occupancy: 8
; WaveLimiterHint : 0
; COMPUTE_PGM_RSRC2:SCRATCH_EN: 0
; COMPUTE_PGM_RSRC2:USER_SGPR: 2
; COMPUTE_PGM_RSRC2:TRAP_HANDLER: 0
; COMPUTE_PGM_RSRC2:TGID_X_EN: 1
; COMPUTE_PGM_RSRC2:TGID_Y_EN: 0
; COMPUTE_PGM_RSRC2:TGID_Z_EN: 0
; COMPUTE_PGM_RSRC2:TIDIG_COMP_CNT: 0
; COMPUTE_PGM_RSRC3_GFX90A:ACCUM_OFFSET: 0
; COMPUTE_PGM_RSRC3_GFX90A:TG_SPLIT: 0
	.section	.text._ZN7rocprim17ROCPRIM_400000_NS6detail17trampoline_kernelINS0_14default_configENS1_25transform_config_selectorIsLb0EEEZNS1_14transform_implILb0ES3_S5_NS0_18transform_iteratorINS0_17counting_iteratorImlEEZNS1_24adjacent_difference_implIS3_Lb1ELb0EPsSB_N6thrust23THRUST_200600_302600_NS4plusIsEEEE10hipError_tPvRmT2_T3_mT4_P12ihipStream_tbEUlmE_sEESB_NS0_8identityIvEEEESG_SJ_SK_mSL_SN_bEUlT_E_NS1_11comp_targetILNS1_3genE10ELNS1_11target_archE1201ELNS1_3gpuE5ELNS1_3repE0EEENS1_30default_config_static_selectorELNS0_4arch9wavefront6targetE1EEEvT1_,"axG",@progbits,_ZN7rocprim17ROCPRIM_400000_NS6detail17trampoline_kernelINS0_14default_configENS1_25transform_config_selectorIsLb0EEEZNS1_14transform_implILb0ES3_S5_NS0_18transform_iteratorINS0_17counting_iteratorImlEEZNS1_24adjacent_difference_implIS3_Lb1ELb0EPsSB_N6thrust23THRUST_200600_302600_NS4plusIsEEEE10hipError_tPvRmT2_T3_mT4_P12ihipStream_tbEUlmE_sEESB_NS0_8identityIvEEEESG_SJ_SK_mSL_SN_bEUlT_E_NS1_11comp_targetILNS1_3genE10ELNS1_11target_archE1201ELNS1_3gpuE5ELNS1_3repE0EEENS1_30default_config_static_selectorELNS0_4arch9wavefront6targetE1EEEvT1_,comdat
	.protected	_ZN7rocprim17ROCPRIM_400000_NS6detail17trampoline_kernelINS0_14default_configENS1_25transform_config_selectorIsLb0EEEZNS1_14transform_implILb0ES3_S5_NS0_18transform_iteratorINS0_17counting_iteratorImlEEZNS1_24adjacent_difference_implIS3_Lb1ELb0EPsSB_N6thrust23THRUST_200600_302600_NS4plusIsEEEE10hipError_tPvRmT2_T3_mT4_P12ihipStream_tbEUlmE_sEESB_NS0_8identityIvEEEESG_SJ_SK_mSL_SN_bEUlT_E_NS1_11comp_targetILNS1_3genE10ELNS1_11target_archE1201ELNS1_3gpuE5ELNS1_3repE0EEENS1_30default_config_static_selectorELNS0_4arch9wavefront6targetE1EEEvT1_ ; -- Begin function _ZN7rocprim17ROCPRIM_400000_NS6detail17trampoline_kernelINS0_14default_configENS1_25transform_config_selectorIsLb0EEEZNS1_14transform_implILb0ES3_S5_NS0_18transform_iteratorINS0_17counting_iteratorImlEEZNS1_24adjacent_difference_implIS3_Lb1ELb0EPsSB_N6thrust23THRUST_200600_302600_NS4plusIsEEEE10hipError_tPvRmT2_T3_mT4_P12ihipStream_tbEUlmE_sEESB_NS0_8identityIvEEEESG_SJ_SK_mSL_SN_bEUlT_E_NS1_11comp_targetILNS1_3genE10ELNS1_11target_archE1201ELNS1_3gpuE5ELNS1_3repE0EEENS1_30default_config_static_selectorELNS0_4arch9wavefront6targetE1EEEvT1_
	.globl	_ZN7rocprim17ROCPRIM_400000_NS6detail17trampoline_kernelINS0_14default_configENS1_25transform_config_selectorIsLb0EEEZNS1_14transform_implILb0ES3_S5_NS0_18transform_iteratorINS0_17counting_iteratorImlEEZNS1_24adjacent_difference_implIS3_Lb1ELb0EPsSB_N6thrust23THRUST_200600_302600_NS4plusIsEEEE10hipError_tPvRmT2_T3_mT4_P12ihipStream_tbEUlmE_sEESB_NS0_8identityIvEEEESG_SJ_SK_mSL_SN_bEUlT_E_NS1_11comp_targetILNS1_3genE10ELNS1_11target_archE1201ELNS1_3gpuE5ELNS1_3repE0EEENS1_30default_config_static_selectorELNS0_4arch9wavefront6targetE1EEEvT1_
	.p2align	8
	.type	_ZN7rocprim17ROCPRIM_400000_NS6detail17trampoline_kernelINS0_14default_configENS1_25transform_config_selectorIsLb0EEEZNS1_14transform_implILb0ES3_S5_NS0_18transform_iteratorINS0_17counting_iteratorImlEEZNS1_24adjacent_difference_implIS3_Lb1ELb0EPsSB_N6thrust23THRUST_200600_302600_NS4plusIsEEEE10hipError_tPvRmT2_T3_mT4_P12ihipStream_tbEUlmE_sEESB_NS0_8identityIvEEEESG_SJ_SK_mSL_SN_bEUlT_E_NS1_11comp_targetILNS1_3genE10ELNS1_11target_archE1201ELNS1_3gpuE5ELNS1_3repE0EEENS1_30default_config_static_selectorELNS0_4arch9wavefront6targetE1EEEvT1_,@function
_ZN7rocprim17ROCPRIM_400000_NS6detail17trampoline_kernelINS0_14default_configENS1_25transform_config_selectorIsLb0EEEZNS1_14transform_implILb0ES3_S5_NS0_18transform_iteratorINS0_17counting_iteratorImlEEZNS1_24adjacent_difference_implIS3_Lb1ELb0EPsSB_N6thrust23THRUST_200600_302600_NS4plusIsEEEE10hipError_tPvRmT2_T3_mT4_P12ihipStream_tbEUlmE_sEESB_NS0_8identityIvEEEESG_SJ_SK_mSL_SN_bEUlT_E_NS1_11comp_targetILNS1_3genE10ELNS1_11target_archE1201ELNS1_3gpuE5ELNS1_3repE0EEENS1_30default_config_static_selectorELNS0_4arch9wavefront6targetE1EEEvT1_: ; @_ZN7rocprim17ROCPRIM_400000_NS6detail17trampoline_kernelINS0_14default_configENS1_25transform_config_selectorIsLb0EEEZNS1_14transform_implILb0ES3_S5_NS0_18transform_iteratorINS0_17counting_iteratorImlEEZNS1_24adjacent_difference_implIS3_Lb1ELb0EPsSB_N6thrust23THRUST_200600_302600_NS4plusIsEEEE10hipError_tPvRmT2_T3_mT4_P12ihipStream_tbEUlmE_sEESB_NS0_8identityIvEEEESG_SJ_SK_mSL_SN_bEUlT_E_NS1_11comp_targetILNS1_3genE10ELNS1_11target_archE1201ELNS1_3gpuE5ELNS1_3repE0EEENS1_30default_config_static_selectorELNS0_4arch9wavefront6targetE1EEEvT1_
; %bb.0:
	.section	.rodata,"a",@progbits
	.p2align	6, 0x0
	.amdhsa_kernel _ZN7rocprim17ROCPRIM_400000_NS6detail17trampoline_kernelINS0_14default_configENS1_25transform_config_selectorIsLb0EEEZNS1_14transform_implILb0ES3_S5_NS0_18transform_iteratorINS0_17counting_iteratorImlEEZNS1_24adjacent_difference_implIS3_Lb1ELb0EPsSB_N6thrust23THRUST_200600_302600_NS4plusIsEEEE10hipError_tPvRmT2_T3_mT4_P12ihipStream_tbEUlmE_sEESB_NS0_8identityIvEEEESG_SJ_SK_mSL_SN_bEUlT_E_NS1_11comp_targetILNS1_3genE10ELNS1_11target_archE1201ELNS1_3gpuE5ELNS1_3repE0EEENS1_30default_config_static_selectorELNS0_4arch9wavefront6targetE1EEEvT1_
		.amdhsa_group_segment_fixed_size 0
		.amdhsa_private_segment_fixed_size 0
		.amdhsa_kernarg_size 56
		.amdhsa_user_sgpr_count 2
		.amdhsa_user_sgpr_dispatch_ptr 0
		.amdhsa_user_sgpr_queue_ptr 0
		.amdhsa_user_sgpr_kernarg_segment_ptr 1
		.amdhsa_user_sgpr_dispatch_id 0
		.amdhsa_user_sgpr_kernarg_preload_length 0
		.amdhsa_user_sgpr_kernarg_preload_offset 0
		.amdhsa_user_sgpr_private_segment_size 0
		.amdhsa_uses_dynamic_stack 0
		.amdhsa_enable_private_segment 0
		.amdhsa_system_sgpr_workgroup_id_x 1
		.amdhsa_system_sgpr_workgroup_id_y 0
		.amdhsa_system_sgpr_workgroup_id_z 0
		.amdhsa_system_sgpr_workgroup_info 0
		.amdhsa_system_vgpr_workitem_id 0
		.amdhsa_next_free_vgpr 1
		.amdhsa_next_free_sgpr 0
		.amdhsa_accum_offset 4
		.amdhsa_reserve_vcc 0
		.amdhsa_float_round_mode_32 0
		.amdhsa_float_round_mode_16_64 0
		.amdhsa_float_denorm_mode_32 3
		.amdhsa_float_denorm_mode_16_64 3
		.amdhsa_dx10_clamp 1
		.amdhsa_ieee_mode 1
		.amdhsa_fp16_overflow 0
		.amdhsa_tg_split 0
		.amdhsa_exception_fp_ieee_invalid_op 0
		.amdhsa_exception_fp_denorm_src 0
		.amdhsa_exception_fp_ieee_div_zero 0
		.amdhsa_exception_fp_ieee_overflow 0
		.amdhsa_exception_fp_ieee_underflow 0
		.amdhsa_exception_fp_ieee_inexact 0
		.amdhsa_exception_int_div_zero 0
	.end_amdhsa_kernel
	.section	.text._ZN7rocprim17ROCPRIM_400000_NS6detail17trampoline_kernelINS0_14default_configENS1_25transform_config_selectorIsLb0EEEZNS1_14transform_implILb0ES3_S5_NS0_18transform_iteratorINS0_17counting_iteratorImlEEZNS1_24adjacent_difference_implIS3_Lb1ELb0EPsSB_N6thrust23THRUST_200600_302600_NS4plusIsEEEE10hipError_tPvRmT2_T3_mT4_P12ihipStream_tbEUlmE_sEESB_NS0_8identityIvEEEESG_SJ_SK_mSL_SN_bEUlT_E_NS1_11comp_targetILNS1_3genE10ELNS1_11target_archE1201ELNS1_3gpuE5ELNS1_3repE0EEENS1_30default_config_static_selectorELNS0_4arch9wavefront6targetE1EEEvT1_,"axG",@progbits,_ZN7rocprim17ROCPRIM_400000_NS6detail17trampoline_kernelINS0_14default_configENS1_25transform_config_selectorIsLb0EEEZNS1_14transform_implILb0ES3_S5_NS0_18transform_iteratorINS0_17counting_iteratorImlEEZNS1_24adjacent_difference_implIS3_Lb1ELb0EPsSB_N6thrust23THRUST_200600_302600_NS4plusIsEEEE10hipError_tPvRmT2_T3_mT4_P12ihipStream_tbEUlmE_sEESB_NS0_8identityIvEEEESG_SJ_SK_mSL_SN_bEUlT_E_NS1_11comp_targetILNS1_3genE10ELNS1_11target_archE1201ELNS1_3gpuE5ELNS1_3repE0EEENS1_30default_config_static_selectorELNS0_4arch9wavefront6targetE1EEEvT1_,comdat
.Lfunc_end90:
	.size	_ZN7rocprim17ROCPRIM_400000_NS6detail17trampoline_kernelINS0_14default_configENS1_25transform_config_selectorIsLb0EEEZNS1_14transform_implILb0ES3_S5_NS0_18transform_iteratorINS0_17counting_iteratorImlEEZNS1_24adjacent_difference_implIS3_Lb1ELb0EPsSB_N6thrust23THRUST_200600_302600_NS4plusIsEEEE10hipError_tPvRmT2_T3_mT4_P12ihipStream_tbEUlmE_sEESB_NS0_8identityIvEEEESG_SJ_SK_mSL_SN_bEUlT_E_NS1_11comp_targetILNS1_3genE10ELNS1_11target_archE1201ELNS1_3gpuE5ELNS1_3repE0EEENS1_30default_config_static_selectorELNS0_4arch9wavefront6targetE1EEEvT1_, .Lfunc_end90-_ZN7rocprim17ROCPRIM_400000_NS6detail17trampoline_kernelINS0_14default_configENS1_25transform_config_selectorIsLb0EEEZNS1_14transform_implILb0ES3_S5_NS0_18transform_iteratorINS0_17counting_iteratorImlEEZNS1_24adjacent_difference_implIS3_Lb1ELb0EPsSB_N6thrust23THRUST_200600_302600_NS4plusIsEEEE10hipError_tPvRmT2_T3_mT4_P12ihipStream_tbEUlmE_sEESB_NS0_8identityIvEEEESG_SJ_SK_mSL_SN_bEUlT_E_NS1_11comp_targetILNS1_3genE10ELNS1_11target_archE1201ELNS1_3gpuE5ELNS1_3repE0EEENS1_30default_config_static_selectorELNS0_4arch9wavefront6targetE1EEEvT1_
                                        ; -- End function
	.section	.AMDGPU.csdata,"",@progbits
; Kernel info:
; codeLenInByte = 0
; NumSgprs: 6
; NumVgprs: 0
; NumAgprs: 0
; TotalNumVgprs: 0
; ScratchSize: 0
; MemoryBound: 0
; FloatMode: 240
; IeeeMode: 1
; LDSByteSize: 0 bytes/workgroup (compile time only)
; SGPRBlocks: 0
; VGPRBlocks: 0
; NumSGPRsForWavesPerEU: 6
; NumVGPRsForWavesPerEU: 1
; AccumOffset: 4
; Occupancy: 8
; WaveLimiterHint : 0
; COMPUTE_PGM_RSRC2:SCRATCH_EN: 0
; COMPUTE_PGM_RSRC2:USER_SGPR: 2
; COMPUTE_PGM_RSRC2:TRAP_HANDLER: 0
; COMPUTE_PGM_RSRC2:TGID_X_EN: 1
; COMPUTE_PGM_RSRC2:TGID_Y_EN: 0
; COMPUTE_PGM_RSRC2:TGID_Z_EN: 0
; COMPUTE_PGM_RSRC2:TIDIG_COMP_CNT: 0
; COMPUTE_PGM_RSRC3_GFX90A:ACCUM_OFFSET: 0
; COMPUTE_PGM_RSRC3_GFX90A:TG_SPLIT: 0
	.section	.text._ZN7rocprim17ROCPRIM_400000_NS6detail17trampoline_kernelINS0_14default_configENS1_25transform_config_selectorIsLb0EEEZNS1_14transform_implILb0ES3_S5_NS0_18transform_iteratorINS0_17counting_iteratorImlEEZNS1_24adjacent_difference_implIS3_Lb1ELb0EPsSB_N6thrust23THRUST_200600_302600_NS4plusIsEEEE10hipError_tPvRmT2_T3_mT4_P12ihipStream_tbEUlmE_sEESB_NS0_8identityIvEEEESG_SJ_SK_mSL_SN_bEUlT_E_NS1_11comp_targetILNS1_3genE10ELNS1_11target_archE1200ELNS1_3gpuE4ELNS1_3repE0EEENS1_30default_config_static_selectorELNS0_4arch9wavefront6targetE1EEEvT1_,"axG",@progbits,_ZN7rocprim17ROCPRIM_400000_NS6detail17trampoline_kernelINS0_14default_configENS1_25transform_config_selectorIsLb0EEEZNS1_14transform_implILb0ES3_S5_NS0_18transform_iteratorINS0_17counting_iteratorImlEEZNS1_24adjacent_difference_implIS3_Lb1ELb0EPsSB_N6thrust23THRUST_200600_302600_NS4plusIsEEEE10hipError_tPvRmT2_T3_mT4_P12ihipStream_tbEUlmE_sEESB_NS0_8identityIvEEEESG_SJ_SK_mSL_SN_bEUlT_E_NS1_11comp_targetILNS1_3genE10ELNS1_11target_archE1200ELNS1_3gpuE4ELNS1_3repE0EEENS1_30default_config_static_selectorELNS0_4arch9wavefront6targetE1EEEvT1_,comdat
	.protected	_ZN7rocprim17ROCPRIM_400000_NS6detail17trampoline_kernelINS0_14default_configENS1_25transform_config_selectorIsLb0EEEZNS1_14transform_implILb0ES3_S5_NS0_18transform_iteratorINS0_17counting_iteratorImlEEZNS1_24adjacent_difference_implIS3_Lb1ELb0EPsSB_N6thrust23THRUST_200600_302600_NS4plusIsEEEE10hipError_tPvRmT2_T3_mT4_P12ihipStream_tbEUlmE_sEESB_NS0_8identityIvEEEESG_SJ_SK_mSL_SN_bEUlT_E_NS1_11comp_targetILNS1_3genE10ELNS1_11target_archE1200ELNS1_3gpuE4ELNS1_3repE0EEENS1_30default_config_static_selectorELNS0_4arch9wavefront6targetE1EEEvT1_ ; -- Begin function _ZN7rocprim17ROCPRIM_400000_NS6detail17trampoline_kernelINS0_14default_configENS1_25transform_config_selectorIsLb0EEEZNS1_14transform_implILb0ES3_S5_NS0_18transform_iteratorINS0_17counting_iteratorImlEEZNS1_24adjacent_difference_implIS3_Lb1ELb0EPsSB_N6thrust23THRUST_200600_302600_NS4plusIsEEEE10hipError_tPvRmT2_T3_mT4_P12ihipStream_tbEUlmE_sEESB_NS0_8identityIvEEEESG_SJ_SK_mSL_SN_bEUlT_E_NS1_11comp_targetILNS1_3genE10ELNS1_11target_archE1200ELNS1_3gpuE4ELNS1_3repE0EEENS1_30default_config_static_selectorELNS0_4arch9wavefront6targetE1EEEvT1_
	.globl	_ZN7rocprim17ROCPRIM_400000_NS6detail17trampoline_kernelINS0_14default_configENS1_25transform_config_selectorIsLb0EEEZNS1_14transform_implILb0ES3_S5_NS0_18transform_iteratorINS0_17counting_iteratorImlEEZNS1_24adjacent_difference_implIS3_Lb1ELb0EPsSB_N6thrust23THRUST_200600_302600_NS4plusIsEEEE10hipError_tPvRmT2_T3_mT4_P12ihipStream_tbEUlmE_sEESB_NS0_8identityIvEEEESG_SJ_SK_mSL_SN_bEUlT_E_NS1_11comp_targetILNS1_3genE10ELNS1_11target_archE1200ELNS1_3gpuE4ELNS1_3repE0EEENS1_30default_config_static_selectorELNS0_4arch9wavefront6targetE1EEEvT1_
	.p2align	8
	.type	_ZN7rocprim17ROCPRIM_400000_NS6detail17trampoline_kernelINS0_14default_configENS1_25transform_config_selectorIsLb0EEEZNS1_14transform_implILb0ES3_S5_NS0_18transform_iteratorINS0_17counting_iteratorImlEEZNS1_24adjacent_difference_implIS3_Lb1ELb0EPsSB_N6thrust23THRUST_200600_302600_NS4plusIsEEEE10hipError_tPvRmT2_T3_mT4_P12ihipStream_tbEUlmE_sEESB_NS0_8identityIvEEEESG_SJ_SK_mSL_SN_bEUlT_E_NS1_11comp_targetILNS1_3genE10ELNS1_11target_archE1200ELNS1_3gpuE4ELNS1_3repE0EEENS1_30default_config_static_selectorELNS0_4arch9wavefront6targetE1EEEvT1_,@function
_ZN7rocprim17ROCPRIM_400000_NS6detail17trampoline_kernelINS0_14default_configENS1_25transform_config_selectorIsLb0EEEZNS1_14transform_implILb0ES3_S5_NS0_18transform_iteratorINS0_17counting_iteratorImlEEZNS1_24adjacent_difference_implIS3_Lb1ELb0EPsSB_N6thrust23THRUST_200600_302600_NS4plusIsEEEE10hipError_tPvRmT2_T3_mT4_P12ihipStream_tbEUlmE_sEESB_NS0_8identityIvEEEESG_SJ_SK_mSL_SN_bEUlT_E_NS1_11comp_targetILNS1_3genE10ELNS1_11target_archE1200ELNS1_3gpuE4ELNS1_3repE0EEENS1_30default_config_static_selectorELNS0_4arch9wavefront6targetE1EEEvT1_: ; @_ZN7rocprim17ROCPRIM_400000_NS6detail17trampoline_kernelINS0_14default_configENS1_25transform_config_selectorIsLb0EEEZNS1_14transform_implILb0ES3_S5_NS0_18transform_iteratorINS0_17counting_iteratorImlEEZNS1_24adjacent_difference_implIS3_Lb1ELb0EPsSB_N6thrust23THRUST_200600_302600_NS4plusIsEEEE10hipError_tPvRmT2_T3_mT4_P12ihipStream_tbEUlmE_sEESB_NS0_8identityIvEEEESG_SJ_SK_mSL_SN_bEUlT_E_NS1_11comp_targetILNS1_3genE10ELNS1_11target_archE1200ELNS1_3gpuE4ELNS1_3repE0EEENS1_30default_config_static_selectorELNS0_4arch9wavefront6targetE1EEEvT1_
; %bb.0:
	.section	.rodata,"a",@progbits
	.p2align	6, 0x0
	.amdhsa_kernel _ZN7rocprim17ROCPRIM_400000_NS6detail17trampoline_kernelINS0_14default_configENS1_25transform_config_selectorIsLb0EEEZNS1_14transform_implILb0ES3_S5_NS0_18transform_iteratorINS0_17counting_iteratorImlEEZNS1_24adjacent_difference_implIS3_Lb1ELb0EPsSB_N6thrust23THRUST_200600_302600_NS4plusIsEEEE10hipError_tPvRmT2_T3_mT4_P12ihipStream_tbEUlmE_sEESB_NS0_8identityIvEEEESG_SJ_SK_mSL_SN_bEUlT_E_NS1_11comp_targetILNS1_3genE10ELNS1_11target_archE1200ELNS1_3gpuE4ELNS1_3repE0EEENS1_30default_config_static_selectorELNS0_4arch9wavefront6targetE1EEEvT1_
		.amdhsa_group_segment_fixed_size 0
		.amdhsa_private_segment_fixed_size 0
		.amdhsa_kernarg_size 56
		.amdhsa_user_sgpr_count 2
		.amdhsa_user_sgpr_dispatch_ptr 0
		.amdhsa_user_sgpr_queue_ptr 0
		.amdhsa_user_sgpr_kernarg_segment_ptr 1
		.amdhsa_user_sgpr_dispatch_id 0
		.amdhsa_user_sgpr_kernarg_preload_length 0
		.amdhsa_user_sgpr_kernarg_preload_offset 0
		.amdhsa_user_sgpr_private_segment_size 0
		.amdhsa_uses_dynamic_stack 0
		.amdhsa_enable_private_segment 0
		.amdhsa_system_sgpr_workgroup_id_x 1
		.amdhsa_system_sgpr_workgroup_id_y 0
		.amdhsa_system_sgpr_workgroup_id_z 0
		.amdhsa_system_sgpr_workgroup_info 0
		.amdhsa_system_vgpr_workitem_id 0
		.amdhsa_next_free_vgpr 1
		.amdhsa_next_free_sgpr 0
		.amdhsa_accum_offset 4
		.amdhsa_reserve_vcc 0
		.amdhsa_float_round_mode_32 0
		.amdhsa_float_round_mode_16_64 0
		.amdhsa_float_denorm_mode_32 3
		.amdhsa_float_denorm_mode_16_64 3
		.amdhsa_dx10_clamp 1
		.amdhsa_ieee_mode 1
		.amdhsa_fp16_overflow 0
		.amdhsa_tg_split 0
		.amdhsa_exception_fp_ieee_invalid_op 0
		.amdhsa_exception_fp_denorm_src 0
		.amdhsa_exception_fp_ieee_div_zero 0
		.amdhsa_exception_fp_ieee_overflow 0
		.amdhsa_exception_fp_ieee_underflow 0
		.amdhsa_exception_fp_ieee_inexact 0
		.amdhsa_exception_int_div_zero 0
	.end_amdhsa_kernel
	.section	.text._ZN7rocprim17ROCPRIM_400000_NS6detail17trampoline_kernelINS0_14default_configENS1_25transform_config_selectorIsLb0EEEZNS1_14transform_implILb0ES3_S5_NS0_18transform_iteratorINS0_17counting_iteratorImlEEZNS1_24adjacent_difference_implIS3_Lb1ELb0EPsSB_N6thrust23THRUST_200600_302600_NS4plusIsEEEE10hipError_tPvRmT2_T3_mT4_P12ihipStream_tbEUlmE_sEESB_NS0_8identityIvEEEESG_SJ_SK_mSL_SN_bEUlT_E_NS1_11comp_targetILNS1_3genE10ELNS1_11target_archE1200ELNS1_3gpuE4ELNS1_3repE0EEENS1_30default_config_static_selectorELNS0_4arch9wavefront6targetE1EEEvT1_,"axG",@progbits,_ZN7rocprim17ROCPRIM_400000_NS6detail17trampoline_kernelINS0_14default_configENS1_25transform_config_selectorIsLb0EEEZNS1_14transform_implILb0ES3_S5_NS0_18transform_iteratorINS0_17counting_iteratorImlEEZNS1_24adjacent_difference_implIS3_Lb1ELb0EPsSB_N6thrust23THRUST_200600_302600_NS4plusIsEEEE10hipError_tPvRmT2_T3_mT4_P12ihipStream_tbEUlmE_sEESB_NS0_8identityIvEEEESG_SJ_SK_mSL_SN_bEUlT_E_NS1_11comp_targetILNS1_3genE10ELNS1_11target_archE1200ELNS1_3gpuE4ELNS1_3repE0EEENS1_30default_config_static_selectorELNS0_4arch9wavefront6targetE1EEEvT1_,comdat
.Lfunc_end91:
	.size	_ZN7rocprim17ROCPRIM_400000_NS6detail17trampoline_kernelINS0_14default_configENS1_25transform_config_selectorIsLb0EEEZNS1_14transform_implILb0ES3_S5_NS0_18transform_iteratorINS0_17counting_iteratorImlEEZNS1_24adjacent_difference_implIS3_Lb1ELb0EPsSB_N6thrust23THRUST_200600_302600_NS4plusIsEEEE10hipError_tPvRmT2_T3_mT4_P12ihipStream_tbEUlmE_sEESB_NS0_8identityIvEEEESG_SJ_SK_mSL_SN_bEUlT_E_NS1_11comp_targetILNS1_3genE10ELNS1_11target_archE1200ELNS1_3gpuE4ELNS1_3repE0EEENS1_30default_config_static_selectorELNS0_4arch9wavefront6targetE1EEEvT1_, .Lfunc_end91-_ZN7rocprim17ROCPRIM_400000_NS6detail17trampoline_kernelINS0_14default_configENS1_25transform_config_selectorIsLb0EEEZNS1_14transform_implILb0ES3_S5_NS0_18transform_iteratorINS0_17counting_iteratorImlEEZNS1_24adjacent_difference_implIS3_Lb1ELb0EPsSB_N6thrust23THRUST_200600_302600_NS4plusIsEEEE10hipError_tPvRmT2_T3_mT4_P12ihipStream_tbEUlmE_sEESB_NS0_8identityIvEEEESG_SJ_SK_mSL_SN_bEUlT_E_NS1_11comp_targetILNS1_3genE10ELNS1_11target_archE1200ELNS1_3gpuE4ELNS1_3repE0EEENS1_30default_config_static_selectorELNS0_4arch9wavefront6targetE1EEEvT1_
                                        ; -- End function
	.section	.AMDGPU.csdata,"",@progbits
; Kernel info:
; codeLenInByte = 0
; NumSgprs: 6
; NumVgprs: 0
; NumAgprs: 0
; TotalNumVgprs: 0
; ScratchSize: 0
; MemoryBound: 0
; FloatMode: 240
; IeeeMode: 1
; LDSByteSize: 0 bytes/workgroup (compile time only)
; SGPRBlocks: 0
; VGPRBlocks: 0
; NumSGPRsForWavesPerEU: 6
; NumVGPRsForWavesPerEU: 1
; AccumOffset: 4
; Occupancy: 8
; WaveLimiterHint : 0
; COMPUTE_PGM_RSRC2:SCRATCH_EN: 0
; COMPUTE_PGM_RSRC2:USER_SGPR: 2
; COMPUTE_PGM_RSRC2:TRAP_HANDLER: 0
; COMPUTE_PGM_RSRC2:TGID_X_EN: 1
; COMPUTE_PGM_RSRC2:TGID_Y_EN: 0
; COMPUTE_PGM_RSRC2:TGID_Z_EN: 0
; COMPUTE_PGM_RSRC2:TIDIG_COMP_CNT: 0
; COMPUTE_PGM_RSRC3_GFX90A:ACCUM_OFFSET: 0
; COMPUTE_PGM_RSRC3_GFX90A:TG_SPLIT: 0
	.section	.text._ZN7rocprim17ROCPRIM_400000_NS6detail17trampoline_kernelINS0_14default_configENS1_25transform_config_selectorIsLb0EEEZNS1_14transform_implILb0ES3_S5_NS0_18transform_iteratorINS0_17counting_iteratorImlEEZNS1_24adjacent_difference_implIS3_Lb1ELb0EPsSB_N6thrust23THRUST_200600_302600_NS4plusIsEEEE10hipError_tPvRmT2_T3_mT4_P12ihipStream_tbEUlmE_sEESB_NS0_8identityIvEEEESG_SJ_SK_mSL_SN_bEUlT_E_NS1_11comp_targetILNS1_3genE9ELNS1_11target_archE1100ELNS1_3gpuE3ELNS1_3repE0EEENS1_30default_config_static_selectorELNS0_4arch9wavefront6targetE1EEEvT1_,"axG",@progbits,_ZN7rocprim17ROCPRIM_400000_NS6detail17trampoline_kernelINS0_14default_configENS1_25transform_config_selectorIsLb0EEEZNS1_14transform_implILb0ES3_S5_NS0_18transform_iteratorINS0_17counting_iteratorImlEEZNS1_24adjacent_difference_implIS3_Lb1ELb0EPsSB_N6thrust23THRUST_200600_302600_NS4plusIsEEEE10hipError_tPvRmT2_T3_mT4_P12ihipStream_tbEUlmE_sEESB_NS0_8identityIvEEEESG_SJ_SK_mSL_SN_bEUlT_E_NS1_11comp_targetILNS1_3genE9ELNS1_11target_archE1100ELNS1_3gpuE3ELNS1_3repE0EEENS1_30default_config_static_selectorELNS0_4arch9wavefront6targetE1EEEvT1_,comdat
	.protected	_ZN7rocprim17ROCPRIM_400000_NS6detail17trampoline_kernelINS0_14default_configENS1_25transform_config_selectorIsLb0EEEZNS1_14transform_implILb0ES3_S5_NS0_18transform_iteratorINS0_17counting_iteratorImlEEZNS1_24adjacent_difference_implIS3_Lb1ELb0EPsSB_N6thrust23THRUST_200600_302600_NS4plusIsEEEE10hipError_tPvRmT2_T3_mT4_P12ihipStream_tbEUlmE_sEESB_NS0_8identityIvEEEESG_SJ_SK_mSL_SN_bEUlT_E_NS1_11comp_targetILNS1_3genE9ELNS1_11target_archE1100ELNS1_3gpuE3ELNS1_3repE0EEENS1_30default_config_static_selectorELNS0_4arch9wavefront6targetE1EEEvT1_ ; -- Begin function _ZN7rocprim17ROCPRIM_400000_NS6detail17trampoline_kernelINS0_14default_configENS1_25transform_config_selectorIsLb0EEEZNS1_14transform_implILb0ES3_S5_NS0_18transform_iteratorINS0_17counting_iteratorImlEEZNS1_24adjacent_difference_implIS3_Lb1ELb0EPsSB_N6thrust23THRUST_200600_302600_NS4plusIsEEEE10hipError_tPvRmT2_T3_mT4_P12ihipStream_tbEUlmE_sEESB_NS0_8identityIvEEEESG_SJ_SK_mSL_SN_bEUlT_E_NS1_11comp_targetILNS1_3genE9ELNS1_11target_archE1100ELNS1_3gpuE3ELNS1_3repE0EEENS1_30default_config_static_selectorELNS0_4arch9wavefront6targetE1EEEvT1_
	.globl	_ZN7rocprim17ROCPRIM_400000_NS6detail17trampoline_kernelINS0_14default_configENS1_25transform_config_selectorIsLb0EEEZNS1_14transform_implILb0ES3_S5_NS0_18transform_iteratorINS0_17counting_iteratorImlEEZNS1_24adjacent_difference_implIS3_Lb1ELb0EPsSB_N6thrust23THRUST_200600_302600_NS4plusIsEEEE10hipError_tPvRmT2_T3_mT4_P12ihipStream_tbEUlmE_sEESB_NS0_8identityIvEEEESG_SJ_SK_mSL_SN_bEUlT_E_NS1_11comp_targetILNS1_3genE9ELNS1_11target_archE1100ELNS1_3gpuE3ELNS1_3repE0EEENS1_30default_config_static_selectorELNS0_4arch9wavefront6targetE1EEEvT1_
	.p2align	8
	.type	_ZN7rocprim17ROCPRIM_400000_NS6detail17trampoline_kernelINS0_14default_configENS1_25transform_config_selectorIsLb0EEEZNS1_14transform_implILb0ES3_S5_NS0_18transform_iteratorINS0_17counting_iteratorImlEEZNS1_24adjacent_difference_implIS3_Lb1ELb0EPsSB_N6thrust23THRUST_200600_302600_NS4plusIsEEEE10hipError_tPvRmT2_T3_mT4_P12ihipStream_tbEUlmE_sEESB_NS0_8identityIvEEEESG_SJ_SK_mSL_SN_bEUlT_E_NS1_11comp_targetILNS1_3genE9ELNS1_11target_archE1100ELNS1_3gpuE3ELNS1_3repE0EEENS1_30default_config_static_selectorELNS0_4arch9wavefront6targetE1EEEvT1_,@function
_ZN7rocprim17ROCPRIM_400000_NS6detail17trampoline_kernelINS0_14default_configENS1_25transform_config_selectorIsLb0EEEZNS1_14transform_implILb0ES3_S5_NS0_18transform_iteratorINS0_17counting_iteratorImlEEZNS1_24adjacent_difference_implIS3_Lb1ELb0EPsSB_N6thrust23THRUST_200600_302600_NS4plusIsEEEE10hipError_tPvRmT2_T3_mT4_P12ihipStream_tbEUlmE_sEESB_NS0_8identityIvEEEESG_SJ_SK_mSL_SN_bEUlT_E_NS1_11comp_targetILNS1_3genE9ELNS1_11target_archE1100ELNS1_3gpuE3ELNS1_3repE0EEENS1_30default_config_static_selectorELNS0_4arch9wavefront6targetE1EEEvT1_: ; @_ZN7rocprim17ROCPRIM_400000_NS6detail17trampoline_kernelINS0_14default_configENS1_25transform_config_selectorIsLb0EEEZNS1_14transform_implILb0ES3_S5_NS0_18transform_iteratorINS0_17counting_iteratorImlEEZNS1_24adjacent_difference_implIS3_Lb1ELb0EPsSB_N6thrust23THRUST_200600_302600_NS4plusIsEEEE10hipError_tPvRmT2_T3_mT4_P12ihipStream_tbEUlmE_sEESB_NS0_8identityIvEEEESG_SJ_SK_mSL_SN_bEUlT_E_NS1_11comp_targetILNS1_3genE9ELNS1_11target_archE1100ELNS1_3gpuE3ELNS1_3repE0EEENS1_30default_config_static_selectorELNS0_4arch9wavefront6targetE1EEEvT1_
; %bb.0:
	.section	.rodata,"a",@progbits
	.p2align	6, 0x0
	.amdhsa_kernel _ZN7rocprim17ROCPRIM_400000_NS6detail17trampoline_kernelINS0_14default_configENS1_25transform_config_selectorIsLb0EEEZNS1_14transform_implILb0ES3_S5_NS0_18transform_iteratorINS0_17counting_iteratorImlEEZNS1_24adjacent_difference_implIS3_Lb1ELb0EPsSB_N6thrust23THRUST_200600_302600_NS4plusIsEEEE10hipError_tPvRmT2_T3_mT4_P12ihipStream_tbEUlmE_sEESB_NS0_8identityIvEEEESG_SJ_SK_mSL_SN_bEUlT_E_NS1_11comp_targetILNS1_3genE9ELNS1_11target_archE1100ELNS1_3gpuE3ELNS1_3repE0EEENS1_30default_config_static_selectorELNS0_4arch9wavefront6targetE1EEEvT1_
		.amdhsa_group_segment_fixed_size 0
		.amdhsa_private_segment_fixed_size 0
		.amdhsa_kernarg_size 56
		.amdhsa_user_sgpr_count 2
		.amdhsa_user_sgpr_dispatch_ptr 0
		.amdhsa_user_sgpr_queue_ptr 0
		.amdhsa_user_sgpr_kernarg_segment_ptr 1
		.amdhsa_user_sgpr_dispatch_id 0
		.amdhsa_user_sgpr_kernarg_preload_length 0
		.amdhsa_user_sgpr_kernarg_preload_offset 0
		.amdhsa_user_sgpr_private_segment_size 0
		.amdhsa_uses_dynamic_stack 0
		.amdhsa_enable_private_segment 0
		.amdhsa_system_sgpr_workgroup_id_x 1
		.amdhsa_system_sgpr_workgroup_id_y 0
		.amdhsa_system_sgpr_workgroup_id_z 0
		.amdhsa_system_sgpr_workgroup_info 0
		.amdhsa_system_vgpr_workitem_id 0
		.amdhsa_next_free_vgpr 1
		.amdhsa_next_free_sgpr 0
		.amdhsa_accum_offset 4
		.amdhsa_reserve_vcc 0
		.amdhsa_float_round_mode_32 0
		.amdhsa_float_round_mode_16_64 0
		.amdhsa_float_denorm_mode_32 3
		.amdhsa_float_denorm_mode_16_64 3
		.amdhsa_dx10_clamp 1
		.amdhsa_ieee_mode 1
		.amdhsa_fp16_overflow 0
		.amdhsa_tg_split 0
		.amdhsa_exception_fp_ieee_invalid_op 0
		.amdhsa_exception_fp_denorm_src 0
		.amdhsa_exception_fp_ieee_div_zero 0
		.amdhsa_exception_fp_ieee_overflow 0
		.amdhsa_exception_fp_ieee_underflow 0
		.amdhsa_exception_fp_ieee_inexact 0
		.amdhsa_exception_int_div_zero 0
	.end_amdhsa_kernel
	.section	.text._ZN7rocprim17ROCPRIM_400000_NS6detail17trampoline_kernelINS0_14default_configENS1_25transform_config_selectorIsLb0EEEZNS1_14transform_implILb0ES3_S5_NS0_18transform_iteratorINS0_17counting_iteratorImlEEZNS1_24adjacent_difference_implIS3_Lb1ELb0EPsSB_N6thrust23THRUST_200600_302600_NS4plusIsEEEE10hipError_tPvRmT2_T3_mT4_P12ihipStream_tbEUlmE_sEESB_NS0_8identityIvEEEESG_SJ_SK_mSL_SN_bEUlT_E_NS1_11comp_targetILNS1_3genE9ELNS1_11target_archE1100ELNS1_3gpuE3ELNS1_3repE0EEENS1_30default_config_static_selectorELNS0_4arch9wavefront6targetE1EEEvT1_,"axG",@progbits,_ZN7rocprim17ROCPRIM_400000_NS6detail17trampoline_kernelINS0_14default_configENS1_25transform_config_selectorIsLb0EEEZNS1_14transform_implILb0ES3_S5_NS0_18transform_iteratorINS0_17counting_iteratorImlEEZNS1_24adjacent_difference_implIS3_Lb1ELb0EPsSB_N6thrust23THRUST_200600_302600_NS4plusIsEEEE10hipError_tPvRmT2_T3_mT4_P12ihipStream_tbEUlmE_sEESB_NS0_8identityIvEEEESG_SJ_SK_mSL_SN_bEUlT_E_NS1_11comp_targetILNS1_3genE9ELNS1_11target_archE1100ELNS1_3gpuE3ELNS1_3repE0EEENS1_30default_config_static_selectorELNS0_4arch9wavefront6targetE1EEEvT1_,comdat
.Lfunc_end92:
	.size	_ZN7rocprim17ROCPRIM_400000_NS6detail17trampoline_kernelINS0_14default_configENS1_25transform_config_selectorIsLb0EEEZNS1_14transform_implILb0ES3_S5_NS0_18transform_iteratorINS0_17counting_iteratorImlEEZNS1_24adjacent_difference_implIS3_Lb1ELb0EPsSB_N6thrust23THRUST_200600_302600_NS4plusIsEEEE10hipError_tPvRmT2_T3_mT4_P12ihipStream_tbEUlmE_sEESB_NS0_8identityIvEEEESG_SJ_SK_mSL_SN_bEUlT_E_NS1_11comp_targetILNS1_3genE9ELNS1_11target_archE1100ELNS1_3gpuE3ELNS1_3repE0EEENS1_30default_config_static_selectorELNS0_4arch9wavefront6targetE1EEEvT1_, .Lfunc_end92-_ZN7rocprim17ROCPRIM_400000_NS6detail17trampoline_kernelINS0_14default_configENS1_25transform_config_selectorIsLb0EEEZNS1_14transform_implILb0ES3_S5_NS0_18transform_iteratorINS0_17counting_iteratorImlEEZNS1_24adjacent_difference_implIS3_Lb1ELb0EPsSB_N6thrust23THRUST_200600_302600_NS4plusIsEEEE10hipError_tPvRmT2_T3_mT4_P12ihipStream_tbEUlmE_sEESB_NS0_8identityIvEEEESG_SJ_SK_mSL_SN_bEUlT_E_NS1_11comp_targetILNS1_3genE9ELNS1_11target_archE1100ELNS1_3gpuE3ELNS1_3repE0EEENS1_30default_config_static_selectorELNS0_4arch9wavefront6targetE1EEEvT1_
                                        ; -- End function
	.section	.AMDGPU.csdata,"",@progbits
; Kernel info:
; codeLenInByte = 0
; NumSgprs: 6
; NumVgprs: 0
; NumAgprs: 0
; TotalNumVgprs: 0
; ScratchSize: 0
; MemoryBound: 0
; FloatMode: 240
; IeeeMode: 1
; LDSByteSize: 0 bytes/workgroup (compile time only)
; SGPRBlocks: 0
; VGPRBlocks: 0
; NumSGPRsForWavesPerEU: 6
; NumVGPRsForWavesPerEU: 1
; AccumOffset: 4
; Occupancy: 8
; WaveLimiterHint : 0
; COMPUTE_PGM_RSRC2:SCRATCH_EN: 0
; COMPUTE_PGM_RSRC2:USER_SGPR: 2
; COMPUTE_PGM_RSRC2:TRAP_HANDLER: 0
; COMPUTE_PGM_RSRC2:TGID_X_EN: 1
; COMPUTE_PGM_RSRC2:TGID_Y_EN: 0
; COMPUTE_PGM_RSRC2:TGID_Z_EN: 0
; COMPUTE_PGM_RSRC2:TIDIG_COMP_CNT: 0
; COMPUTE_PGM_RSRC3_GFX90A:ACCUM_OFFSET: 0
; COMPUTE_PGM_RSRC3_GFX90A:TG_SPLIT: 0
	.section	.text._ZN7rocprim17ROCPRIM_400000_NS6detail17trampoline_kernelINS0_14default_configENS1_25transform_config_selectorIsLb0EEEZNS1_14transform_implILb0ES3_S5_NS0_18transform_iteratorINS0_17counting_iteratorImlEEZNS1_24adjacent_difference_implIS3_Lb1ELb0EPsSB_N6thrust23THRUST_200600_302600_NS4plusIsEEEE10hipError_tPvRmT2_T3_mT4_P12ihipStream_tbEUlmE_sEESB_NS0_8identityIvEEEESG_SJ_SK_mSL_SN_bEUlT_E_NS1_11comp_targetILNS1_3genE8ELNS1_11target_archE1030ELNS1_3gpuE2ELNS1_3repE0EEENS1_30default_config_static_selectorELNS0_4arch9wavefront6targetE1EEEvT1_,"axG",@progbits,_ZN7rocprim17ROCPRIM_400000_NS6detail17trampoline_kernelINS0_14default_configENS1_25transform_config_selectorIsLb0EEEZNS1_14transform_implILb0ES3_S5_NS0_18transform_iteratorINS0_17counting_iteratorImlEEZNS1_24adjacent_difference_implIS3_Lb1ELb0EPsSB_N6thrust23THRUST_200600_302600_NS4plusIsEEEE10hipError_tPvRmT2_T3_mT4_P12ihipStream_tbEUlmE_sEESB_NS0_8identityIvEEEESG_SJ_SK_mSL_SN_bEUlT_E_NS1_11comp_targetILNS1_3genE8ELNS1_11target_archE1030ELNS1_3gpuE2ELNS1_3repE0EEENS1_30default_config_static_selectorELNS0_4arch9wavefront6targetE1EEEvT1_,comdat
	.protected	_ZN7rocprim17ROCPRIM_400000_NS6detail17trampoline_kernelINS0_14default_configENS1_25transform_config_selectorIsLb0EEEZNS1_14transform_implILb0ES3_S5_NS0_18transform_iteratorINS0_17counting_iteratorImlEEZNS1_24adjacent_difference_implIS3_Lb1ELb0EPsSB_N6thrust23THRUST_200600_302600_NS4plusIsEEEE10hipError_tPvRmT2_T3_mT4_P12ihipStream_tbEUlmE_sEESB_NS0_8identityIvEEEESG_SJ_SK_mSL_SN_bEUlT_E_NS1_11comp_targetILNS1_3genE8ELNS1_11target_archE1030ELNS1_3gpuE2ELNS1_3repE0EEENS1_30default_config_static_selectorELNS0_4arch9wavefront6targetE1EEEvT1_ ; -- Begin function _ZN7rocprim17ROCPRIM_400000_NS6detail17trampoline_kernelINS0_14default_configENS1_25transform_config_selectorIsLb0EEEZNS1_14transform_implILb0ES3_S5_NS0_18transform_iteratorINS0_17counting_iteratorImlEEZNS1_24adjacent_difference_implIS3_Lb1ELb0EPsSB_N6thrust23THRUST_200600_302600_NS4plusIsEEEE10hipError_tPvRmT2_T3_mT4_P12ihipStream_tbEUlmE_sEESB_NS0_8identityIvEEEESG_SJ_SK_mSL_SN_bEUlT_E_NS1_11comp_targetILNS1_3genE8ELNS1_11target_archE1030ELNS1_3gpuE2ELNS1_3repE0EEENS1_30default_config_static_selectorELNS0_4arch9wavefront6targetE1EEEvT1_
	.globl	_ZN7rocprim17ROCPRIM_400000_NS6detail17trampoline_kernelINS0_14default_configENS1_25transform_config_selectorIsLb0EEEZNS1_14transform_implILb0ES3_S5_NS0_18transform_iteratorINS0_17counting_iteratorImlEEZNS1_24adjacent_difference_implIS3_Lb1ELb0EPsSB_N6thrust23THRUST_200600_302600_NS4plusIsEEEE10hipError_tPvRmT2_T3_mT4_P12ihipStream_tbEUlmE_sEESB_NS0_8identityIvEEEESG_SJ_SK_mSL_SN_bEUlT_E_NS1_11comp_targetILNS1_3genE8ELNS1_11target_archE1030ELNS1_3gpuE2ELNS1_3repE0EEENS1_30default_config_static_selectorELNS0_4arch9wavefront6targetE1EEEvT1_
	.p2align	8
	.type	_ZN7rocprim17ROCPRIM_400000_NS6detail17trampoline_kernelINS0_14default_configENS1_25transform_config_selectorIsLb0EEEZNS1_14transform_implILb0ES3_S5_NS0_18transform_iteratorINS0_17counting_iteratorImlEEZNS1_24adjacent_difference_implIS3_Lb1ELb0EPsSB_N6thrust23THRUST_200600_302600_NS4plusIsEEEE10hipError_tPvRmT2_T3_mT4_P12ihipStream_tbEUlmE_sEESB_NS0_8identityIvEEEESG_SJ_SK_mSL_SN_bEUlT_E_NS1_11comp_targetILNS1_3genE8ELNS1_11target_archE1030ELNS1_3gpuE2ELNS1_3repE0EEENS1_30default_config_static_selectorELNS0_4arch9wavefront6targetE1EEEvT1_,@function
_ZN7rocprim17ROCPRIM_400000_NS6detail17trampoline_kernelINS0_14default_configENS1_25transform_config_selectorIsLb0EEEZNS1_14transform_implILb0ES3_S5_NS0_18transform_iteratorINS0_17counting_iteratorImlEEZNS1_24adjacent_difference_implIS3_Lb1ELb0EPsSB_N6thrust23THRUST_200600_302600_NS4plusIsEEEE10hipError_tPvRmT2_T3_mT4_P12ihipStream_tbEUlmE_sEESB_NS0_8identityIvEEEESG_SJ_SK_mSL_SN_bEUlT_E_NS1_11comp_targetILNS1_3genE8ELNS1_11target_archE1030ELNS1_3gpuE2ELNS1_3repE0EEENS1_30default_config_static_selectorELNS0_4arch9wavefront6targetE1EEEvT1_: ; @_ZN7rocprim17ROCPRIM_400000_NS6detail17trampoline_kernelINS0_14default_configENS1_25transform_config_selectorIsLb0EEEZNS1_14transform_implILb0ES3_S5_NS0_18transform_iteratorINS0_17counting_iteratorImlEEZNS1_24adjacent_difference_implIS3_Lb1ELb0EPsSB_N6thrust23THRUST_200600_302600_NS4plusIsEEEE10hipError_tPvRmT2_T3_mT4_P12ihipStream_tbEUlmE_sEESB_NS0_8identityIvEEEESG_SJ_SK_mSL_SN_bEUlT_E_NS1_11comp_targetILNS1_3genE8ELNS1_11target_archE1030ELNS1_3gpuE2ELNS1_3repE0EEENS1_30default_config_static_selectorELNS0_4arch9wavefront6targetE1EEEvT1_
; %bb.0:
	.section	.rodata,"a",@progbits
	.p2align	6, 0x0
	.amdhsa_kernel _ZN7rocprim17ROCPRIM_400000_NS6detail17trampoline_kernelINS0_14default_configENS1_25transform_config_selectorIsLb0EEEZNS1_14transform_implILb0ES3_S5_NS0_18transform_iteratorINS0_17counting_iteratorImlEEZNS1_24adjacent_difference_implIS3_Lb1ELb0EPsSB_N6thrust23THRUST_200600_302600_NS4plusIsEEEE10hipError_tPvRmT2_T3_mT4_P12ihipStream_tbEUlmE_sEESB_NS0_8identityIvEEEESG_SJ_SK_mSL_SN_bEUlT_E_NS1_11comp_targetILNS1_3genE8ELNS1_11target_archE1030ELNS1_3gpuE2ELNS1_3repE0EEENS1_30default_config_static_selectorELNS0_4arch9wavefront6targetE1EEEvT1_
		.amdhsa_group_segment_fixed_size 0
		.amdhsa_private_segment_fixed_size 0
		.amdhsa_kernarg_size 56
		.amdhsa_user_sgpr_count 2
		.amdhsa_user_sgpr_dispatch_ptr 0
		.amdhsa_user_sgpr_queue_ptr 0
		.amdhsa_user_sgpr_kernarg_segment_ptr 1
		.amdhsa_user_sgpr_dispatch_id 0
		.amdhsa_user_sgpr_kernarg_preload_length 0
		.amdhsa_user_sgpr_kernarg_preload_offset 0
		.amdhsa_user_sgpr_private_segment_size 0
		.amdhsa_uses_dynamic_stack 0
		.amdhsa_enable_private_segment 0
		.amdhsa_system_sgpr_workgroup_id_x 1
		.amdhsa_system_sgpr_workgroup_id_y 0
		.amdhsa_system_sgpr_workgroup_id_z 0
		.amdhsa_system_sgpr_workgroup_info 0
		.amdhsa_system_vgpr_workitem_id 0
		.amdhsa_next_free_vgpr 1
		.amdhsa_next_free_sgpr 0
		.amdhsa_accum_offset 4
		.amdhsa_reserve_vcc 0
		.amdhsa_float_round_mode_32 0
		.amdhsa_float_round_mode_16_64 0
		.amdhsa_float_denorm_mode_32 3
		.amdhsa_float_denorm_mode_16_64 3
		.amdhsa_dx10_clamp 1
		.amdhsa_ieee_mode 1
		.amdhsa_fp16_overflow 0
		.amdhsa_tg_split 0
		.amdhsa_exception_fp_ieee_invalid_op 0
		.amdhsa_exception_fp_denorm_src 0
		.amdhsa_exception_fp_ieee_div_zero 0
		.amdhsa_exception_fp_ieee_overflow 0
		.amdhsa_exception_fp_ieee_underflow 0
		.amdhsa_exception_fp_ieee_inexact 0
		.amdhsa_exception_int_div_zero 0
	.end_amdhsa_kernel
	.section	.text._ZN7rocprim17ROCPRIM_400000_NS6detail17trampoline_kernelINS0_14default_configENS1_25transform_config_selectorIsLb0EEEZNS1_14transform_implILb0ES3_S5_NS0_18transform_iteratorINS0_17counting_iteratorImlEEZNS1_24adjacent_difference_implIS3_Lb1ELb0EPsSB_N6thrust23THRUST_200600_302600_NS4plusIsEEEE10hipError_tPvRmT2_T3_mT4_P12ihipStream_tbEUlmE_sEESB_NS0_8identityIvEEEESG_SJ_SK_mSL_SN_bEUlT_E_NS1_11comp_targetILNS1_3genE8ELNS1_11target_archE1030ELNS1_3gpuE2ELNS1_3repE0EEENS1_30default_config_static_selectorELNS0_4arch9wavefront6targetE1EEEvT1_,"axG",@progbits,_ZN7rocprim17ROCPRIM_400000_NS6detail17trampoline_kernelINS0_14default_configENS1_25transform_config_selectorIsLb0EEEZNS1_14transform_implILb0ES3_S5_NS0_18transform_iteratorINS0_17counting_iteratorImlEEZNS1_24adjacent_difference_implIS3_Lb1ELb0EPsSB_N6thrust23THRUST_200600_302600_NS4plusIsEEEE10hipError_tPvRmT2_T3_mT4_P12ihipStream_tbEUlmE_sEESB_NS0_8identityIvEEEESG_SJ_SK_mSL_SN_bEUlT_E_NS1_11comp_targetILNS1_3genE8ELNS1_11target_archE1030ELNS1_3gpuE2ELNS1_3repE0EEENS1_30default_config_static_selectorELNS0_4arch9wavefront6targetE1EEEvT1_,comdat
.Lfunc_end93:
	.size	_ZN7rocprim17ROCPRIM_400000_NS6detail17trampoline_kernelINS0_14default_configENS1_25transform_config_selectorIsLb0EEEZNS1_14transform_implILb0ES3_S5_NS0_18transform_iteratorINS0_17counting_iteratorImlEEZNS1_24adjacent_difference_implIS3_Lb1ELb0EPsSB_N6thrust23THRUST_200600_302600_NS4plusIsEEEE10hipError_tPvRmT2_T3_mT4_P12ihipStream_tbEUlmE_sEESB_NS0_8identityIvEEEESG_SJ_SK_mSL_SN_bEUlT_E_NS1_11comp_targetILNS1_3genE8ELNS1_11target_archE1030ELNS1_3gpuE2ELNS1_3repE0EEENS1_30default_config_static_selectorELNS0_4arch9wavefront6targetE1EEEvT1_, .Lfunc_end93-_ZN7rocprim17ROCPRIM_400000_NS6detail17trampoline_kernelINS0_14default_configENS1_25transform_config_selectorIsLb0EEEZNS1_14transform_implILb0ES3_S5_NS0_18transform_iteratorINS0_17counting_iteratorImlEEZNS1_24adjacent_difference_implIS3_Lb1ELb0EPsSB_N6thrust23THRUST_200600_302600_NS4plusIsEEEE10hipError_tPvRmT2_T3_mT4_P12ihipStream_tbEUlmE_sEESB_NS0_8identityIvEEEESG_SJ_SK_mSL_SN_bEUlT_E_NS1_11comp_targetILNS1_3genE8ELNS1_11target_archE1030ELNS1_3gpuE2ELNS1_3repE0EEENS1_30default_config_static_selectorELNS0_4arch9wavefront6targetE1EEEvT1_
                                        ; -- End function
	.section	.AMDGPU.csdata,"",@progbits
; Kernel info:
; codeLenInByte = 0
; NumSgprs: 6
; NumVgprs: 0
; NumAgprs: 0
; TotalNumVgprs: 0
; ScratchSize: 0
; MemoryBound: 0
; FloatMode: 240
; IeeeMode: 1
; LDSByteSize: 0 bytes/workgroup (compile time only)
; SGPRBlocks: 0
; VGPRBlocks: 0
; NumSGPRsForWavesPerEU: 6
; NumVGPRsForWavesPerEU: 1
; AccumOffset: 4
; Occupancy: 8
; WaveLimiterHint : 0
; COMPUTE_PGM_RSRC2:SCRATCH_EN: 0
; COMPUTE_PGM_RSRC2:USER_SGPR: 2
; COMPUTE_PGM_RSRC2:TRAP_HANDLER: 0
; COMPUTE_PGM_RSRC2:TGID_X_EN: 1
; COMPUTE_PGM_RSRC2:TGID_Y_EN: 0
; COMPUTE_PGM_RSRC2:TGID_Z_EN: 0
; COMPUTE_PGM_RSRC2:TIDIG_COMP_CNT: 0
; COMPUTE_PGM_RSRC3_GFX90A:ACCUM_OFFSET: 0
; COMPUTE_PGM_RSRC3_GFX90A:TG_SPLIT: 0
	.section	.text._ZN7rocprim17ROCPRIM_400000_NS6detail17trampoline_kernelINS0_14default_configENS1_35adjacent_difference_config_selectorILb1EsEEZNS1_24adjacent_difference_implIS3_Lb1ELb0EPsS7_N6thrust23THRUST_200600_302600_NS4plusIsEEEE10hipError_tPvRmT2_T3_mT4_P12ihipStream_tbEUlT_E_NS1_11comp_targetILNS1_3genE0ELNS1_11target_archE4294967295ELNS1_3gpuE0ELNS1_3repE0EEENS1_30default_config_static_selectorELNS0_4arch9wavefront6targetE1EEEvT1_,"axG",@progbits,_ZN7rocprim17ROCPRIM_400000_NS6detail17trampoline_kernelINS0_14default_configENS1_35adjacent_difference_config_selectorILb1EsEEZNS1_24adjacent_difference_implIS3_Lb1ELb0EPsS7_N6thrust23THRUST_200600_302600_NS4plusIsEEEE10hipError_tPvRmT2_T3_mT4_P12ihipStream_tbEUlT_E_NS1_11comp_targetILNS1_3genE0ELNS1_11target_archE4294967295ELNS1_3gpuE0ELNS1_3repE0EEENS1_30default_config_static_selectorELNS0_4arch9wavefront6targetE1EEEvT1_,comdat
	.protected	_ZN7rocprim17ROCPRIM_400000_NS6detail17trampoline_kernelINS0_14default_configENS1_35adjacent_difference_config_selectorILb1EsEEZNS1_24adjacent_difference_implIS3_Lb1ELb0EPsS7_N6thrust23THRUST_200600_302600_NS4plusIsEEEE10hipError_tPvRmT2_T3_mT4_P12ihipStream_tbEUlT_E_NS1_11comp_targetILNS1_3genE0ELNS1_11target_archE4294967295ELNS1_3gpuE0ELNS1_3repE0EEENS1_30default_config_static_selectorELNS0_4arch9wavefront6targetE1EEEvT1_ ; -- Begin function _ZN7rocprim17ROCPRIM_400000_NS6detail17trampoline_kernelINS0_14default_configENS1_35adjacent_difference_config_selectorILb1EsEEZNS1_24adjacent_difference_implIS3_Lb1ELb0EPsS7_N6thrust23THRUST_200600_302600_NS4plusIsEEEE10hipError_tPvRmT2_T3_mT4_P12ihipStream_tbEUlT_E_NS1_11comp_targetILNS1_3genE0ELNS1_11target_archE4294967295ELNS1_3gpuE0ELNS1_3repE0EEENS1_30default_config_static_selectorELNS0_4arch9wavefront6targetE1EEEvT1_
	.globl	_ZN7rocprim17ROCPRIM_400000_NS6detail17trampoline_kernelINS0_14default_configENS1_35adjacent_difference_config_selectorILb1EsEEZNS1_24adjacent_difference_implIS3_Lb1ELb0EPsS7_N6thrust23THRUST_200600_302600_NS4plusIsEEEE10hipError_tPvRmT2_T3_mT4_P12ihipStream_tbEUlT_E_NS1_11comp_targetILNS1_3genE0ELNS1_11target_archE4294967295ELNS1_3gpuE0ELNS1_3repE0EEENS1_30default_config_static_selectorELNS0_4arch9wavefront6targetE1EEEvT1_
	.p2align	8
	.type	_ZN7rocprim17ROCPRIM_400000_NS6detail17trampoline_kernelINS0_14default_configENS1_35adjacent_difference_config_selectorILb1EsEEZNS1_24adjacent_difference_implIS3_Lb1ELb0EPsS7_N6thrust23THRUST_200600_302600_NS4plusIsEEEE10hipError_tPvRmT2_T3_mT4_P12ihipStream_tbEUlT_E_NS1_11comp_targetILNS1_3genE0ELNS1_11target_archE4294967295ELNS1_3gpuE0ELNS1_3repE0EEENS1_30default_config_static_selectorELNS0_4arch9wavefront6targetE1EEEvT1_,@function
_ZN7rocprim17ROCPRIM_400000_NS6detail17trampoline_kernelINS0_14default_configENS1_35adjacent_difference_config_selectorILb1EsEEZNS1_24adjacent_difference_implIS3_Lb1ELb0EPsS7_N6thrust23THRUST_200600_302600_NS4plusIsEEEE10hipError_tPvRmT2_T3_mT4_P12ihipStream_tbEUlT_E_NS1_11comp_targetILNS1_3genE0ELNS1_11target_archE4294967295ELNS1_3gpuE0ELNS1_3repE0EEENS1_30default_config_static_selectorELNS0_4arch9wavefront6targetE1EEEvT1_: ; @_ZN7rocprim17ROCPRIM_400000_NS6detail17trampoline_kernelINS0_14default_configENS1_35adjacent_difference_config_selectorILb1EsEEZNS1_24adjacent_difference_implIS3_Lb1ELb0EPsS7_N6thrust23THRUST_200600_302600_NS4plusIsEEEE10hipError_tPvRmT2_T3_mT4_P12ihipStream_tbEUlT_E_NS1_11comp_targetILNS1_3genE0ELNS1_11target_archE4294967295ELNS1_3gpuE0ELNS1_3repE0EEENS1_30default_config_static_selectorELNS0_4arch9wavefront6targetE1EEEvT1_
; %bb.0:
	.section	.rodata,"a",@progbits
	.p2align	6, 0x0
	.amdhsa_kernel _ZN7rocprim17ROCPRIM_400000_NS6detail17trampoline_kernelINS0_14default_configENS1_35adjacent_difference_config_selectorILb1EsEEZNS1_24adjacent_difference_implIS3_Lb1ELb0EPsS7_N6thrust23THRUST_200600_302600_NS4plusIsEEEE10hipError_tPvRmT2_T3_mT4_P12ihipStream_tbEUlT_E_NS1_11comp_targetILNS1_3genE0ELNS1_11target_archE4294967295ELNS1_3gpuE0ELNS1_3repE0EEENS1_30default_config_static_selectorELNS0_4arch9wavefront6targetE1EEEvT1_
		.amdhsa_group_segment_fixed_size 0
		.amdhsa_private_segment_fixed_size 0
		.amdhsa_kernarg_size 56
		.amdhsa_user_sgpr_count 2
		.amdhsa_user_sgpr_dispatch_ptr 0
		.amdhsa_user_sgpr_queue_ptr 0
		.amdhsa_user_sgpr_kernarg_segment_ptr 1
		.amdhsa_user_sgpr_dispatch_id 0
		.amdhsa_user_sgpr_kernarg_preload_length 0
		.amdhsa_user_sgpr_kernarg_preload_offset 0
		.amdhsa_user_sgpr_private_segment_size 0
		.amdhsa_uses_dynamic_stack 0
		.amdhsa_enable_private_segment 0
		.amdhsa_system_sgpr_workgroup_id_x 1
		.amdhsa_system_sgpr_workgroup_id_y 0
		.amdhsa_system_sgpr_workgroup_id_z 0
		.amdhsa_system_sgpr_workgroup_info 0
		.amdhsa_system_vgpr_workitem_id 0
		.amdhsa_next_free_vgpr 1
		.amdhsa_next_free_sgpr 0
		.amdhsa_accum_offset 4
		.amdhsa_reserve_vcc 0
		.amdhsa_float_round_mode_32 0
		.amdhsa_float_round_mode_16_64 0
		.amdhsa_float_denorm_mode_32 3
		.amdhsa_float_denorm_mode_16_64 3
		.amdhsa_dx10_clamp 1
		.amdhsa_ieee_mode 1
		.amdhsa_fp16_overflow 0
		.amdhsa_tg_split 0
		.amdhsa_exception_fp_ieee_invalid_op 0
		.amdhsa_exception_fp_denorm_src 0
		.amdhsa_exception_fp_ieee_div_zero 0
		.amdhsa_exception_fp_ieee_overflow 0
		.amdhsa_exception_fp_ieee_underflow 0
		.amdhsa_exception_fp_ieee_inexact 0
		.amdhsa_exception_int_div_zero 0
	.end_amdhsa_kernel
	.section	.text._ZN7rocprim17ROCPRIM_400000_NS6detail17trampoline_kernelINS0_14default_configENS1_35adjacent_difference_config_selectorILb1EsEEZNS1_24adjacent_difference_implIS3_Lb1ELb0EPsS7_N6thrust23THRUST_200600_302600_NS4plusIsEEEE10hipError_tPvRmT2_T3_mT4_P12ihipStream_tbEUlT_E_NS1_11comp_targetILNS1_3genE0ELNS1_11target_archE4294967295ELNS1_3gpuE0ELNS1_3repE0EEENS1_30default_config_static_selectorELNS0_4arch9wavefront6targetE1EEEvT1_,"axG",@progbits,_ZN7rocprim17ROCPRIM_400000_NS6detail17trampoline_kernelINS0_14default_configENS1_35adjacent_difference_config_selectorILb1EsEEZNS1_24adjacent_difference_implIS3_Lb1ELb0EPsS7_N6thrust23THRUST_200600_302600_NS4plusIsEEEE10hipError_tPvRmT2_T3_mT4_P12ihipStream_tbEUlT_E_NS1_11comp_targetILNS1_3genE0ELNS1_11target_archE4294967295ELNS1_3gpuE0ELNS1_3repE0EEENS1_30default_config_static_selectorELNS0_4arch9wavefront6targetE1EEEvT1_,comdat
.Lfunc_end94:
	.size	_ZN7rocprim17ROCPRIM_400000_NS6detail17trampoline_kernelINS0_14default_configENS1_35adjacent_difference_config_selectorILb1EsEEZNS1_24adjacent_difference_implIS3_Lb1ELb0EPsS7_N6thrust23THRUST_200600_302600_NS4plusIsEEEE10hipError_tPvRmT2_T3_mT4_P12ihipStream_tbEUlT_E_NS1_11comp_targetILNS1_3genE0ELNS1_11target_archE4294967295ELNS1_3gpuE0ELNS1_3repE0EEENS1_30default_config_static_selectorELNS0_4arch9wavefront6targetE1EEEvT1_, .Lfunc_end94-_ZN7rocprim17ROCPRIM_400000_NS6detail17trampoline_kernelINS0_14default_configENS1_35adjacent_difference_config_selectorILb1EsEEZNS1_24adjacent_difference_implIS3_Lb1ELb0EPsS7_N6thrust23THRUST_200600_302600_NS4plusIsEEEE10hipError_tPvRmT2_T3_mT4_P12ihipStream_tbEUlT_E_NS1_11comp_targetILNS1_3genE0ELNS1_11target_archE4294967295ELNS1_3gpuE0ELNS1_3repE0EEENS1_30default_config_static_selectorELNS0_4arch9wavefront6targetE1EEEvT1_
                                        ; -- End function
	.section	.AMDGPU.csdata,"",@progbits
; Kernel info:
; codeLenInByte = 0
; NumSgprs: 6
; NumVgprs: 0
; NumAgprs: 0
; TotalNumVgprs: 0
; ScratchSize: 0
; MemoryBound: 0
; FloatMode: 240
; IeeeMode: 1
; LDSByteSize: 0 bytes/workgroup (compile time only)
; SGPRBlocks: 0
; VGPRBlocks: 0
; NumSGPRsForWavesPerEU: 6
; NumVGPRsForWavesPerEU: 1
; AccumOffset: 4
; Occupancy: 8
; WaveLimiterHint : 0
; COMPUTE_PGM_RSRC2:SCRATCH_EN: 0
; COMPUTE_PGM_RSRC2:USER_SGPR: 2
; COMPUTE_PGM_RSRC2:TRAP_HANDLER: 0
; COMPUTE_PGM_RSRC2:TGID_X_EN: 1
; COMPUTE_PGM_RSRC2:TGID_Y_EN: 0
; COMPUTE_PGM_RSRC2:TGID_Z_EN: 0
; COMPUTE_PGM_RSRC2:TIDIG_COMP_CNT: 0
; COMPUTE_PGM_RSRC3_GFX90A:ACCUM_OFFSET: 0
; COMPUTE_PGM_RSRC3_GFX90A:TG_SPLIT: 0
	.section	.text._ZN7rocprim17ROCPRIM_400000_NS6detail17trampoline_kernelINS0_14default_configENS1_35adjacent_difference_config_selectorILb1EsEEZNS1_24adjacent_difference_implIS3_Lb1ELb0EPsS7_N6thrust23THRUST_200600_302600_NS4plusIsEEEE10hipError_tPvRmT2_T3_mT4_P12ihipStream_tbEUlT_E_NS1_11comp_targetILNS1_3genE10ELNS1_11target_archE1201ELNS1_3gpuE5ELNS1_3repE0EEENS1_30default_config_static_selectorELNS0_4arch9wavefront6targetE1EEEvT1_,"axG",@progbits,_ZN7rocprim17ROCPRIM_400000_NS6detail17trampoline_kernelINS0_14default_configENS1_35adjacent_difference_config_selectorILb1EsEEZNS1_24adjacent_difference_implIS3_Lb1ELb0EPsS7_N6thrust23THRUST_200600_302600_NS4plusIsEEEE10hipError_tPvRmT2_T3_mT4_P12ihipStream_tbEUlT_E_NS1_11comp_targetILNS1_3genE10ELNS1_11target_archE1201ELNS1_3gpuE5ELNS1_3repE0EEENS1_30default_config_static_selectorELNS0_4arch9wavefront6targetE1EEEvT1_,comdat
	.protected	_ZN7rocprim17ROCPRIM_400000_NS6detail17trampoline_kernelINS0_14default_configENS1_35adjacent_difference_config_selectorILb1EsEEZNS1_24adjacent_difference_implIS3_Lb1ELb0EPsS7_N6thrust23THRUST_200600_302600_NS4plusIsEEEE10hipError_tPvRmT2_T3_mT4_P12ihipStream_tbEUlT_E_NS1_11comp_targetILNS1_3genE10ELNS1_11target_archE1201ELNS1_3gpuE5ELNS1_3repE0EEENS1_30default_config_static_selectorELNS0_4arch9wavefront6targetE1EEEvT1_ ; -- Begin function _ZN7rocprim17ROCPRIM_400000_NS6detail17trampoline_kernelINS0_14default_configENS1_35adjacent_difference_config_selectorILb1EsEEZNS1_24adjacent_difference_implIS3_Lb1ELb0EPsS7_N6thrust23THRUST_200600_302600_NS4plusIsEEEE10hipError_tPvRmT2_T3_mT4_P12ihipStream_tbEUlT_E_NS1_11comp_targetILNS1_3genE10ELNS1_11target_archE1201ELNS1_3gpuE5ELNS1_3repE0EEENS1_30default_config_static_selectorELNS0_4arch9wavefront6targetE1EEEvT1_
	.globl	_ZN7rocprim17ROCPRIM_400000_NS6detail17trampoline_kernelINS0_14default_configENS1_35adjacent_difference_config_selectorILb1EsEEZNS1_24adjacent_difference_implIS3_Lb1ELb0EPsS7_N6thrust23THRUST_200600_302600_NS4plusIsEEEE10hipError_tPvRmT2_T3_mT4_P12ihipStream_tbEUlT_E_NS1_11comp_targetILNS1_3genE10ELNS1_11target_archE1201ELNS1_3gpuE5ELNS1_3repE0EEENS1_30default_config_static_selectorELNS0_4arch9wavefront6targetE1EEEvT1_
	.p2align	8
	.type	_ZN7rocprim17ROCPRIM_400000_NS6detail17trampoline_kernelINS0_14default_configENS1_35adjacent_difference_config_selectorILb1EsEEZNS1_24adjacent_difference_implIS3_Lb1ELb0EPsS7_N6thrust23THRUST_200600_302600_NS4plusIsEEEE10hipError_tPvRmT2_T3_mT4_P12ihipStream_tbEUlT_E_NS1_11comp_targetILNS1_3genE10ELNS1_11target_archE1201ELNS1_3gpuE5ELNS1_3repE0EEENS1_30default_config_static_selectorELNS0_4arch9wavefront6targetE1EEEvT1_,@function
_ZN7rocprim17ROCPRIM_400000_NS6detail17trampoline_kernelINS0_14default_configENS1_35adjacent_difference_config_selectorILb1EsEEZNS1_24adjacent_difference_implIS3_Lb1ELb0EPsS7_N6thrust23THRUST_200600_302600_NS4plusIsEEEE10hipError_tPvRmT2_T3_mT4_P12ihipStream_tbEUlT_E_NS1_11comp_targetILNS1_3genE10ELNS1_11target_archE1201ELNS1_3gpuE5ELNS1_3repE0EEENS1_30default_config_static_selectorELNS0_4arch9wavefront6targetE1EEEvT1_: ; @_ZN7rocprim17ROCPRIM_400000_NS6detail17trampoline_kernelINS0_14default_configENS1_35adjacent_difference_config_selectorILb1EsEEZNS1_24adjacent_difference_implIS3_Lb1ELb0EPsS7_N6thrust23THRUST_200600_302600_NS4plusIsEEEE10hipError_tPvRmT2_T3_mT4_P12ihipStream_tbEUlT_E_NS1_11comp_targetILNS1_3genE10ELNS1_11target_archE1201ELNS1_3gpuE5ELNS1_3repE0EEENS1_30default_config_static_selectorELNS0_4arch9wavefront6targetE1EEEvT1_
; %bb.0:
	.section	.rodata,"a",@progbits
	.p2align	6, 0x0
	.amdhsa_kernel _ZN7rocprim17ROCPRIM_400000_NS6detail17trampoline_kernelINS0_14default_configENS1_35adjacent_difference_config_selectorILb1EsEEZNS1_24adjacent_difference_implIS3_Lb1ELb0EPsS7_N6thrust23THRUST_200600_302600_NS4plusIsEEEE10hipError_tPvRmT2_T3_mT4_P12ihipStream_tbEUlT_E_NS1_11comp_targetILNS1_3genE10ELNS1_11target_archE1201ELNS1_3gpuE5ELNS1_3repE0EEENS1_30default_config_static_selectorELNS0_4arch9wavefront6targetE1EEEvT1_
		.amdhsa_group_segment_fixed_size 0
		.amdhsa_private_segment_fixed_size 0
		.amdhsa_kernarg_size 56
		.amdhsa_user_sgpr_count 2
		.amdhsa_user_sgpr_dispatch_ptr 0
		.amdhsa_user_sgpr_queue_ptr 0
		.amdhsa_user_sgpr_kernarg_segment_ptr 1
		.amdhsa_user_sgpr_dispatch_id 0
		.amdhsa_user_sgpr_kernarg_preload_length 0
		.amdhsa_user_sgpr_kernarg_preload_offset 0
		.amdhsa_user_sgpr_private_segment_size 0
		.amdhsa_uses_dynamic_stack 0
		.amdhsa_enable_private_segment 0
		.amdhsa_system_sgpr_workgroup_id_x 1
		.amdhsa_system_sgpr_workgroup_id_y 0
		.amdhsa_system_sgpr_workgroup_id_z 0
		.amdhsa_system_sgpr_workgroup_info 0
		.amdhsa_system_vgpr_workitem_id 0
		.amdhsa_next_free_vgpr 1
		.amdhsa_next_free_sgpr 0
		.amdhsa_accum_offset 4
		.amdhsa_reserve_vcc 0
		.amdhsa_float_round_mode_32 0
		.amdhsa_float_round_mode_16_64 0
		.amdhsa_float_denorm_mode_32 3
		.amdhsa_float_denorm_mode_16_64 3
		.amdhsa_dx10_clamp 1
		.amdhsa_ieee_mode 1
		.amdhsa_fp16_overflow 0
		.amdhsa_tg_split 0
		.amdhsa_exception_fp_ieee_invalid_op 0
		.amdhsa_exception_fp_denorm_src 0
		.amdhsa_exception_fp_ieee_div_zero 0
		.amdhsa_exception_fp_ieee_overflow 0
		.amdhsa_exception_fp_ieee_underflow 0
		.amdhsa_exception_fp_ieee_inexact 0
		.amdhsa_exception_int_div_zero 0
	.end_amdhsa_kernel
	.section	.text._ZN7rocprim17ROCPRIM_400000_NS6detail17trampoline_kernelINS0_14default_configENS1_35adjacent_difference_config_selectorILb1EsEEZNS1_24adjacent_difference_implIS3_Lb1ELb0EPsS7_N6thrust23THRUST_200600_302600_NS4plusIsEEEE10hipError_tPvRmT2_T3_mT4_P12ihipStream_tbEUlT_E_NS1_11comp_targetILNS1_3genE10ELNS1_11target_archE1201ELNS1_3gpuE5ELNS1_3repE0EEENS1_30default_config_static_selectorELNS0_4arch9wavefront6targetE1EEEvT1_,"axG",@progbits,_ZN7rocprim17ROCPRIM_400000_NS6detail17trampoline_kernelINS0_14default_configENS1_35adjacent_difference_config_selectorILb1EsEEZNS1_24adjacent_difference_implIS3_Lb1ELb0EPsS7_N6thrust23THRUST_200600_302600_NS4plusIsEEEE10hipError_tPvRmT2_T3_mT4_P12ihipStream_tbEUlT_E_NS1_11comp_targetILNS1_3genE10ELNS1_11target_archE1201ELNS1_3gpuE5ELNS1_3repE0EEENS1_30default_config_static_selectorELNS0_4arch9wavefront6targetE1EEEvT1_,comdat
.Lfunc_end95:
	.size	_ZN7rocprim17ROCPRIM_400000_NS6detail17trampoline_kernelINS0_14default_configENS1_35adjacent_difference_config_selectorILb1EsEEZNS1_24adjacent_difference_implIS3_Lb1ELb0EPsS7_N6thrust23THRUST_200600_302600_NS4plusIsEEEE10hipError_tPvRmT2_T3_mT4_P12ihipStream_tbEUlT_E_NS1_11comp_targetILNS1_3genE10ELNS1_11target_archE1201ELNS1_3gpuE5ELNS1_3repE0EEENS1_30default_config_static_selectorELNS0_4arch9wavefront6targetE1EEEvT1_, .Lfunc_end95-_ZN7rocprim17ROCPRIM_400000_NS6detail17trampoline_kernelINS0_14default_configENS1_35adjacent_difference_config_selectorILb1EsEEZNS1_24adjacent_difference_implIS3_Lb1ELb0EPsS7_N6thrust23THRUST_200600_302600_NS4plusIsEEEE10hipError_tPvRmT2_T3_mT4_P12ihipStream_tbEUlT_E_NS1_11comp_targetILNS1_3genE10ELNS1_11target_archE1201ELNS1_3gpuE5ELNS1_3repE0EEENS1_30default_config_static_selectorELNS0_4arch9wavefront6targetE1EEEvT1_
                                        ; -- End function
	.section	.AMDGPU.csdata,"",@progbits
; Kernel info:
; codeLenInByte = 0
; NumSgprs: 6
; NumVgprs: 0
; NumAgprs: 0
; TotalNumVgprs: 0
; ScratchSize: 0
; MemoryBound: 0
; FloatMode: 240
; IeeeMode: 1
; LDSByteSize: 0 bytes/workgroup (compile time only)
; SGPRBlocks: 0
; VGPRBlocks: 0
; NumSGPRsForWavesPerEU: 6
; NumVGPRsForWavesPerEU: 1
; AccumOffset: 4
; Occupancy: 8
; WaveLimiterHint : 0
; COMPUTE_PGM_RSRC2:SCRATCH_EN: 0
; COMPUTE_PGM_RSRC2:USER_SGPR: 2
; COMPUTE_PGM_RSRC2:TRAP_HANDLER: 0
; COMPUTE_PGM_RSRC2:TGID_X_EN: 1
; COMPUTE_PGM_RSRC2:TGID_Y_EN: 0
; COMPUTE_PGM_RSRC2:TGID_Z_EN: 0
; COMPUTE_PGM_RSRC2:TIDIG_COMP_CNT: 0
; COMPUTE_PGM_RSRC3_GFX90A:ACCUM_OFFSET: 0
; COMPUTE_PGM_RSRC3_GFX90A:TG_SPLIT: 0
	.section	.text._ZN7rocprim17ROCPRIM_400000_NS6detail17trampoline_kernelINS0_14default_configENS1_35adjacent_difference_config_selectorILb1EsEEZNS1_24adjacent_difference_implIS3_Lb1ELb0EPsS7_N6thrust23THRUST_200600_302600_NS4plusIsEEEE10hipError_tPvRmT2_T3_mT4_P12ihipStream_tbEUlT_E_NS1_11comp_targetILNS1_3genE5ELNS1_11target_archE942ELNS1_3gpuE9ELNS1_3repE0EEENS1_30default_config_static_selectorELNS0_4arch9wavefront6targetE1EEEvT1_,"axG",@progbits,_ZN7rocprim17ROCPRIM_400000_NS6detail17trampoline_kernelINS0_14default_configENS1_35adjacent_difference_config_selectorILb1EsEEZNS1_24adjacent_difference_implIS3_Lb1ELb0EPsS7_N6thrust23THRUST_200600_302600_NS4plusIsEEEE10hipError_tPvRmT2_T3_mT4_P12ihipStream_tbEUlT_E_NS1_11comp_targetILNS1_3genE5ELNS1_11target_archE942ELNS1_3gpuE9ELNS1_3repE0EEENS1_30default_config_static_selectorELNS0_4arch9wavefront6targetE1EEEvT1_,comdat
	.protected	_ZN7rocprim17ROCPRIM_400000_NS6detail17trampoline_kernelINS0_14default_configENS1_35adjacent_difference_config_selectorILb1EsEEZNS1_24adjacent_difference_implIS3_Lb1ELb0EPsS7_N6thrust23THRUST_200600_302600_NS4plusIsEEEE10hipError_tPvRmT2_T3_mT4_P12ihipStream_tbEUlT_E_NS1_11comp_targetILNS1_3genE5ELNS1_11target_archE942ELNS1_3gpuE9ELNS1_3repE0EEENS1_30default_config_static_selectorELNS0_4arch9wavefront6targetE1EEEvT1_ ; -- Begin function _ZN7rocprim17ROCPRIM_400000_NS6detail17trampoline_kernelINS0_14default_configENS1_35adjacent_difference_config_selectorILb1EsEEZNS1_24adjacent_difference_implIS3_Lb1ELb0EPsS7_N6thrust23THRUST_200600_302600_NS4plusIsEEEE10hipError_tPvRmT2_T3_mT4_P12ihipStream_tbEUlT_E_NS1_11comp_targetILNS1_3genE5ELNS1_11target_archE942ELNS1_3gpuE9ELNS1_3repE0EEENS1_30default_config_static_selectorELNS0_4arch9wavefront6targetE1EEEvT1_
	.globl	_ZN7rocprim17ROCPRIM_400000_NS6detail17trampoline_kernelINS0_14default_configENS1_35adjacent_difference_config_selectorILb1EsEEZNS1_24adjacent_difference_implIS3_Lb1ELb0EPsS7_N6thrust23THRUST_200600_302600_NS4plusIsEEEE10hipError_tPvRmT2_T3_mT4_P12ihipStream_tbEUlT_E_NS1_11comp_targetILNS1_3genE5ELNS1_11target_archE942ELNS1_3gpuE9ELNS1_3repE0EEENS1_30default_config_static_selectorELNS0_4arch9wavefront6targetE1EEEvT1_
	.p2align	8
	.type	_ZN7rocprim17ROCPRIM_400000_NS6detail17trampoline_kernelINS0_14default_configENS1_35adjacent_difference_config_selectorILb1EsEEZNS1_24adjacent_difference_implIS3_Lb1ELb0EPsS7_N6thrust23THRUST_200600_302600_NS4plusIsEEEE10hipError_tPvRmT2_T3_mT4_P12ihipStream_tbEUlT_E_NS1_11comp_targetILNS1_3genE5ELNS1_11target_archE942ELNS1_3gpuE9ELNS1_3repE0EEENS1_30default_config_static_selectorELNS0_4arch9wavefront6targetE1EEEvT1_,@function
_ZN7rocprim17ROCPRIM_400000_NS6detail17trampoline_kernelINS0_14default_configENS1_35adjacent_difference_config_selectorILb1EsEEZNS1_24adjacent_difference_implIS3_Lb1ELb0EPsS7_N6thrust23THRUST_200600_302600_NS4plusIsEEEE10hipError_tPvRmT2_T3_mT4_P12ihipStream_tbEUlT_E_NS1_11comp_targetILNS1_3genE5ELNS1_11target_archE942ELNS1_3gpuE9ELNS1_3repE0EEENS1_30default_config_static_selectorELNS0_4arch9wavefront6targetE1EEEvT1_: ; @_ZN7rocprim17ROCPRIM_400000_NS6detail17trampoline_kernelINS0_14default_configENS1_35adjacent_difference_config_selectorILb1EsEEZNS1_24adjacent_difference_implIS3_Lb1ELb0EPsS7_N6thrust23THRUST_200600_302600_NS4plusIsEEEE10hipError_tPvRmT2_T3_mT4_P12ihipStream_tbEUlT_E_NS1_11comp_targetILNS1_3genE5ELNS1_11target_archE942ELNS1_3gpuE9ELNS1_3repE0EEENS1_30default_config_static_selectorELNS0_4arch9wavefront6targetE1EEEvT1_
; %bb.0:
	s_load_dwordx8 s[4:11], s[0:1], 0x0
	s_load_dwordx4 s[12:15], s[0:1], 0x28
	s_mov_b32 s0, 0x90841c60
	v_bfrev_b32_e32 v1, 1
	s_movk_i32 s16, 0x7c0
	s_waitcnt lgkmcnt(0)
	s_lshl_b64 s[6:7], s[6:7], 1
	s_add_u32 s26, s4, s6
	s_addc_u32 s27, s5, s7
	s_add_u32 s0, 0x230, s0
	s_addc_u32 s1, 0, 0
	v_add_co_u32_e32 v1, vcc, s0, v1
	s_cmp_lg_u64 vcc, 0
	v_readfirstlane_b32 s5, v1
	s_addc_u32 s0, s1, 0x210841
	s_mul_hi_u32 s17, s5, 0xfffff840
	s_mul_i32 s1, s0, 0xfffff840
	s_sub_i32 s17, s17, s5
	s_add_i32 s17, s17, s1
	s_mul_i32 s19, s5, 0xfffff840
	s_mul_hi_u32 s1, s5, s17
	s_mul_i32 s18, s5, s17
	s_mul_hi_u32 s5, s5, s19
	s_add_u32 s5, s5, s18
	s_addc_u32 s1, 0, s1
	s_mul_hi_u32 s20, s0, s19
	s_mul_i32 s19, s0, s19
	s_add_u32 s5, s5, s19
	s_mul_hi_u32 s18, s0, s17
	s_addc_u32 s1, s1, s20
	s_addc_u32 s5, s18, 0
	s_mul_i32 s17, s0, s17
	s_add_u32 s1, s1, s17
	s_addc_u32 s5, 0, s5
	v_add_co_u32_e32 v1, vcc, s1, v1
	s_cmp_lg_u64 vcc, 0
	s_addc_u32 s0, s0, s5
	v_readfirstlane_b32 s17, v1
	s_mul_i32 s5, s10, s0
	s_mul_hi_u32 s18, s10, s17
	s_mul_hi_u32 s1, s10, s0
	s_add_u32 s5, s18, s5
	s_addc_u32 s1, 0, s1
	s_mul_hi_u32 s19, s11, s17
	s_mul_i32 s17, s11, s17
	s_add_u32 s5, s5, s17
	s_mul_hi_u32 s18, s11, s0
	s_addc_u32 s1, s1, s19
	s_addc_u32 s5, s18, 0
	s_mul_i32 s0, s11, s0
	s_add_u32 s0, s1, s0
	s_addc_u32 s1, 0, s5
	s_add_u32 s5, s0, 1
	s_addc_u32 s17, s1, 0
	s_add_u32 s18, s0, 2
	s_mul_i32 s20, s1, 0x7c0
	s_mul_hi_u32 s21, s0, 0x7c0
	s_addc_u32 s19, s1, 0
	s_add_i32 s21, s21, s20
	s_mul_i32 s20, s0, 0x7c0
	v_mov_b32_e32 v1, s20
	v_sub_co_u32_e32 v1, vcc, s10, v1
	s_cmp_lg_u64 vcc, 0
	s_subb_u32 s20, s11, s21
	v_subrev_co_u32_e32 v2, vcc, s16, v1
	s_cmp_lg_u64 vcc, 0
	s_subb_u32 s16, s20, 0
	v_readfirstlane_b32 s21, v2
	s_cmpk_gt_u32 s21, 0x7bf
	s_cselect_b32 s21, -1, 0
	s_cmp_eq_u32 s16, 0
	s_cselect_b32 s16, s21, -1
	s_cmp_lg_u32 s16, 0
	s_cselect_b32 s16, s19, s17
	v_readfirstlane_b32 s17, v1
	s_cselect_b32 s5, s18, s5
	s_cmpk_gt_u32 s17, 0x7bf
	s_cselect_b32 s17, -1, 0
	s_cmp_eq_u32 s20, 0
	s_cselect_b32 s17, s17, -1
	s_cmp_lg_u32 s17, 0
	s_cselect_b32 s17, s16, s1
	s_cselect_b32 s5, s5, s0
	s_mul_i32 s0, s17, 0x7c0
	s_mul_hi_u32 s1, s5, 0x7c0
	s_add_i32 s1, s1, s0
	s_mul_i32 s0, s5, 0x7c0
	s_sub_u32 s0, s10, s0
	s_subb_u32 s1, s11, s1
	s_cmp_lg_u64 s[0:1], 0
	s_cselect_b64 s[0:1], -1, 0
	v_cndmask_b32_e64 v1, 0, 1, s[0:1]
	s_mul_i32 s4, s2, 0x7c0
	v_readfirstlane_b32 s0, v1
	s_add_u32 s16, s5, s0
	s_addc_u32 s17, s17, 0
	s_add_u32 s18, s14, s2
	s_addc_u32 s19, s15, 0
	s_add_u32 s20, s16, -1
	s_addc_u32 s21, s17, -1
	v_mov_b64_e32 v[2:3], s[20:21]
	v_cmp_ge_u64_e64 s[0:1], s[18:19], v[2:3]
	s_mov_b32 s3, 0
	s_mov_b64 s[22:23], -1
	s_and_b64 vcc, exec, s[0:1]
	s_mul_i32 s11, s20, 0xfffff840
	s_cbranch_vccz .LBB96_64
; %bb.1:
	s_mov_b32 s5, s3
	s_add_i32 s28, s11, s10
	s_lshl_b64 s[22:23], s[4:5], 1
	s_add_u32 s22, s26, s22
	s_addc_u32 s23, s27, s23
	v_cmp_gt_u32_e32 vcc, s28, v0
                                        ; implicit-def: $vgpr1
	s_and_saveexec_b64 s[24:25], vcc
	s_cbranch_execz .LBB96_3
; %bb.2:
	v_lshlrev_b32_e32 v1, 1, v0
	global_load_ushort v1, v1, s[22:23]
.LBB96_3:
	s_or_b64 exec, exec, s[24:25]
	v_or_b32_e32 v2, 64, v0
	v_cmp_gt_u32_e32 vcc, s28, v2
                                        ; implicit-def: $vgpr2
	s_and_saveexec_b64 s[24:25], vcc
	s_cbranch_execz .LBB96_5
; %bb.4:
	v_lshlrev_b32_e32 v2, 1, v0
	global_load_ushort v2, v2, s[22:23] offset:128
.LBB96_5:
	s_or_b64 exec, exec, s[24:25]
	v_or_b32_e32 v3, 0x80, v0
	v_cmp_gt_u32_e32 vcc, s28, v3
                                        ; implicit-def: $vgpr3
	s_and_saveexec_b64 s[24:25], vcc
	s_cbranch_execz .LBB96_7
; %bb.6:
	v_lshlrev_b32_e32 v3, 1, v0
	global_load_ushort v3, v3, s[22:23] offset:256
.LBB96_7:
	s_or_b64 exec, exec, s[24:25]
	v_or_b32_e32 v4, 0xc0, v0
	v_cmp_gt_u32_e32 vcc, s28, v4
                                        ; implicit-def: $vgpr4
	s_and_saveexec_b64 s[24:25], vcc
	s_cbranch_execz .LBB96_9
; %bb.8:
	v_lshlrev_b32_e32 v4, 1, v0
	global_load_ushort v4, v4, s[22:23] offset:384
.LBB96_9:
	s_or_b64 exec, exec, s[24:25]
	v_or_b32_e32 v5, 0x100, v0
	v_cmp_gt_u32_e32 vcc, s28, v5
                                        ; implicit-def: $vgpr5
	s_and_saveexec_b64 s[24:25], vcc
	s_cbranch_execz .LBB96_11
; %bb.10:
	v_lshlrev_b32_e32 v5, 1, v0
	global_load_ushort v5, v5, s[22:23] offset:512
.LBB96_11:
	s_or_b64 exec, exec, s[24:25]
	v_or_b32_e32 v6, 0x140, v0
	v_cmp_gt_u32_e32 vcc, s28, v6
                                        ; implicit-def: $vgpr6
	s_and_saveexec_b64 s[24:25], vcc
	s_cbranch_execz .LBB96_13
; %bb.12:
	v_lshlrev_b32_e32 v6, 1, v0
	global_load_ushort v6, v6, s[22:23] offset:640
.LBB96_13:
	s_or_b64 exec, exec, s[24:25]
	v_or_b32_e32 v7, 0x180, v0
	v_cmp_gt_u32_e32 vcc, s28, v7
                                        ; implicit-def: $vgpr7
	s_and_saveexec_b64 s[24:25], vcc
	s_cbranch_execz .LBB96_15
; %bb.14:
	v_lshlrev_b32_e32 v7, 1, v0
	global_load_ushort v7, v7, s[22:23] offset:768
.LBB96_15:
	s_or_b64 exec, exec, s[24:25]
	v_or_b32_e32 v8, 0x1c0, v0
	v_cmp_gt_u32_e32 vcc, s28, v8
                                        ; implicit-def: $vgpr8
	s_and_saveexec_b64 s[24:25], vcc
	s_cbranch_execz .LBB96_17
; %bb.16:
	v_lshlrev_b32_e32 v8, 1, v0
	global_load_ushort v8, v8, s[22:23] offset:896
.LBB96_17:
	s_or_b64 exec, exec, s[24:25]
	v_or_b32_e32 v9, 0x200, v0
	v_cmp_gt_u32_e32 vcc, s28, v9
                                        ; implicit-def: $vgpr9
	s_and_saveexec_b64 s[24:25], vcc
	s_cbranch_execz .LBB96_19
; %bb.18:
	v_lshlrev_b32_e32 v9, 1, v0
	global_load_ushort v9, v9, s[22:23] offset:1024
.LBB96_19:
	s_or_b64 exec, exec, s[24:25]
	v_or_b32_e32 v10, 0x240, v0
	v_cmp_gt_u32_e32 vcc, s28, v10
                                        ; implicit-def: $vgpr10
	s_and_saveexec_b64 s[24:25], vcc
	s_cbranch_execz .LBB96_21
; %bb.20:
	v_lshlrev_b32_e32 v10, 1, v0
	global_load_ushort v10, v10, s[22:23] offset:1152
.LBB96_21:
	s_or_b64 exec, exec, s[24:25]
	v_or_b32_e32 v11, 0x280, v0
	v_cmp_gt_u32_e32 vcc, s28, v11
                                        ; implicit-def: $vgpr11
	s_and_saveexec_b64 s[24:25], vcc
	s_cbranch_execz .LBB96_23
; %bb.22:
	v_lshlrev_b32_e32 v11, 1, v0
	global_load_ushort v11, v11, s[22:23] offset:1280
.LBB96_23:
	s_or_b64 exec, exec, s[24:25]
	v_or_b32_e32 v12, 0x2c0, v0
	v_cmp_gt_u32_e32 vcc, s28, v12
                                        ; implicit-def: $vgpr12
	s_and_saveexec_b64 s[24:25], vcc
	s_cbranch_execz .LBB96_25
; %bb.24:
	v_lshlrev_b32_e32 v12, 1, v0
	global_load_ushort v12, v12, s[22:23] offset:1408
.LBB96_25:
	s_or_b64 exec, exec, s[24:25]
	v_or_b32_e32 v13, 0x300, v0
	v_cmp_gt_u32_e32 vcc, s28, v13
                                        ; implicit-def: $vgpr13
	s_and_saveexec_b64 s[24:25], vcc
	s_cbranch_execz .LBB96_27
; %bb.26:
	v_lshlrev_b32_e32 v13, 1, v0
	global_load_ushort v13, v13, s[22:23] offset:1536
.LBB96_27:
	s_or_b64 exec, exec, s[24:25]
	v_or_b32_e32 v14, 0x340, v0
	v_cmp_gt_u32_e32 vcc, s28, v14
                                        ; implicit-def: $vgpr14
	s_and_saveexec_b64 s[24:25], vcc
	s_cbranch_execz .LBB96_29
; %bb.28:
	v_lshlrev_b32_e32 v14, 1, v0
	global_load_ushort v14, v14, s[22:23] offset:1664
.LBB96_29:
	s_or_b64 exec, exec, s[24:25]
	v_or_b32_e32 v15, 0x380, v0
	v_cmp_gt_u32_e32 vcc, s28, v15
                                        ; implicit-def: $vgpr15
	s_and_saveexec_b64 s[24:25], vcc
	s_cbranch_execz .LBB96_31
; %bb.30:
	v_lshlrev_b32_e32 v15, 1, v0
	global_load_ushort v15, v15, s[22:23] offset:1792
.LBB96_31:
	s_or_b64 exec, exec, s[24:25]
	v_or_b32_e32 v16, 0x3c0, v0
	v_cmp_gt_u32_e32 vcc, s28, v16
                                        ; implicit-def: $vgpr16
	s_and_saveexec_b64 s[24:25], vcc
	s_cbranch_execz .LBB96_33
; %bb.32:
	v_lshlrev_b32_e32 v16, 1, v0
	global_load_ushort v16, v16, s[22:23] offset:1920
.LBB96_33:
	s_or_b64 exec, exec, s[24:25]
	v_or_b32_e32 v17, 0x400, v0
	v_cmp_gt_u32_e32 vcc, s28, v17
                                        ; implicit-def: $vgpr17
	s_and_saveexec_b64 s[24:25], vcc
	s_cbranch_execz .LBB96_35
; %bb.34:
	v_lshlrev_b32_e32 v17, 1, v0
	global_load_ushort v17, v17, s[22:23] offset:2048
.LBB96_35:
	s_or_b64 exec, exec, s[24:25]
	v_or_b32_e32 v18, 0x440, v0
	v_cmp_gt_u32_e32 vcc, s28, v18
                                        ; implicit-def: $vgpr18
	s_and_saveexec_b64 s[24:25], vcc
	s_cbranch_execz .LBB96_37
; %bb.36:
	v_lshlrev_b32_e32 v18, 1, v0
	global_load_ushort v18, v18, s[22:23] offset:2176
.LBB96_37:
	s_or_b64 exec, exec, s[24:25]
	v_or_b32_e32 v19, 0x480, v0
	v_cmp_gt_u32_e32 vcc, s28, v19
                                        ; implicit-def: $vgpr19
	s_and_saveexec_b64 s[24:25], vcc
	s_cbranch_execz .LBB96_39
; %bb.38:
	v_lshlrev_b32_e32 v19, 1, v0
	global_load_ushort v19, v19, s[22:23] offset:2304
.LBB96_39:
	s_or_b64 exec, exec, s[24:25]
	v_or_b32_e32 v20, 0x4c0, v0
	v_cmp_gt_u32_e32 vcc, s28, v20
                                        ; implicit-def: $vgpr20
	s_and_saveexec_b64 s[24:25], vcc
	s_cbranch_execz .LBB96_41
; %bb.40:
	v_lshlrev_b32_e32 v20, 1, v0
	global_load_ushort v20, v20, s[22:23] offset:2432
.LBB96_41:
	s_or_b64 exec, exec, s[24:25]
	v_or_b32_e32 v21, 0x500, v0
	v_cmp_gt_u32_e32 vcc, s28, v21
                                        ; implicit-def: $vgpr21
	s_and_saveexec_b64 s[24:25], vcc
	s_cbranch_execz .LBB96_43
; %bb.42:
	v_lshlrev_b32_e32 v21, 1, v0
	global_load_ushort v21, v21, s[22:23] offset:2560
.LBB96_43:
	s_or_b64 exec, exec, s[24:25]
	v_or_b32_e32 v22, 0x540, v0
	v_cmp_gt_u32_e32 vcc, s28, v22
                                        ; implicit-def: $vgpr22
	s_and_saveexec_b64 s[24:25], vcc
	s_cbranch_execz .LBB96_45
; %bb.44:
	v_lshlrev_b32_e32 v22, 1, v0
	global_load_ushort v22, v22, s[22:23] offset:2688
.LBB96_45:
	s_or_b64 exec, exec, s[24:25]
	v_or_b32_e32 v23, 0x580, v0
	v_cmp_gt_u32_e32 vcc, s28, v23
                                        ; implicit-def: $vgpr23
	s_and_saveexec_b64 s[24:25], vcc
	s_cbranch_execz .LBB96_47
; %bb.46:
	v_lshlrev_b32_e32 v23, 1, v0
	global_load_ushort v23, v23, s[22:23] offset:2816
.LBB96_47:
	s_or_b64 exec, exec, s[24:25]
	v_or_b32_e32 v24, 0x5c0, v0
	v_cmp_gt_u32_e32 vcc, s28, v24
                                        ; implicit-def: $vgpr24
	s_and_saveexec_b64 s[24:25], vcc
	s_cbranch_execz .LBB96_49
; %bb.48:
	v_lshlrev_b32_e32 v24, 1, v0
	global_load_ushort v24, v24, s[22:23] offset:2944
.LBB96_49:
	s_or_b64 exec, exec, s[24:25]
	v_or_b32_e32 v25, 0x600, v0
	v_cmp_gt_u32_e32 vcc, s28, v25
                                        ; implicit-def: $vgpr25
	s_and_saveexec_b64 s[24:25], vcc
	s_cbranch_execz .LBB96_51
; %bb.50:
	v_lshlrev_b32_e32 v25, 1, v0
	global_load_ushort v25, v25, s[22:23] offset:3072
.LBB96_51:
	s_or_b64 exec, exec, s[24:25]
	v_or_b32_e32 v26, 0x640, v0
	v_cmp_gt_u32_e32 vcc, s28, v26
                                        ; implicit-def: $vgpr26
	s_and_saveexec_b64 s[24:25], vcc
	s_cbranch_execz .LBB96_53
; %bb.52:
	v_lshlrev_b32_e32 v26, 1, v0
	global_load_ushort v26, v26, s[22:23] offset:3200
.LBB96_53:
	s_or_b64 exec, exec, s[24:25]
	v_or_b32_e32 v27, 0x680, v0
	v_cmp_gt_u32_e32 vcc, s28, v27
                                        ; implicit-def: $vgpr27
	s_and_saveexec_b64 s[24:25], vcc
	s_cbranch_execz .LBB96_55
; %bb.54:
	v_lshlrev_b32_e32 v27, 1, v0
	global_load_ushort v27, v27, s[22:23] offset:3328
.LBB96_55:
	s_or_b64 exec, exec, s[24:25]
	v_or_b32_e32 v28, 0x6c0, v0
	v_cmp_gt_u32_e32 vcc, s28, v28
                                        ; implicit-def: $vgpr28
	s_and_saveexec_b64 s[24:25], vcc
	s_cbranch_execz .LBB96_57
; %bb.56:
	v_lshlrev_b32_e32 v28, 1, v0
	global_load_ushort v28, v28, s[22:23] offset:3456
.LBB96_57:
	s_or_b64 exec, exec, s[24:25]
	v_or_b32_e32 v29, 0x700, v0
	v_cmp_gt_u32_e32 vcc, s28, v29
                                        ; implicit-def: $vgpr29
	s_and_saveexec_b64 s[24:25], vcc
	s_cbranch_execz .LBB96_59
; %bb.58:
	v_lshlrev_b32_e32 v29, 1, v0
	global_load_ushort v29, v29, s[22:23] offset:3584
.LBB96_59:
	s_or_b64 exec, exec, s[24:25]
	v_or_b32_e32 v30, 0x740, v0
	v_cmp_gt_u32_e32 vcc, s28, v30
                                        ; implicit-def: $vgpr30
	s_and_saveexec_b64 s[24:25], vcc
	s_cbranch_execz .LBB96_61
; %bb.60:
	v_lshlrev_b32_e32 v30, 1, v0
	global_load_ushort v30, v30, s[22:23] offset:3712
.LBB96_61:
	s_or_b64 exec, exec, s[24:25]
	v_or_b32_e32 v31, 0x780, v0
	v_cmp_gt_u32_e32 vcc, s28, v31
                                        ; implicit-def: $vgpr31
	s_and_saveexec_b64 s[24:25], vcc
	s_cbranch_execz .LBB96_63
; %bb.62:
	v_lshlrev_b32_e32 v31, 1, v0
	global_load_ushort v31, v31, s[22:23] offset:3840
.LBB96_63:
	s_or_b64 exec, exec, s[24:25]
	v_lshlrev_b32_e32 v32, 1, v0
	s_mov_b64 s[22:23], 0
	s_waitcnt vmcnt(0)
	ds_write_b16 v32, v1
	ds_write_b16 v32, v2 offset:128
	ds_write_b16 v32, v3 offset:256
	;; [unrolled: 1-line block ×30, first 2 shown]
	s_waitcnt lgkmcnt(0)
	; wave barrier
.LBB96_64:
	s_and_b64 vcc, exec, s[22:23]
	v_lshlrev_b32_e32 v18, 1, v0
	s_cbranch_vccz .LBB96_66
; %bb.65:
	s_mov_b32 s5, 0
	s_lshl_b64 s[22:23], s[4:5], 1
	s_add_u32 s22, s26, s22
	s_addc_u32 s23, s27, s23
	global_load_ushort v1, v18, s[22:23]
	global_load_ushort v2, v18, s[22:23] offset:128
	global_load_ushort v3, v18, s[22:23] offset:256
	;; [unrolled: 1-line block ×30, first 2 shown]
	s_waitcnt vmcnt(30)
	ds_write_b16 v18, v1
	s_waitcnt vmcnt(29)
	ds_write_b16 v18, v2 offset:128
	s_waitcnt vmcnt(28)
	ds_write_b16 v18, v3 offset:256
	;; [unrolled: 2-line block ×30, first 2 shown]
	s_waitcnt lgkmcnt(0)
	; wave barrier
.LBB96_66:
	v_mul_u32_u24_e32 v1, 31, v0
	v_lshlrev_b32_e32 v1, 1, v1
	s_waitcnt lgkmcnt(0)
	ds_read_b128 v[10:13], v1
	ds_read_b128 v[6:9], v1 offset:16
	ds_read_b128 v[2:5], v1 offset:32
	ds_read_b96 v[14:16], v1 offset:48
	ds_read_u16 v1, v1 offset:60
	s_cmp_eq_u64 s[18:19], 0
	s_waitcnt lgkmcnt(0)
	; wave barrier
	s_waitcnt lgkmcnt(0)
	s_cbranch_scc1 .LBB96_71
; %bb.67:
	s_lshl_b64 s[14:15], s[14:15], 1
	s_add_u32 s5, s12, s14
	s_addc_u32 s12, s13, s15
	s_lshl_b64 s[2:3], s[2:3], 1
	s_add_u32 s2, s5, s2
	s_addc_u32 s3, s12, s3
	v_mov_b32_e32 v17, 0
	global_load_ushort v34, v17, s[2:3] offset:-2
	s_cmp_eq_u64 s[18:19], s[20:21]
	s_cbranch_scc1 .LBB96_72
; %bb.68:
	v_cmp_ne_u32_e32 vcc, 0, v0
	s_waitcnt vmcnt(0)
	v_mov_b32_e32 v17, v34
	ds_write_b16 v18, v1
	s_waitcnt lgkmcnt(0)
	; wave barrier
	s_waitcnt lgkmcnt(0)
	s_and_saveexec_b64 s[2:3], vcc
	s_cbranch_execz .LBB96_70
; %bb.69:
	v_add_u32_e32 v17, -2, v18
	ds_read_u16 v17, v17
.LBB96_70:
	s_or_b64 exec, exec, s[2:3]
	s_waitcnt lgkmcnt(0)
	v_add_u16_e32 v17, v17, v10
	s_mov_b64 s[2:3], 0
	s_branch .LBB96_73
.LBB96_71:
                                        ; implicit-def: $vgpr19
                                        ; implicit-def: $vgpr20_vgpr21
                                        ; implicit-def: $vgpr22_vgpr23
                                        ; implicit-def: $vgpr24_vgpr25
                                        ; implicit-def: $vgpr26_vgpr27
                                        ; implicit-def: $vgpr28_vgpr29
                                        ; implicit-def: $vgpr30_vgpr31
                                        ; implicit-def: $vgpr32_vgpr33
                                        ; implicit-def: $vgpr17
	s_branch .LBB96_78
.LBB96_72:
	s_mov_b64 s[2:3], -1
                                        ; implicit-def: $vgpr17
.LBB96_73:
	s_and_b64 vcc, exec, s[2:3]
	v_mov_b32_e32 v19, v16
	v_mov_b64_e32 v[20:21], v[14:15]
	v_mov_b64_e32 v[22:23], v[4:5]
	;; [unrolled: 1-line block ×7, first 2 shown]
	s_cbranch_vccz .LBB96_77
; %bb.74:
	v_mul_u32_u24_e32 v17, 31, v0
	v_cmp_ne_u32_e32 vcc, 0, v0
	ds_write_b16 v18, v1
	s_waitcnt lgkmcnt(0)
	; wave barrier
	s_waitcnt lgkmcnt(0)
	s_and_saveexec_b64 s[2:3], vcc
	s_cbranch_execz .LBB96_76
; %bb.75:
	v_add_u32_e32 v19, -2, v18
	s_waitcnt vmcnt(0)
	ds_read_u16 v34, v19
.LBB96_76:
	s_or_b64 exec, exec, s[2:3]
	s_mul_i32 s2, s18, 0xfffff840
	s_add_i32 s2, s2, s10
	v_add_u32_e32 v19, 29, v17
	v_add_u32_e32 v20, 30, v17
	v_cmp_gt_u32_e32 vcc, s2, v19
	v_lshrrev_b32_e32 v21, 16, v16
	s_mov_b32 s3, 0x5040100
	v_cndmask_b32_e32 v19, 0, v16, vcc
	v_cmp_gt_u32_e32 vcc, s2, v20
	v_add_u32_e32 v22, 25, v17
	v_lshrrev_b32_e32 v24, 16, v15
	v_cndmask_b32_e32 v20, 0, v21, vcc
	v_perm_b32 v19, v20, v19, s3
	v_add_u32_e32 v20, 27, v17
	v_add_u32_e32 v21, 28, v17
	v_cmp_gt_u32_e32 vcc, s2, v20
	v_add_u32_e32 v23, 26, v17
	v_lshrrev_b32_e32 v26, 16, v5
	v_cndmask_b32_e32 v20, 0, v15, vcc
	v_cmp_gt_u32_e32 vcc, s2, v21
	v_add_u32_e32 v25, 22, v17
	v_lshrrev_b32_e32 v28, 16, v3
	v_cndmask_b32_e32 v21, 0, v24, vcc
	v_cmp_gt_u32_e32 vcc, s2, v22
	v_perm_b32 v21, v21, v20, s3
	v_lshrrev_b32_e32 v22, 16, v14
	v_cndmask_b32_e32 v20, 0, v14, vcc
	v_cmp_gt_u32_e32 vcc, s2, v23
	v_add_u32_e32 v23, 24, v17
	v_add_u32_e32 v24, 21, v17
	v_cndmask_b32_e32 v22, 0, v22, vcc
	v_perm_b32 v20, v22, v20, s3
	v_add_u32_e32 v22, 23, v17
	v_cmp_gt_u32_e32 vcc, s2, v22
	v_add_u32_e32 v27, 18, v17
	v_lshrrev_b32_e32 v30, 16, v9
	v_cndmask_b32_e32 v22, 0, v5, vcc
	v_cmp_gt_u32_e32 vcc, s2, v23
	v_add_u32_e32 v29, 14, v17
	v_lshrrev_b32_e32 v32, 16, v7
	v_cndmask_b32_e32 v23, 0, v26, vcc
	v_cmp_gt_u32_e32 vcc, s2, v24
	v_perm_b32 v23, v23, v22, s3
	v_lshrrev_b32_e32 v24, 16, v4
	v_cndmask_b32_e32 v22, 0, v4, vcc
	v_cmp_gt_u32_e32 vcc, s2, v25
	v_add_u32_e32 v25, 20, v17
	v_add_u32_e32 v26, 17, v17
	v_cndmask_b32_e32 v24, 0, v24, vcc
	v_perm_b32 v22, v24, v22, s3
	;; [unrolled: 18-line block ×3, first 2 shown]
	v_add_u32_e32 v26, 15, v17
	v_cmp_gt_u32_e32 vcc, s2, v26
	v_add_u32_e32 v36, 2, v17
	s_nop 0
	v_cndmask_b32_e32 v26, 0, v9, vcc
	v_cmp_gt_u32_e32 vcc, s2, v27
	s_nop 1
	v_cndmask_b32_e32 v27, 0, v30, vcc
	v_cmp_gt_u32_e32 vcc, s2, v28
	v_perm_b32 v27, v27, v26, s3
	v_lshrrev_b32_e32 v28, 16, v8
	v_cndmask_b32_e32 v26, 0, v8, vcc
	v_cmp_gt_u32_e32 vcc, s2, v29
	v_add_u32_e32 v29, 12, v17
	v_add_u32_e32 v30, 9, v17
	v_cndmask_b32_e32 v28, 0, v28, vcc
	v_perm_b32 v26, v28, v26, s3
	v_add_u32_e32 v28, 11, v17
	v_cmp_gt_u32_e32 vcc, s2, v28
	s_nop 1
	v_cndmask_b32_e32 v28, 0, v7, vcc
	v_cmp_gt_u32_e32 vcc, s2, v29
	s_nop 1
	v_cndmask_b32_e32 v29, 0, v32, vcc
	v_cmp_gt_u32_e32 vcc, s2, v30
	v_perm_b32 v29, v29, v28, s3
	v_lshrrev_b32_e32 v30, 16, v6
	v_cndmask_b32_e32 v28, 0, v6, vcc
	v_cmp_gt_u32_e32 vcc, s2, v31
	v_add_u32_e32 v31, 8, v17
	v_add_u32_e32 v32, 5, v17
	v_cndmask_b32_e32 v30, 0, v30, vcc
	v_perm_b32 v28, v30, v28, s3
	v_add_u32_e32 v30, 7, v17
	v_cmp_gt_u32_e32 vcc, s2, v30
	s_nop 1
	v_cndmask_b32_e32 v30, 0, v13, vcc
	v_cmp_gt_u32_e32 vcc, s2, v31
	s_nop 1
	v_cndmask_b32_e32 v31, 0, v35, vcc
	v_cmp_gt_u32_e32 vcc, s2, v32
	v_perm_b32 v31, v31, v30, s3
	v_lshrrev_b32_e32 v32, 16, v12
	v_cndmask_b32_e32 v30, 0, v12, vcc
	v_cmp_gt_u32_e32 vcc, s2, v33
	v_add_u32_e32 v33, 4, v17
	v_add_u32_e32 v35, 1, v17
	v_cndmask_b32_e32 v32, 0, v32, vcc
	v_perm_b32 v30, v32, v30, s3
	v_add_u32_e32 v32, 3, v17
	v_cmp_gt_u32_e32 vcc, s2, v32
	s_nop 1
	v_cndmask_b32_e32 v32, 0, v11, vcc
	v_cmp_gt_u32_e32 vcc, s2, v33
	s_nop 1
	v_cndmask_b32_e32 v33, 0, v37, vcc
	v_cmp_gt_u32_e32 vcc, s2, v35
	v_perm_b32 v33, v33, v32, s3
	v_lshrrev_b32_e32 v35, 16, v10
	v_cndmask_b32_e32 v32, 0, v10, vcc
	v_cmp_gt_u32_e32 vcc, s2, v36
	s_nop 1
	v_cndmask_b32_e32 v35, 0, v35, vcc
	v_cmp_gt_u32_e32 vcc, s2, v17
	v_perm_b32 v32, v35, v32, s3
	s_waitcnt vmcnt(0) lgkmcnt(0)
	v_cndmask_b32_e32 v17, 0, v34, vcc
	v_add_u16_e32 v17, v17, v10
.LBB96_77:
	s_cbranch_execnz .LBB96_87
.LBB96_78:
	s_cmp_eq_u64 s[16:17], 1
	v_cmp_ne_u32_e32 vcc, 0, v0
	s_cbranch_scc1 .LBB96_82
; %bb.79:
	v_mov_b32_e32 v17, v10
	ds_write_b16 v18, v1
	s_waitcnt lgkmcnt(0)
	; wave barrier
	s_waitcnt lgkmcnt(0)
	s_and_saveexec_b64 s[2:3], vcc
	s_cbranch_execz .LBB96_81
; %bb.80:
	v_add_u32_e32 v17, -2, v18
	ds_read_u16 v17, v17
	s_waitcnt lgkmcnt(0)
	v_add_u16_e32 v17, v17, v10
.LBB96_81:
	s_or_b64 exec, exec, s[2:3]
	s_mov_b64 s[2:3], 0
	s_branch .LBB96_83
.LBB96_82:
	s_mov_b64 s[2:3], -1
                                        ; implicit-def: $vgpr17
.LBB96_83:
	s_andn2_b64 vcc, exec, s[2:3]
	v_mov_b32_e32 v19, v16
	v_mov_b64_e32 v[20:21], v[14:15]
	v_mov_b64_e32 v[22:23], v[4:5]
	;; [unrolled: 1-line block ×7, first 2 shown]
	s_cbranch_vccnz .LBB96_87
; %bb.84:
	v_mad_u32_u24 v19, v0, 31, 29
	v_mad_u32_u24 v20, v0, 31, 30
	v_cmp_gt_u32_e32 vcc, s10, v19
	v_lshrrev_b32_e32 v21, 16, v16
	v_mad_u32_u24 v22, v0, 31, 25
	v_cndmask_b32_e32 v19, 0, v16, vcc
	v_cmp_gt_u32_e32 vcc, s10, v20
	v_mad_u32_u24 v20, v0, 31, 27
	v_lshrrev_b32_e32 v24, 16, v15
	s_waitcnt vmcnt(0)
	v_cndmask_b32_e32 v34, 0, v21, vcc
	v_mad_u32_u24 v21, v0, 31, 28
	v_cmp_gt_u32_e32 vcc, s10, v20
	s_mov_b32 s5, 0x5040100
	v_mad_u32_u24 v23, v0, 31, 26
	v_cndmask_b32_e32 v20, 0, v15, vcc
	v_cmp_gt_u32_e32 vcc, s10, v21
	v_lshrrev_b32_e32 v26, 16, v5
	v_mad_u32_u24 v25, v0, 31, 22
	v_cndmask_b32_e32 v21, 0, v24, vcc
	v_cmp_gt_u32_e32 vcc, s10, v22
	v_perm_b32 v21, v21, v20, s5
	v_lshrrev_b32_e32 v22, 16, v14
	v_cndmask_b32_e32 v20, 0, v14, vcc
	v_cmp_gt_u32_e32 vcc, s10, v23
	v_mad_u32_u24 v23, v0, 31, 24
	v_mad_u32_u24 v24, v0, 31, 21
	v_cndmask_b32_e32 v22, 0, v22, vcc
	v_perm_b32 v20, v22, v20, s5
	v_mad_u32_u24 v22, v0, 31, 23
	v_cmp_gt_u32_e32 vcc, s10, v22
	v_lshrrev_b32_e32 v28, 16, v3
	v_mad_u32_u24 v27, v0, 31, 18
	v_cndmask_b32_e32 v22, 0, v5, vcc
	v_cmp_gt_u32_e32 vcc, s10, v23
	v_lshrrev_b32_e32 v30, 16, v9
	v_mad_u32_u24 v29, v0, 31, 14
	v_cndmask_b32_e32 v23, 0, v26, vcc
	v_cmp_gt_u32_e32 vcc, s10, v24
	v_perm_b32 v23, v23, v22, s5
	v_lshrrev_b32_e32 v24, 16, v4
	v_cndmask_b32_e32 v22, 0, v4, vcc
	v_cmp_gt_u32_e32 vcc, s10, v25
	v_mad_u32_u24 v25, v0, 31, 20
	v_mad_u32_u24 v26, v0, 31, 17
	v_cndmask_b32_e32 v24, 0, v24, vcc
	v_perm_b32 v22, v24, v22, s5
	v_mad_u32_u24 v24, v0, 31, 19
	v_cmp_gt_u32_e32 vcc, s10, v24
	v_lshrrev_b32_e32 v32, 16, v7
	;; [unrolled: 18-line block ×3, first 2 shown]
	v_mad_u32_u24 v36, v0, 31, 2
	v_cndmask_b32_e32 v26, 0, v9, vcc
	v_cmp_gt_u32_e32 vcc, s10, v27
	v_mul_u32_u24_e32 v17, 31, v0
	v_cmp_gt_u32_e64 s[2:3], s10, v17
	v_cndmask_b32_e32 v27, 0, v30, vcc
	v_cmp_gt_u32_e32 vcc, s10, v28
	v_perm_b32 v27, v27, v26, s5
	v_lshrrev_b32_e32 v28, 16, v8
	v_cndmask_b32_e32 v26, 0, v8, vcc
	v_cmp_gt_u32_e32 vcc, s10, v29
	v_mad_u32_u24 v29, v0, 31, 12
	v_mad_u32_u24 v30, v0, 31, 9
	v_cndmask_b32_e32 v28, 0, v28, vcc
	v_perm_b32 v26, v28, v26, s5
	v_mad_u32_u24 v28, v0, 31, 11
	v_cmp_gt_u32_e32 vcc, s10, v28
	v_mov_b32_e32 v17, v10
	ds_write_b16 v18, v1
	v_cndmask_b32_e32 v28, 0, v7, vcc
	v_cmp_gt_u32_e32 vcc, s10, v29
	s_waitcnt lgkmcnt(0)
	; wave barrier
	s_waitcnt lgkmcnt(0)
	v_cndmask_b32_e32 v29, 0, v32, vcc
	v_cmp_gt_u32_e32 vcc, s10, v30
	v_perm_b32 v29, v29, v28, s5
	v_lshrrev_b32_e32 v30, 16, v6
	v_cndmask_b32_e32 v28, 0, v6, vcc
	v_cmp_gt_u32_e32 vcc, s10, v31
	v_mad_u32_u24 v31, v0, 31, 8
	v_mad_u32_u24 v32, v0, 31, 5
	v_cndmask_b32_e32 v30, 0, v30, vcc
	v_perm_b32 v28, v30, v28, s5
	v_mad_u32_u24 v30, v0, 31, 7
	v_cmp_gt_u32_e32 vcc, s10, v30
	s_nop 1
	v_cndmask_b32_e32 v30, 0, v13, vcc
	v_cmp_gt_u32_e32 vcc, s10, v31
	s_nop 1
	v_cndmask_b32_e32 v31, 0, v35, vcc
	v_cmp_gt_u32_e32 vcc, s10, v32
	v_perm_b32 v31, v31, v30, s5
	v_lshrrev_b32_e32 v32, 16, v12
	v_cndmask_b32_e32 v30, 0, v12, vcc
	v_cmp_gt_u32_e32 vcc, s10, v33
	v_mad_u32_u24 v33, v0, 31, 4
	v_mad_u32_u24 v35, v0, 31, 1
	v_cndmask_b32_e32 v32, 0, v32, vcc
	v_perm_b32 v30, v32, v30, s5
	v_mad_u32_u24 v32, v0, 31, 3
	v_cmp_gt_u32_e32 vcc, s10, v32
	s_nop 1
	v_cndmask_b32_e32 v32, 0, v11, vcc
	v_cmp_gt_u32_e32 vcc, s10, v33
	s_nop 1
	v_cndmask_b32_e32 v33, 0, v37, vcc
	v_cmp_gt_u32_e32 vcc, s10, v35
	v_perm_b32 v33, v33, v32, s5
	v_lshrrev_b32_e32 v35, 16, v10
	v_cndmask_b32_e32 v32, 0, v10, vcc
	v_cmp_gt_u32_e32 vcc, s10, v36
	s_nop 1
	v_cndmask_b32_e32 v35, 0, v35, vcc
	v_cmp_ne_u32_e32 vcc, 0, v0
	v_perm_b32 v32, v35, v32, s5
	s_and_b64 s[12:13], vcc, s[2:3]
	s_and_saveexec_b64 s[2:3], s[12:13]
	s_cbranch_execz .LBB96_86
; %bb.85:
	v_add_u32_e32 v17, -2, v18
	ds_read_u16 v17, v17
	s_waitcnt lgkmcnt(0)
	v_add_u16_e32 v17, v17, v10
.LBB96_86:
	s_or_b64 exec, exec, s[2:3]
	v_perm_b32 v19, v34, v19, s5
.LBB96_87:
	s_add_u32 s6, s8, s6
	v_alignbit_b32 v10, v11, v10, 16
	v_alignbit_b32 v11, v12, v11, 16
	;; [unrolled: 1-line block ×15, first 2 shown]
	s_addc_u32 s7, s9, s7
	v_pk_add_u16 v11, v33, v11
	v_pk_add_u16 v10, v32, v10
	;; [unrolled: 1-line block ×15, first 2 shown]
	s_and_b64 vcc, exec, s[0:1]
	v_mul_u32_u24_e32 v1, 62, v0
	s_waitcnt lgkmcnt(0)
	; wave barrier
	s_cbranch_vccz .LBB96_149
; %bb.88:
	v_mul_i32_i24_e32 v52, 0xffffffc4, v0
	v_mad_u32_u24 v19, v0, 62, v52
	ds_write_b16 v1, v17
	ds_write_b128 v1, v[10:13] offset:2
	ds_write_b128 v1, v[6:9] offset:18
	;; [unrolled: 1-line block ×3, first 2 shown]
	ds_write_b96 v1, v[14:16] offset:50
	s_waitcnt lgkmcnt(0)
	; wave barrier
	s_waitcnt lgkmcnt(0)
	ds_read_u16 v51, v19 offset:128
	ds_read_u16 v50, v19 offset:256
	;; [unrolled: 1-line block ×17, first 2 shown]
	s_waitcnt vmcnt(0)
	ds_read_u16 v34, v19 offset:2304
	ds_read_u16 v33, v19 offset:2432
	;; [unrolled: 1-line block ×13, first 2 shown]
	s_mov_b32 s5, 0
	s_add_i32 s11, s11, s10
	s_lshl_b64 s[0:1], s[4:5], 1
	s_add_u32 s0, s6, s0
	s_addc_u32 s1, s7, s1
	v_mov_b32_e32 v19, 0
	v_lshl_add_u64 v[20:21], s[0:1], 0, v[18:19]
	v_cmp_gt_u32_e32 vcc, s11, v0
	s_and_saveexec_b64 s[0:1], vcc
	s_cbranch_execz .LBB96_90
; %bb.89:
	v_add_u32_e32 v19, v1, v52
	ds_read_u16 v19, v19
	s_waitcnt lgkmcnt(0)
	global_store_short v[20:21], v19, off
.LBB96_90:
	s_or_b64 exec, exec, s[0:1]
	v_or_b32_e32 v19, 64, v0
	v_cmp_gt_u32_e32 vcc, s11, v19
	s_and_saveexec_b64 s[0:1], vcc
	s_cbranch_execz .LBB96_92
; %bb.91:
	s_waitcnt lgkmcnt(14)
	global_store_short v[20:21], v51, off offset:128
.LBB96_92:
	s_or_b64 exec, exec, s[0:1]
	v_or_b32_e32 v19, 0x80, v0
	v_cmp_gt_u32_e32 vcc, s11, v19
	s_and_saveexec_b64 s[0:1], vcc
	s_cbranch_execz .LBB96_94
; %bb.93:
	s_waitcnt lgkmcnt(14)
	global_store_short v[20:21], v50, off offset:256
.LBB96_94:
	;; [unrolled: 9-line block ×29, first 2 shown]
	s_or_b64 exec, exec, s[0:1]
	v_or_b32_e32 v19, 0x780, v0
	v_cmp_gt_u32_e64 s[0:1], s11, v19
	s_branch .LBB96_151
.LBB96_149:
	s_mov_b64 s[0:1], 0
                                        ; implicit-def: $vgpr22
                                        ; implicit-def: $vgpr20_vgpr21
	s_cbranch_execz .LBB96_151
; %bb.150:
	ds_write_b16 v1, v17
	ds_write_b128 v1, v[10:13] offset:2
	ds_write_b128 v1, v[6:9] offset:18
	;; [unrolled: 1-line block ×3, first 2 shown]
	ds_write_b96 v1, v[14:16] offset:50
	v_mul_i32_i24_e32 v1, 0xffffffc4, v0
	s_mov_b32 s5, 0
	v_mad_u32_u24 v0, v0, 62, v1
	s_lshl_b64 s[2:3], s[4:5], 1
	s_waitcnt lgkmcnt(0)
	; wave barrier
	s_waitcnt lgkmcnt(0)
	ds_read_u16 v1, v0
	ds_read_u16 v2, v0 offset:128
	ds_read_u16 v3, v0 offset:256
	;; [unrolled: 1-line block ×27, first 2 shown]
	s_waitcnt vmcnt(0)
	ds_read_u16 v34, v0 offset:3584
	ds_read_u16 v35, v0 offset:3712
	ds_read_u16 v22, v0 offset:3840
	s_add_u32 s2, s6, s2
	s_addc_u32 s3, s7, s3
	v_mov_b32_e32 v19, 0
	v_lshl_add_u64 v[20:21], s[2:3], 0, v[18:19]
	s_or_b64 s[0:1], s[0:1], exec
	s_waitcnt lgkmcnt(14)
	global_store_short v18, v1, s[2:3]
	global_store_short v18, v2, s[2:3] offset:128
	global_store_short v18, v3, s[2:3] offset:256
	;; [unrolled: 1-line block ×16, first 2 shown]
	s_waitcnt lgkmcnt(13)
	global_store_short v18, v23, s[2:3] offset:2176
	s_waitcnt lgkmcnt(12)
	global_store_short v18, v24, s[2:3] offset:2304
	;; [unrolled: 2-line block ×13, first 2 shown]
.LBB96_151:
	s_and_saveexec_b64 s[2:3], s[0:1]
	s_cbranch_execnz .LBB96_153
; %bb.152:
	s_endpgm
.LBB96_153:
	s_waitcnt lgkmcnt(0)
	global_store_short v[20:21], v22, off offset:3840
	s_endpgm
	.section	.rodata,"a",@progbits
	.p2align	6, 0x0
	.amdhsa_kernel _ZN7rocprim17ROCPRIM_400000_NS6detail17trampoline_kernelINS0_14default_configENS1_35adjacent_difference_config_selectorILb1EsEEZNS1_24adjacent_difference_implIS3_Lb1ELb0EPsS7_N6thrust23THRUST_200600_302600_NS4plusIsEEEE10hipError_tPvRmT2_T3_mT4_P12ihipStream_tbEUlT_E_NS1_11comp_targetILNS1_3genE5ELNS1_11target_archE942ELNS1_3gpuE9ELNS1_3repE0EEENS1_30default_config_static_selectorELNS0_4arch9wavefront6targetE1EEEvT1_
		.amdhsa_group_segment_fixed_size 3968
		.amdhsa_private_segment_fixed_size 0
		.amdhsa_kernarg_size 56
		.amdhsa_user_sgpr_count 2
		.amdhsa_user_sgpr_dispatch_ptr 0
		.amdhsa_user_sgpr_queue_ptr 0
		.amdhsa_user_sgpr_kernarg_segment_ptr 1
		.amdhsa_user_sgpr_dispatch_id 0
		.amdhsa_user_sgpr_kernarg_preload_length 0
		.amdhsa_user_sgpr_kernarg_preload_offset 0
		.amdhsa_user_sgpr_private_segment_size 0
		.amdhsa_uses_dynamic_stack 0
		.amdhsa_enable_private_segment 0
		.amdhsa_system_sgpr_workgroup_id_x 1
		.amdhsa_system_sgpr_workgroup_id_y 0
		.amdhsa_system_sgpr_workgroup_id_z 0
		.amdhsa_system_sgpr_workgroup_info 0
		.amdhsa_system_vgpr_workitem_id 0
		.amdhsa_next_free_vgpr 53
		.amdhsa_next_free_sgpr 29
		.amdhsa_accum_offset 56
		.amdhsa_reserve_vcc 1
		.amdhsa_float_round_mode_32 0
		.amdhsa_float_round_mode_16_64 0
		.amdhsa_float_denorm_mode_32 3
		.amdhsa_float_denorm_mode_16_64 3
		.amdhsa_dx10_clamp 1
		.amdhsa_ieee_mode 1
		.amdhsa_fp16_overflow 0
		.amdhsa_tg_split 0
		.amdhsa_exception_fp_ieee_invalid_op 0
		.amdhsa_exception_fp_denorm_src 0
		.amdhsa_exception_fp_ieee_div_zero 0
		.amdhsa_exception_fp_ieee_overflow 0
		.amdhsa_exception_fp_ieee_underflow 0
		.amdhsa_exception_fp_ieee_inexact 0
		.amdhsa_exception_int_div_zero 0
	.end_amdhsa_kernel
	.section	.text._ZN7rocprim17ROCPRIM_400000_NS6detail17trampoline_kernelINS0_14default_configENS1_35adjacent_difference_config_selectorILb1EsEEZNS1_24adjacent_difference_implIS3_Lb1ELb0EPsS7_N6thrust23THRUST_200600_302600_NS4plusIsEEEE10hipError_tPvRmT2_T3_mT4_P12ihipStream_tbEUlT_E_NS1_11comp_targetILNS1_3genE5ELNS1_11target_archE942ELNS1_3gpuE9ELNS1_3repE0EEENS1_30default_config_static_selectorELNS0_4arch9wavefront6targetE1EEEvT1_,"axG",@progbits,_ZN7rocprim17ROCPRIM_400000_NS6detail17trampoline_kernelINS0_14default_configENS1_35adjacent_difference_config_selectorILb1EsEEZNS1_24adjacent_difference_implIS3_Lb1ELb0EPsS7_N6thrust23THRUST_200600_302600_NS4plusIsEEEE10hipError_tPvRmT2_T3_mT4_P12ihipStream_tbEUlT_E_NS1_11comp_targetILNS1_3genE5ELNS1_11target_archE942ELNS1_3gpuE9ELNS1_3repE0EEENS1_30default_config_static_selectorELNS0_4arch9wavefront6targetE1EEEvT1_,comdat
.Lfunc_end96:
	.size	_ZN7rocprim17ROCPRIM_400000_NS6detail17trampoline_kernelINS0_14default_configENS1_35adjacent_difference_config_selectorILb1EsEEZNS1_24adjacent_difference_implIS3_Lb1ELb0EPsS7_N6thrust23THRUST_200600_302600_NS4plusIsEEEE10hipError_tPvRmT2_T3_mT4_P12ihipStream_tbEUlT_E_NS1_11comp_targetILNS1_3genE5ELNS1_11target_archE942ELNS1_3gpuE9ELNS1_3repE0EEENS1_30default_config_static_selectorELNS0_4arch9wavefront6targetE1EEEvT1_, .Lfunc_end96-_ZN7rocprim17ROCPRIM_400000_NS6detail17trampoline_kernelINS0_14default_configENS1_35adjacent_difference_config_selectorILb1EsEEZNS1_24adjacent_difference_implIS3_Lb1ELb0EPsS7_N6thrust23THRUST_200600_302600_NS4plusIsEEEE10hipError_tPvRmT2_T3_mT4_P12ihipStream_tbEUlT_E_NS1_11comp_targetILNS1_3genE5ELNS1_11target_archE942ELNS1_3gpuE9ELNS1_3repE0EEENS1_30default_config_static_selectorELNS0_4arch9wavefront6targetE1EEEvT1_
                                        ; -- End function
	.section	.AMDGPU.csdata,"",@progbits
; Kernel info:
; codeLenInByte = 6700
; NumSgprs: 35
; NumVgprs: 53
; NumAgprs: 0
; TotalNumVgprs: 53
; ScratchSize: 0
; MemoryBound: 0
; FloatMode: 240
; IeeeMode: 1
; LDSByteSize: 3968 bytes/workgroup (compile time only)
; SGPRBlocks: 4
; VGPRBlocks: 6
; NumSGPRsForWavesPerEU: 35
; NumVGPRsForWavesPerEU: 53
; AccumOffset: 56
; Occupancy: 4
; WaveLimiterHint : 1
; COMPUTE_PGM_RSRC2:SCRATCH_EN: 0
; COMPUTE_PGM_RSRC2:USER_SGPR: 2
; COMPUTE_PGM_RSRC2:TRAP_HANDLER: 0
; COMPUTE_PGM_RSRC2:TGID_X_EN: 1
; COMPUTE_PGM_RSRC2:TGID_Y_EN: 0
; COMPUTE_PGM_RSRC2:TGID_Z_EN: 0
; COMPUTE_PGM_RSRC2:TIDIG_COMP_CNT: 0
; COMPUTE_PGM_RSRC3_GFX90A:ACCUM_OFFSET: 13
; COMPUTE_PGM_RSRC3_GFX90A:TG_SPLIT: 0
	.section	.text._ZN7rocprim17ROCPRIM_400000_NS6detail17trampoline_kernelINS0_14default_configENS1_35adjacent_difference_config_selectorILb1EsEEZNS1_24adjacent_difference_implIS3_Lb1ELb0EPsS7_N6thrust23THRUST_200600_302600_NS4plusIsEEEE10hipError_tPvRmT2_T3_mT4_P12ihipStream_tbEUlT_E_NS1_11comp_targetILNS1_3genE4ELNS1_11target_archE910ELNS1_3gpuE8ELNS1_3repE0EEENS1_30default_config_static_selectorELNS0_4arch9wavefront6targetE1EEEvT1_,"axG",@progbits,_ZN7rocprim17ROCPRIM_400000_NS6detail17trampoline_kernelINS0_14default_configENS1_35adjacent_difference_config_selectorILb1EsEEZNS1_24adjacent_difference_implIS3_Lb1ELb0EPsS7_N6thrust23THRUST_200600_302600_NS4plusIsEEEE10hipError_tPvRmT2_T3_mT4_P12ihipStream_tbEUlT_E_NS1_11comp_targetILNS1_3genE4ELNS1_11target_archE910ELNS1_3gpuE8ELNS1_3repE0EEENS1_30default_config_static_selectorELNS0_4arch9wavefront6targetE1EEEvT1_,comdat
	.protected	_ZN7rocprim17ROCPRIM_400000_NS6detail17trampoline_kernelINS0_14default_configENS1_35adjacent_difference_config_selectorILb1EsEEZNS1_24adjacent_difference_implIS3_Lb1ELb0EPsS7_N6thrust23THRUST_200600_302600_NS4plusIsEEEE10hipError_tPvRmT2_T3_mT4_P12ihipStream_tbEUlT_E_NS1_11comp_targetILNS1_3genE4ELNS1_11target_archE910ELNS1_3gpuE8ELNS1_3repE0EEENS1_30default_config_static_selectorELNS0_4arch9wavefront6targetE1EEEvT1_ ; -- Begin function _ZN7rocprim17ROCPRIM_400000_NS6detail17trampoline_kernelINS0_14default_configENS1_35adjacent_difference_config_selectorILb1EsEEZNS1_24adjacent_difference_implIS3_Lb1ELb0EPsS7_N6thrust23THRUST_200600_302600_NS4plusIsEEEE10hipError_tPvRmT2_T3_mT4_P12ihipStream_tbEUlT_E_NS1_11comp_targetILNS1_3genE4ELNS1_11target_archE910ELNS1_3gpuE8ELNS1_3repE0EEENS1_30default_config_static_selectorELNS0_4arch9wavefront6targetE1EEEvT1_
	.globl	_ZN7rocprim17ROCPRIM_400000_NS6detail17trampoline_kernelINS0_14default_configENS1_35adjacent_difference_config_selectorILb1EsEEZNS1_24adjacent_difference_implIS3_Lb1ELb0EPsS7_N6thrust23THRUST_200600_302600_NS4plusIsEEEE10hipError_tPvRmT2_T3_mT4_P12ihipStream_tbEUlT_E_NS1_11comp_targetILNS1_3genE4ELNS1_11target_archE910ELNS1_3gpuE8ELNS1_3repE0EEENS1_30default_config_static_selectorELNS0_4arch9wavefront6targetE1EEEvT1_
	.p2align	8
	.type	_ZN7rocprim17ROCPRIM_400000_NS6detail17trampoline_kernelINS0_14default_configENS1_35adjacent_difference_config_selectorILb1EsEEZNS1_24adjacent_difference_implIS3_Lb1ELb0EPsS7_N6thrust23THRUST_200600_302600_NS4plusIsEEEE10hipError_tPvRmT2_T3_mT4_P12ihipStream_tbEUlT_E_NS1_11comp_targetILNS1_3genE4ELNS1_11target_archE910ELNS1_3gpuE8ELNS1_3repE0EEENS1_30default_config_static_selectorELNS0_4arch9wavefront6targetE1EEEvT1_,@function
_ZN7rocprim17ROCPRIM_400000_NS6detail17trampoline_kernelINS0_14default_configENS1_35adjacent_difference_config_selectorILb1EsEEZNS1_24adjacent_difference_implIS3_Lb1ELb0EPsS7_N6thrust23THRUST_200600_302600_NS4plusIsEEEE10hipError_tPvRmT2_T3_mT4_P12ihipStream_tbEUlT_E_NS1_11comp_targetILNS1_3genE4ELNS1_11target_archE910ELNS1_3gpuE8ELNS1_3repE0EEENS1_30default_config_static_selectorELNS0_4arch9wavefront6targetE1EEEvT1_: ; @_ZN7rocprim17ROCPRIM_400000_NS6detail17trampoline_kernelINS0_14default_configENS1_35adjacent_difference_config_selectorILb1EsEEZNS1_24adjacent_difference_implIS3_Lb1ELb0EPsS7_N6thrust23THRUST_200600_302600_NS4plusIsEEEE10hipError_tPvRmT2_T3_mT4_P12ihipStream_tbEUlT_E_NS1_11comp_targetILNS1_3genE4ELNS1_11target_archE910ELNS1_3gpuE8ELNS1_3repE0EEENS1_30default_config_static_selectorELNS0_4arch9wavefront6targetE1EEEvT1_
; %bb.0:
	.section	.rodata,"a",@progbits
	.p2align	6, 0x0
	.amdhsa_kernel _ZN7rocprim17ROCPRIM_400000_NS6detail17trampoline_kernelINS0_14default_configENS1_35adjacent_difference_config_selectorILb1EsEEZNS1_24adjacent_difference_implIS3_Lb1ELb0EPsS7_N6thrust23THRUST_200600_302600_NS4plusIsEEEE10hipError_tPvRmT2_T3_mT4_P12ihipStream_tbEUlT_E_NS1_11comp_targetILNS1_3genE4ELNS1_11target_archE910ELNS1_3gpuE8ELNS1_3repE0EEENS1_30default_config_static_selectorELNS0_4arch9wavefront6targetE1EEEvT1_
		.amdhsa_group_segment_fixed_size 0
		.amdhsa_private_segment_fixed_size 0
		.amdhsa_kernarg_size 56
		.amdhsa_user_sgpr_count 2
		.amdhsa_user_sgpr_dispatch_ptr 0
		.amdhsa_user_sgpr_queue_ptr 0
		.amdhsa_user_sgpr_kernarg_segment_ptr 1
		.amdhsa_user_sgpr_dispatch_id 0
		.amdhsa_user_sgpr_kernarg_preload_length 0
		.amdhsa_user_sgpr_kernarg_preload_offset 0
		.amdhsa_user_sgpr_private_segment_size 0
		.amdhsa_uses_dynamic_stack 0
		.amdhsa_enable_private_segment 0
		.amdhsa_system_sgpr_workgroup_id_x 1
		.amdhsa_system_sgpr_workgroup_id_y 0
		.amdhsa_system_sgpr_workgroup_id_z 0
		.amdhsa_system_sgpr_workgroup_info 0
		.amdhsa_system_vgpr_workitem_id 0
		.amdhsa_next_free_vgpr 1
		.amdhsa_next_free_sgpr 0
		.amdhsa_accum_offset 4
		.amdhsa_reserve_vcc 0
		.amdhsa_float_round_mode_32 0
		.amdhsa_float_round_mode_16_64 0
		.amdhsa_float_denorm_mode_32 3
		.amdhsa_float_denorm_mode_16_64 3
		.amdhsa_dx10_clamp 1
		.amdhsa_ieee_mode 1
		.amdhsa_fp16_overflow 0
		.amdhsa_tg_split 0
		.amdhsa_exception_fp_ieee_invalid_op 0
		.amdhsa_exception_fp_denorm_src 0
		.amdhsa_exception_fp_ieee_div_zero 0
		.amdhsa_exception_fp_ieee_overflow 0
		.amdhsa_exception_fp_ieee_underflow 0
		.amdhsa_exception_fp_ieee_inexact 0
		.amdhsa_exception_int_div_zero 0
	.end_amdhsa_kernel
	.section	.text._ZN7rocprim17ROCPRIM_400000_NS6detail17trampoline_kernelINS0_14default_configENS1_35adjacent_difference_config_selectorILb1EsEEZNS1_24adjacent_difference_implIS3_Lb1ELb0EPsS7_N6thrust23THRUST_200600_302600_NS4plusIsEEEE10hipError_tPvRmT2_T3_mT4_P12ihipStream_tbEUlT_E_NS1_11comp_targetILNS1_3genE4ELNS1_11target_archE910ELNS1_3gpuE8ELNS1_3repE0EEENS1_30default_config_static_selectorELNS0_4arch9wavefront6targetE1EEEvT1_,"axG",@progbits,_ZN7rocprim17ROCPRIM_400000_NS6detail17trampoline_kernelINS0_14default_configENS1_35adjacent_difference_config_selectorILb1EsEEZNS1_24adjacent_difference_implIS3_Lb1ELb0EPsS7_N6thrust23THRUST_200600_302600_NS4plusIsEEEE10hipError_tPvRmT2_T3_mT4_P12ihipStream_tbEUlT_E_NS1_11comp_targetILNS1_3genE4ELNS1_11target_archE910ELNS1_3gpuE8ELNS1_3repE0EEENS1_30default_config_static_selectorELNS0_4arch9wavefront6targetE1EEEvT1_,comdat
.Lfunc_end97:
	.size	_ZN7rocprim17ROCPRIM_400000_NS6detail17trampoline_kernelINS0_14default_configENS1_35adjacent_difference_config_selectorILb1EsEEZNS1_24adjacent_difference_implIS3_Lb1ELb0EPsS7_N6thrust23THRUST_200600_302600_NS4plusIsEEEE10hipError_tPvRmT2_T3_mT4_P12ihipStream_tbEUlT_E_NS1_11comp_targetILNS1_3genE4ELNS1_11target_archE910ELNS1_3gpuE8ELNS1_3repE0EEENS1_30default_config_static_selectorELNS0_4arch9wavefront6targetE1EEEvT1_, .Lfunc_end97-_ZN7rocprim17ROCPRIM_400000_NS6detail17trampoline_kernelINS0_14default_configENS1_35adjacent_difference_config_selectorILb1EsEEZNS1_24adjacent_difference_implIS3_Lb1ELb0EPsS7_N6thrust23THRUST_200600_302600_NS4plusIsEEEE10hipError_tPvRmT2_T3_mT4_P12ihipStream_tbEUlT_E_NS1_11comp_targetILNS1_3genE4ELNS1_11target_archE910ELNS1_3gpuE8ELNS1_3repE0EEENS1_30default_config_static_selectorELNS0_4arch9wavefront6targetE1EEEvT1_
                                        ; -- End function
	.section	.AMDGPU.csdata,"",@progbits
; Kernel info:
; codeLenInByte = 0
; NumSgprs: 6
; NumVgprs: 0
; NumAgprs: 0
; TotalNumVgprs: 0
; ScratchSize: 0
; MemoryBound: 0
; FloatMode: 240
; IeeeMode: 1
; LDSByteSize: 0 bytes/workgroup (compile time only)
; SGPRBlocks: 0
; VGPRBlocks: 0
; NumSGPRsForWavesPerEU: 6
; NumVGPRsForWavesPerEU: 1
; AccumOffset: 4
; Occupancy: 8
; WaveLimiterHint : 0
; COMPUTE_PGM_RSRC2:SCRATCH_EN: 0
; COMPUTE_PGM_RSRC2:USER_SGPR: 2
; COMPUTE_PGM_RSRC2:TRAP_HANDLER: 0
; COMPUTE_PGM_RSRC2:TGID_X_EN: 1
; COMPUTE_PGM_RSRC2:TGID_Y_EN: 0
; COMPUTE_PGM_RSRC2:TGID_Z_EN: 0
; COMPUTE_PGM_RSRC2:TIDIG_COMP_CNT: 0
; COMPUTE_PGM_RSRC3_GFX90A:ACCUM_OFFSET: 0
; COMPUTE_PGM_RSRC3_GFX90A:TG_SPLIT: 0
	.section	.text._ZN7rocprim17ROCPRIM_400000_NS6detail17trampoline_kernelINS0_14default_configENS1_35adjacent_difference_config_selectorILb1EsEEZNS1_24adjacent_difference_implIS3_Lb1ELb0EPsS7_N6thrust23THRUST_200600_302600_NS4plusIsEEEE10hipError_tPvRmT2_T3_mT4_P12ihipStream_tbEUlT_E_NS1_11comp_targetILNS1_3genE3ELNS1_11target_archE908ELNS1_3gpuE7ELNS1_3repE0EEENS1_30default_config_static_selectorELNS0_4arch9wavefront6targetE1EEEvT1_,"axG",@progbits,_ZN7rocprim17ROCPRIM_400000_NS6detail17trampoline_kernelINS0_14default_configENS1_35adjacent_difference_config_selectorILb1EsEEZNS1_24adjacent_difference_implIS3_Lb1ELb0EPsS7_N6thrust23THRUST_200600_302600_NS4plusIsEEEE10hipError_tPvRmT2_T3_mT4_P12ihipStream_tbEUlT_E_NS1_11comp_targetILNS1_3genE3ELNS1_11target_archE908ELNS1_3gpuE7ELNS1_3repE0EEENS1_30default_config_static_selectorELNS0_4arch9wavefront6targetE1EEEvT1_,comdat
	.protected	_ZN7rocprim17ROCPRIM_400000_NS6detail17trampoline_kernelINS0_14default_configENS1_35adjacent_difference_config_selectorILb1EsEEZNS1_24adjacent_difference_implIS3_Lb1ELb0EPsS7_N6thrust23THRUST_200600_302600_NS4plusIsEEEE10hipError_tPvRmT2_T3_mT4_P12ihipStream_tbEUlT_E_NS1_11comp_targetILNS1_3genE3ELNS1_11target_archE908ELNS1_3gpuE7ELNS1_3repE0EEENS1_30default_config_static_selectorELNS0_4arch9wavefront6targetE1EEEvT1_ ; -- Begin function _ZN7rocprim17ROCPRIM_400000_NS6detail17trampoline_kernelINS0_14default_configENS1_35adjacent_difference_config_selectorILb1EsEEZNS1_24adjacent_difference_implIS3_Lb1ELb0EPsS7_N6thrust23THRUST_200600_302600_NS4plusIsEEEE10hipError_tPvRmT2_T3_mT4_P12ihipStream_tbEUlT_E_NS1_11comp_targetILNS1_3genE3ELNS1_11target_archE908ELNS1_3gpuE7ELNS1_3repE0EEENS1_30default_config_static_selectorELNS0_4arch9wavefront6targetE1EEEvT1_
	.globl	_ZN7rocprim17ROCPRIM_400000_NS6detail17trampoline_kernelINS0_14default_configENS1_35adjacent_difference_config_selectorILb1EsEEZNS1_24adjacent_difference_implIS3_Lb1ELb0EPsS7_N6thrust23THRUST_200600_302600_NS4plusIsEEEE10hipError_tPvRmT2_T3_mT4_P12ihipStream_tbEUlT_E_NS1_11comp_targetILNS1_3genE3ELNS1_11target_archE908ELNS1_3gpuE7ELNS1_3repE0EEENS1_30default_config_static_selectorELNS0_4arch9wavefront6targetE1EEEvT1_
	.p2align	8
	.type	_ZN7rocprim17ROCPRIM_400000_NS6detail17trampoline_kernelINS0_14default_configENS1_35adjacent_difference_config_selectorILb1EsEEZNS1_24adjacent_difference_implIS3_Lb1ELb0EPsS7_N6thrust23THRUST_200600_302600_NS4plusIsEEEE10hipError_tPvRmT2_T3_mT4_P12ihipStream_tbEUlT_E_NS1_11comp_targetILNS1_3genE3ELNS1_11target_archE908ELNS1_3gpuE7ELNS1_3repE0EEENS1_30default_config_static_selectorELNS0_4arch9wavefront6targetE1EEEvT1_,@function
_ZN7rocprim17ROCPRIM_400000_NS6detail17trampoline_kernelINS0_14default_configENS1_35adjacent_difference_config_selectorILb1EsEEZNS1_24adjacent_difference_implIS3_Lb1ELb0EPsS7_N6thrust23THRUST_200600_302600_NS4plusIsEEEE10hipError_tPvRmT2_T3_mT4_P12ihipStream_tbEUlT_E_NS1_11comp_targetILNS1_3genE3ELNS1_11target_archE908ELNS1_3gpuE7ELNS1_3repE0EEENS1_30default_config_static_selectorELNS0_4arch9wavefront6targetE1EEEvT1_: ; @_ZN7rocprim17ROCPRIM_400000_NS6detail17trampoline_kernelINS0_14default_configENS1_35adjacent_difference_config_selectorILb1EsEEZNS1_24adjacent_difference_implIS3_Lb1ELb0EPsS7_N6thrust23THRUST_200600_302600_NS4plusIsEEEE10hipError_tPvRmT2_T3_mT4_P12ihipStream_tbEUlT_E_NS1_11comp_targetILNS1_3genE3ELNS1_11target_archE908ELNS1_3gpuE7ELNS1_3repE0EEENS1_30default_config_static_selectorELNS0_4arch9wavefront6targetE1EEEvT1_
; %bb.0:
	.section	.rodata,"a",@progbits
	.p2align	6, 0x0
	.amdhsa_kernel _ZN7rocprim17ROCPRIM_400000_NS6detail17trampoline_kernelINS0_14default_configENS1_35adjacent_difference_config_selectorILb1EsEEZNS1_24adjacent_difference_implIS3_Lb1ELb0EPsS7_N6thrust23THRUST_200600_302600_NS4plusIsEEEE10hipError_tPvRmT2_T3_mT4_P12ihipStream_tbEUlT_E_NS1_11comp_targetILNS1_3genE3ELNS1_11target_archE908ELNS1_3gpuE7ELNS1_3repE0EEENS1_30default_config_static_selectorELNS0_4arch9wavefront6targetE1EEEvT1_
		.amdhsa_group_segment_fixed_size 0
		.amdhsa_private_segment_fixed_size 0
		.amdhsa_kernarg_size 56
		.amdhsa_user_sgpr_count 2
		.amdhsa_user_sgpr_dispatch_ptr 0
		.amdhsa_user_sgpr_queue_ptr 0
		.amdhsa_user_sgpr_kernarg_segment_ptr 1
		.amdhsa_user_sgpr_dispatch_id 0
		.amdhsa_user_sgpr_kernarg_preload_length 0
		.amdhsa_user_sgpr_kernarg_preload_offset 0
		.amdhsa_user_sgpr_private_segment_size 0
		.amdhsa_uses_dynamic_stack 0
		.amdhsa_enable_private_segment 0
		.amdhsa_system_sgpr_workgroup_id_x 1
		.amdhsa_system_sgpr_workgroup_id_y 0
		.amdhsa_system_sgpr_workgroup_id_z 0
		.amdhsa_system_sgpr_workgroup_info 0
		.amdhsa_system_vgpr_workitem_id 0
		.amdhsa_next_free_vgpr 1
		.amdhsa_next_free_sgpr 0
		.amdhsa_accum_offset 4
		.amdhsa_reserve_vcc 0
		.amdhsa_float_round_mode_32 0
		.amdhsa_float_round_mode_16_64 0
		.amdhsa_float_denorm_mode_32 3
		.amdhsa_float_denorm_mode_16_64 3
		.amdhsa_dx10_clamp 1
		.amdhsa_ieee_mode 1
		.amdhsa_fp16_overflow 0
		.amdhsa_tg_split 0
		.amdhsa_exception_fp_ieee_invalid_op 0
		.amdhsa_exception_fp_denorm_src 0
		.amdhsa_exception_fp_ieee_div_zero 0
		.amdhsa_exception_fp_ieee_overflow 0
		.amdhsa_exception_fp_ieee_underflow 0
		.amdhsa_exception_fp_ieee_inexact 0
		.amdhsa_exception_int_div_zero 0
	.end_amdhsa_kernel
	.section	.text._ZN7rocprim17ROCPRIM_400000_NS6detail17trampoline_kernelINS0_14default_configENS1_35adjacent_difference_config_selectorILb1EsEEZNS1_24adjacent_difference_implIS3_Lb1ELb0EPsS7_N6thrust23THRUST_200600_302600_NS4plusIsEEEE10hipError_tPvRmT2_T3_mT4_P12ihipStream_tbEUlT_E_NS1_11comp_targetILNS1_3genE3ELNS1_11target_archE908ELNS1_3gpuE7ELNS1_3repE0EEENS1_30default_config_static_selectorELNS0_4arch9wavefront6targetE1EEEvT1_,"axG",@progbits,_ZN7rocprim17ROCPRIM_400000_NS6detail17trampoline_kernelINS0_14default_configENS1_35adjacent_difference_config_selectorILb1EsEEZNS1_24adjacent_difference_implIS3_Lb1ELb0EPsS7_N6thrust23THRUST_200600_302600_NS4plusIsEEEE10hipError_tPvRmT2_T3_mT4_P12ihipStream_tbEUlT_E_NS1_11comp_targetILNS1_3genE3ELNS1_11target_archE908ELNS1_3gpuE7ELNS1_3repE0EEENS1_30default_config_static_selectorELNS0_4arch9wavefront6targetE1EEEvT1_,comdat
.Lfunc_end98:
	.size	_ZN7rocprim17ROCPRIM_400000_NS6detail17trampoline_kernelINS0_14default_configENS1_35adjacent_difference_config_selectorILb1EsEEZNS1_24adjacent_difference_implIS3_Lb1ELb0EPsS7_N6thrust23THRUST_200600_302600_NS4plusIsEEEE10hipError_tPvRmT2_T3_mT4_P12ihipStream_tbEUlT_E_NS1_11comp_targetILNS1_3genE3ELNS1_11target_archE908ELNS1_3gpuE7ELNS1_3repE0EEENS1_30default_config_static_selectorELNS0_4arch9wavefront6targetE1EEEvT1_, .Lfunc_end98-_ZN7rocprim17ROCPRIM_400000_NS6detail17trampoline_kernelINS0_14default_configENS1_35adjacent_difference_config_selectorILb1EsEEZNS1_24adjacent_difference_implIS3_Lb1ELb0EPsS7_N6thrust23THRUST_200600_302600_NS4plusIsEEEE10hipError_tPvRmT2_T3_mT4_P12ihipStream_tbEUlT_E_NS1_11comp_targetILNS1_3genE3ELNS1_11target_archE908ELNS1_3gpuE7ELNS1_3repE0EEENS1_30default_config_static_selectorELNS0_4arch9wavefront6targetE1EEEvT1_
                                        ; -- End function
	.section	.AMDGPU.csdata,"",@progbits
; Kernel info:
; codeLenInByte = 0
; NumSgprs: 6
; NumVgprs: 0
; NumAgprs: 0
; TotalNumVgprs: 0
; ScratchSize: 0
; MemoryBound: 0
; FloatMode: 240
; IeeeMode: 1
; LDSByteSize: 0 bytes/workgroup (compile time only)
; SGPRBlocks: 0
; VGPRBlocks: 0
; NumSGPRsForWavesPerEU: 6
; NumVGPRsForWavesPerEU: 1
; AccumOffset: 4
; Occupancy: 8
; WaveLimiterHint : 0
; COMPUTE_PGM_RSRC2:SCRATCH_EN: 0
; COMPUTE_PGM_RSRC2:USER_SGPR: 2
; COMPUTE_PGM_RSRC2:TRAP_HANDLER: 0
; COMPUTE_PGM_RSRC2:TGID_X_EN: 1
; COMPUTE_PGM_RSRC2:TGID_Y_EN: 0
; COMPUTE_PGM_RSRC2:TGID_Z_EN: 0
; COMPUTE_PGM_RSRC2:TIDIG_COMP_CNT: 0
; COMPUTE_PGM_RSRC3_GFX90A:ACCUM_OFFSET: 0
; COMPUTE_PGM_RSRC3_GFX90A:TG_SPLIT: 0
	.section	.text._ZN7rocprim17ROCPRIM_400000_NS6detail17trampoline_kernelINS0_14default_configENS1_35adjacent_difference_config_selectorILb1EsEEZNS1_24adjacent_difference_implIS3_Lb1ELb0EPsS7_N6thrust23THRUST_200600_302600_NS4plusIsEEEE10hipError_tPvRmT2_T3_mT4_P12ihipStream_tbEUlT_E_NS1_11comp_targetILNS1_3genE2ELNS1_11target_archE906ELNS1_3gpuE6ELNS1_3repE0EEENS1_30default_config_static_selectorELNS0_4arch9wavefront6targetE1EEEvT1_,"axG",@progbits,_ZN7rocprim17ROCPRIM_400000_NS6detail17trampoline_kernelINS0_14default_configENS1_35adjacent_difference_config_selectorILb1EsEEZNS1_24adjacent_difference_implIS3_Lb1ELb0EPsS7_N6thrust23THRUST_200600_302600_NS4plusIsEEEE10hipError_tPvRmT2_T3_mT4_P12ihipStream_tbEUlT_E_NS1_11comp_targetILNS1_3genE2ELNS1_11target_archE906ELNS1_3gpuE6ELNS1_3repE0EEENS1_30default_config_static_selectorELNS0_4arch9wavefront6targetE1EEEvT1_,comdat
	.protected	_ZN7rocprim17ROCPRIM_400000_NS6detail17trampoline_kernelINS0_14default_configENS1_35adjacent_difference_config_selectorILb1EsEEZNS1_24adjacent_difference_implIS3_Lb1ELb0EPsS7_N6thrust23THRUST_200600_302600_NS4plusIsEEEE10hipError_tPvRmT2_T3_mT4_P12ihipStream_tbEUlT_E_NS1_11comp_targetILNS1_3genE2ELNS1_11target_archE906ELNS1_3gpuE6ELNS1_3repE0EEENS1_30default_config_static_selectorELNS0_4arch9wavefront6targetE1EEEvT1_ ; -- Begin function _ZN7rocprim17ROCPRIM_400000_NS6detail17trampoline_kernelINS0_14default_configENS1_35adjacent_difference_config_selectorILb1EsEEZNS1_24adjacent_difference_implIS3_Lb1ELb0EPsS7_N6thrust23THRUST_200600_302600_NS4plusIsEEEE10hipError_tPvRmT2_T3_mT4_P12ihipStream_tbEUlT_E_NS1_11comp_targetILNS1_3genE2ELNS1_11target_archE906ELNS1_3gpuE6ELNS1_3repE0EEENS1_30default_config_static_selectorELNS0_4arch9wavefront6targetE1EEEvT1_
	.globl	_ZN7rocprim17ROCPRIM_400000_NS6detail17trampoline_kernelINS0_14default_configENS1_35adjacent_difference_config_selectorILb1EsEEZNS1_24adjacent_difference_implIS3_Lb1ELb0EPsS7_N6thrust23THRUST_200600_302600_NS4plusIsEEEE10hipError_tPvRmT2_T3_mT4_P12ihipStream_tbEUlT_E_NS1_11comp_targetILNS1_3genE2ELNS1_11target_archE906ELNS1_3gpuE6ELNS1_3repE0EEENS1_30default_config_static_selectorELNS0_4arch9wavefront6targetE1EEEvT1_
	.p2align	8
	.type	_ZN7rocprim17ROCPRIM_400000_NS6detail17trampoline_kernelINS0_14default_configENS1_35adjacent_difference_config_selectorILb1EsEEZNS1_24adjacent_difference_implIS3_Lb1ELb0EPsS7_N6thrust23THRUST_200600_302600_NS4plusIsEEEE10hipError_tPvRmT2_T3_mT4_P12ihipStream_tbEUlT_E_NS1_11comp_targetILNS1_3genE2ELNS1_11target_archE906ELNS1_3gpuE6ELNS1_3repE0EEENS1_30default_config_static_selectorELNS0_4arch9wavefront6targetE1EEEvT1_,@function
_ZN7rocprim17ROCPRIM_400000_NS6detail17trampoline_kernelINS0_14default_configENS1_35adjacent_difference_config_selectorILb1EsEEZNS1_24adjacent_difference_implIS3_Lb1ELb0EPsS7_N6thrust23THRUST_200600_302600_NS4plusIsEEEE10hipError_tPvRmT2_T3_mT4_P12ihipStream_tbEUlT_E_NS1_11comp_targetILNS1_3genE2ELNS1_11target_archE906ELNS1_3gpuE6ELNS1_3repE0EEENS1_30default_config_static_selectorELNS0_4arch9wavefront6targetE1EEEvT1_: ; @_ZN7rocprim17ROCPRIM_400000_NS6detail17trampoline_kernelINS0_14default_configENS1_35adjacent_difference_config_selectorILb1EsEEZNS1_24adjacent_difference_implIS3_Lb1ELb0EPsS7_N6thrust23THRUST_200600_302600_NS4plusIsEEEE10hipError_tPvRmT2_T3_mT4_P12ihipStream_tbEUlT_E_NS1_11comp_targetILNS1_3genE2ELNS1_11target_archE906ELNS1_3gpuE6ELNS1_3repE0EEENS1_30default_config_static_selectorELNS0_4arch9wavefront6targetE1EEEvT1_
; %bb.0:
	.section	.rodata,"a",@progbits
	.p2align	6, 0x0
	.amdhsa_kernel _ZN7rocprim17ROCPRIM_400000_NS6detail17trampoline_kernelINS0_14default_configENS1_35adjacent_difference_config_selectorILb1EsEEZNS1_24adjacent_difference_implIS3_Lb1ELb0EPsS7_N6thrust23THRUST_200600_302600_NS4plusIsEEEE10hipError_tPvRmT2_T3_mT4_P12ihipStream_tbEUlT_E_NS1_11comp_targetILNS1_3genE2ELNS1_11target_archE906ELNS1_3gpuE6ELNS1_3repE0EEENS1_30default_config_static_selectorELNS0_4arch9wavefront6targetE1EEEvT1_
		.amdhsa_group_segment_fixed_size 0
		.amdhsa_private_segment_fixed_size 0
		.amdhsa_kernarg_size 56
		.amdhsa_user_sgpr_count 2
		.amdhsa_user_sgpr_dispatch_ptr 0
		.amdhsa_user_sgpr_queue_ptr 0
		.amdhsa_user_sgpr_kernarg_segment_ptr 1
		.amdhsa_user_sgpr_dispatch_id 0
		.amdhsa_user_sgpr_kernarg_preload_length 0
		.amdhsa_user_sgpr_kernarg_preload_offset 0
		.amdhsa_user_sgpr_private_segment_size 0
		.amdhsa_uses_dynamic_stack 0
		.amdhsa_enable_private_segment 0
		.amdhsa_system_sgpr_workgroup_id_x 1
		.amdhsa_system_sgpr_workgroup_id_y 0
		.amdhsa_system_sgpr_workgroup_id_z 0
		.amdhsa_system_sgpr_workgroup_info 0
		.amdhsa_system_vgpr_workitem_id 0
		.amdhsa_next_free_vgpr 1
		.amdhsa_next_free_sgpr 0
		.amdhsa_accum_offset 4
		.amdhsa_reserve_vcc 0
		.amdhsa_float_round_mode_32 0
		.amdhsa_float_round_mode_16_64 0
		.amdhsa_float_denorm_mode_32 3
		.amdhsa_float_denorm_mode_16_64 3
		.amdhsa_dx10_clamp 1
		.amdhsa_ieee_mode 1
		.amdhsa_fp16_overflow 0
		.amdhsa_tg_split 0
		.amdhsa_exception_fp_ieee_invalid_op 0
		.amdhsa_exception_fp_denorm_src 0
		.amdhsa_exception_fp_ieee_div_zero 0
		.amdhsa_exception_fp_ieee_overflow 0
		.amdhsa_exception_fp_ieee_underflow 0
		.amdhsa_exception_fp_ieee_inexact 0
		.amdhsa_exception_int_div_zero 0
	.end_amdhsa_kernel
	.section	.text._ZN7rocprim17ROCPRIM_400000_NS6detail17trampoline_kernelINS0_14default_configENS1_35adjacent_difference_config_selectorILb1EsEEZNS1_24adjacent_difference_implIS3_Lb1ELb0EPsS7_N6thrust23THRUST_200600_302600_NS4plusIsEEEE10hipError_tPvRmT2_T3_mT4_P12ihipStream_tbEUlT_E_NS1_11comp_targetILNS1_3genE2ELNS1_11target_archE906ELNS1_3gpuE6ELNS1_3repE0EEENS1_30default_config_static_selectorELNS0_4arch9wavefront6targetE1EEEvT1_,"axG",@progbits,_ZN7rocprim17ROCPRIM_400000_NS6detail17trampoline_kernelINS0_14default_configENS1_35adjacent_difference_config_selectorILb1EsEEZNS1_24adjacent_difference_implIS3_Lb1ELb0EPsS7_N6thrust23THRUST_200600_302600_NS4plusIsEEEE10hipError_tPvRmT2_T3_mT4_P12ihipStream_tbEUlT_E_NS1_11comp_targetILNS1_3genE2ELNS1_11target_archE906ELNS1_3gpuE6ELNS1_3repE0EEENS1_30default_config_static_selectorELNS0_4arch9wavefront6targetE1EEEvT1_,comdat
.Lfunc_end99:
	.size	_ZN7rocprim17ROCPRIM_400000_NS6detail17trampoline_kernelINS0_14default_configENS1_35adjacent_difference_config_selectorILb1EsEEZNS1_24adjacent_difference_implIS3_Lb1ELb0EPsS7_N6thrust23THRUST_200600_302600_NS4plusIsEEEE10hipError_tPvRmT2_T3_mT4_P12ihipStream_tbEUlT_E_NS1_11comp_targetILNS1_3genE2ELNS1_11target_archE906ELNS1_3gpuE6ELNS1_3repE0EEENS1_30default_config_static_selectorELNS0_4arch9wavefront6targetE1EEEvT1_, .Lfunc_end99-_ZN7rocprim17ROCPRIM_400000_NS6detail17trampoline_kernelINS0_14default_configENS1_35adjacent_difference_config_selectorILb1EsEEZNS1_24adjacent_difference_implIS3_Lb1ELb0EPsS7_N6thrust23THRUST_200600_302600_NS4plusIsEEEE10hipError_tPvRmT2_T3_mT4_P12ihipStream_tbEUlT_E_NS1_11comp_targetILNS1_3genE2ELNS1_11target_archE906ELNS1_3gpuE6ELNS1_3repE0EEENS1_30default_config_static_selectorELNS0_4arch9wavefront6targetE1EEEvT1_
                                        ; -- End function
	.section	.AMDGPU.csdata,"",@progbits
; Kernel info:
; codeLenInByte = 0
; NumSgprs: 6
; NumVgprs: 0
; NumAgprs: 0
; TotalNumVgprs: 0
; ScratchSize: 0
; MemoryBound: 0
; FloatMode: 240
; IeeeMode: 1
; LDSByteSize: 0 bytes/workgroup (compile time only)
; SGPRBlocks: 0
; VGPRBlocks: 0
; NumSGPRsForWavesPerEU: 6
; NumVGPRsForWavesPerEU: 1
; AccumOffset: 4
; Occupancy: 8
; WaveLimiterHint : 0
; COMPUTE_PGM_RSRC2:SCRATCH_EN: 0
; COMPUTE_PGM_RSRC2:USER_SGPR: 2
; COMPUTE_PGM_RSRC2:TRAP_HANDLER: 0
; COMPUTE_PGM_RSRC2:TGID_X_EN: 1
; COMPUTE_PGM_RSRC2:TGID_Y_EN: 0
; COMPUTE_PGM_RSRC2:TGID_Z_EN: 0
; COMPUTE_PGM_RSRC2:TIDIG_COMP_CNT: 0
; COMPUTE_PGM_RSRC3_GFX90A:ACCUM_OFFSET: 0
; COMPUTE_PGM_RSRC3_GFX90A:TG_SPLIT: 0
	.section	.text._ZN7rocprim17ROCPRIM_400000_NS6detail17trampoline_kernelINS0_14default_configENS1_35adjacent_difference_config_selectorILb1EsEEZNS1_24adjacent_difference_implIS3_Lb1ELb0EPsS7_N6thrust23THRUST_200600_302600_NS4plusIsEEEE10hipError_tPvRmT2_T3_mT4_P12ihipStream_tbEUlT_E_NS1_11comp_targetILNS1_3genE9ELNS1_11target_archE1100ELNS1_3gpuE3ELNS1_3repE0EEENS1_30default_config_static_selectorELNS0_4arch9wavefront6targetE1EEEvT1_,"axG",@progbits,_ZN7rocprim17ROCPRIM_400000_NS6detail17trampoline_kernelINS0_14default_configENS1_35adjacent_difference_config_selectorILb1EsEEZNS1_24adjacent_difference_implIS3_Lb1ELb0EPsS7_N6thrust23THRUST_200600_302600_NS4plusIsEEEE10hipError_tPvRmT2_T3_mT4_P12ihipStream_tbEUlT_E_NS1_11comp_targetILNS1_3genE9ELNS1_11target_archE1100ELNS1_3gpuE3ELNS1_3repE0EEENS1_30default_config_static_selectorELNS0_4arch9wavefront6targetE1EEEvT1_,comdat
	.protected	_ZN7rocprim17ROCPRIM_400000_NS6detail17trampoline_kernelINS0_14default_configENS1_35adjacent_difference_config_selectorILb1EsEEZNS1_24adjacent_difference_implIS3_Lb1ELb0EPsS7_N6thrust23THRUST_200600_302600_NS4plusIsEEEE10hipError_tPvRmT2_T3_mT4_P12ihipStream_tbEUlT_E_NS1_11comp_targetILNS1_3genE9ELNS1_11target_archE1100ELNS1_3gpuE3ELNS1_3repE0EEENS1_30default_config_static_selectorELNS0_4arch9wavefront6targetE1EEEvT1_ ; -- Begin function _ZN7rocprim17ROCPRIM_400000_NS6detail17trampoline_kernelINS0_14default_configENS1_35adjacent_difference_config_selectorILb1EsEEZNS1_24adjacent_difference_implIS3_Lb1ELb0EPsS7_N6thrust23THRUST_200600_302600_NS4plusIsEEEE10hipError_tPvRmT2_T3_mT4_P12ihipStream_tbEUlT_E_NS1_11comp_targetILNS1_3genE9ELNS1_11target_archE1100ELNS1_3gpuE3ELNS1_3repE0EEENS1_30default_config_static_selectorELNS0_4arch9wavefront6targetE1EEEvT1_
	.globl	_ZN7rocprim17ROCPRIM_400000_NS6detail17trampoline_kernelINS0_14default_configENS1_35adjacent_difference_config_selectorILb1EsEEZNS1_24adjacent_difference_implIS3_Lb1ELb0EPsS7_N6thrust23THRUST_200600_302600_NS4plusIsEEEE10hipError_tPvRmT2_T3_mT4_P12ihipStream_tbEUlT_E_NS1_11comp_targetILNS1_3genE9ELNS1_11target_archE1100ELNS1_3gpuE3ELNS1_3repE0EEENS1_30default_config_static_selectorELNS0_4arch9wavefront6targetE1EEEvT1_
	.p2align	8
	.type	_ZN7rocprim17ROCPRIM_400000_NS6detail17trampoline_kernelINS0_14default_configENS1_35adjacent_difference_config_selectorILb1EsEEZNS1_24adjacent_difference_implIS3_Lb1ELb0EPsS7_N6thrust23THRUST_200600_302600_NS4plusIsEEEE10hipError_tPvRmT2_T3_mT4_P12ihipStream_tbEUlT_E_NS1_11comp_targetILNS1_3genE9ELNS1_11target_archE1100ELNS1_3gpuE3ELNS1_3repE0EEENS1_30default_config_static_selectorELNS0_4arch9wavefront6targetE1EEEvT1_,@function
_ZN7rocprim17ROCPRIM_400000_NS6detail17trampoline_kernelINS0_14default_configENS1_35adjacent_difference_config_selectorILb1EsEEZNS1_24adjacent_difference_implIS3_Lb1ELb0EPsS7_N6thrust23THRUST_200600_302600_NS4plusIsEEEE10hipError_tPvRmT2_T3_mT4_P12ihipStream_tbEUlT_E_NS1_11comp_targetILNS1_3genE9ELNS1_11target_archE1100ELNS1_3gpuE3ELNS1_3repE0EEENS1_30default_config_static_selectorELNS0_4arch9wavefront6targetE1EEEvT1_: ; @_ZN7rocprim17ROCPRIM_400000_NS6detail17trampoline_kernelINS0_14default_configENS1_35adjacent_difference_config_selectorILb1EsEEZNS1_24adjacent_difference_implIS3_Lb1ELb0EPsS7_N6thrust23THRUST_200600_302600_NS4plusIsEEEE10hipError_tPvRmT2_T3_mT4_P12ihipStream_tbEUlT_E_NS1_11comp_targetILNS1_3genE9ELNS1_11target_archE1100ELNS1_3gpuE3ELNS1_3repE0EEENS1_30default_config_static_selectorELNS0_4arch9wavefront6targetE1EEEvT1_
; %bb.0:
	.section	.rodata,"a",@progbits
	.p2align	6, 0x0
	.amdhsa_kernel _ZN7rocprim17ROCPRIM_400000_NS6detail17trampoline_kernelINS0_14default_configENS1_35adjacent_difference_config_selectorILb1EsEEZNS1_24adjacent_difference_implIS3_Lb1ELb0EPsS7_N6thrust23THRUST_200600_302600_NS4plusIsEEEE10hipError_tPvRmT2_T3_mT4_P12ihipStream_tbEUlT_E_NS1_11comp_targetILNS1_3genE9ELNS1_11target_archE1100ELNS1_3gpuE3ELNS1_3repE0EEENS1_30default_config_static_selectorELNS0_4arch9wavefront6targetE1EEEvT1_
		.amdhsa_group_segment_fixed_size 0
		.amdhsa_private_segment_fixed_size 0
		.amdhsa_kernarg_size 56
		.amdhsa_user_sgpr_count 2
		.amdhsa_user_sgpr_dispatch_ptr 0
		.amdhsa_user_sgpr_queue_ptr 0
		.amdhsa_user_sgpr_kernarg_segment_ptr 1
		.amdhsa_user_sgpr_dispatch_id 0
		.amdhsa_user_sgpr_kernarg_preload_length 0
		.amdhsa_user_sgpr_kernarg_preload_offset 0
		.amdhsa_user_sgpr_private_segment_size 0
		.amdhsa_uses_dynamic_stack 0
		.amdhsa_enable_private_segment 0
		.amdhsa_system_sgpr_workgroup_id_x 1
		.amdhsa_system_sgpr_workgroup_id_y 0
		.amdhsa_system_sgpr_workgroup_id_z 0
		.amdhsa_system_sgpr_workgroup_info 0
		.amdhsa_system_vgpr_workitem_id 0
		.amdhsa_next_free_vgpr 1
		.amdhsa_next_free_sgpr 0
		.amdhsa_accum_offset 4
		.amdhsa_reserve_vcc 0
		.amdhsa_float_round_mode_32 0
		.amdhsa_float_round_mode_16_64 0
		.amdhsa_float_denorm_mode_32 3
		.amdhsa_float_denorm_mode_16_64 3
		.amdhsa_dx10_clamp 1
		.amdhsa_ieee_mode 1
		.amdhsa_fp16_overflow 0
		.amdhsa_tg_split 0
		.amdhsa_exception_fp_ieee_invalid_op 0
		.amdhsa_exception_fp_denorm_src 0
		.amdhsa_exception_fp_ieee_div_zero 0
		.amdhsa_exception_fp_ieee_overflow 0
		.amdhsa_exception_fp_ieee_underflow 0
		.amdhsa_exception_fp_ieee_inexact 0
		.amdhsa_exception_int_div_zero 0
	.end_amdhsa_kernel
	.section	.text._ZN7rocprim17ROCPRIM_400000_NS6detail17trampoline_kernelINS0_14default_configENS1_35adjacent_difference_config_selectorILb1EsEEZNS1_24adjacent_difference_implIS3_Lb1ELb0EPsS7_N6thrust23THRUST_200600_302600_NS4plusIsEEEE10hipError_tPvRmT2_T3_mT4_P12ihipStream_tbEUlT_E_NS1_11comp_targetILNS1_3genE9ELNS1_11target_archE1100ELNS1_3gpuE3ELNS1_3repE0EEENS1_30default_config_static_selectorELNS0_4arch9wavefront6targetE1EEEvT1_,"axG",@progbits,_ZN7rocprim17ROCPRIM_400000_NS6detail17trampoline_kernelINS0_14default_configENS1_35adjacent_difference_config_selectorILb1EsEEZNS1_24adjacent_difference_implIS3_Lb1ELb0EPsS7_N6thrust23THRUST_200600_302600_NS4plusIsEEEE10hipError_tPvRmT2_T3_mT4_P12ihipStream_tbEUlT_E_NS1_11comp_targetILNS1_3genE9ELNS1_11target_archE1100ELNS1_3gpuE3ELNS1_3repE0EEENS1_30default_config_static_selectorELNS0_4arch9wavefront6targetE1EEEvT1_,comdat
.Lfunc_end100:
	.size	_ZN7rocprim17ROCPRIM_400000_NS6detail17trampoline_kernelINS0_14default_configENS1_35adjacent_difference_config_selectorILb1EsEEZNS1_24adjacent_difference_implIS3_Lb1ELb0EPsS7_N6thrust23THRUST_200600_302600_NS4plusIsEEEE10hipError_tPvRmT2_T3_mT4_P12ihipStream_tbEUlT_E_NS1_11comp_targetILNS1_3genE9ELNS1_11target_archE1100ELNS1_3gpuE3ELNS1_3repE0EEENS1_30default_config_static_selectorELNS0_4arch9wavefront6targetE1EEEvT1_, .Lfunc_end100-_ZN7rocprim17ROCPRIM_400000_NS6detail17trampoline_kernelINS0_14default_configENS1_35adjacent_difference_config_selectorILb1EsEEZNS1_24adjacent_difference_implIS3_Lb1ELb0EPsS7_N6thrust23THRUST_200600_302600_NS4plusIsEEEE10hipError_tPvRmT2_T3_mT4_P12ihipStream_tbEUlT_E_NS1_11comp_targetILNS1_3genE9ELNS1_11target_archE1100ELNS1_3gpuE3ELNS1_3repE0EEENS1_30default_config_static_selectorELNS0_4arch9wavefront6targetE1EEEvT1_
                                        ; -- End function
	.section	.AMDGPU.csdata,"",@progbits
; Kernel info:
; codeLenInByte = 0
; NumSgprs: 6
; NumVgprs: 0
; NumAgprs: 0
; TotalNumVgprs: 0
; ScratchSize: 0
; MemoryBound: 0
; FloatMode: 240
; IeeeMode: 1
; LDSByteSize: 0 bytes/workgroup (compile time only)
; SGPRBlocks: 0
; VGPRBlocks: 0
; NumSGPRsForWavesPerEU: 6
; NumVGPRsForWavesPerEU: 1
; AccumOffset: 4
; Occupancy: 8
; WaveLimiterHint : 0
; COMPUTE_PGM_RSRC2:SCRATCH_EN: 0
; COMPUTE_PGM_RSRC2:USER_SGPR: 2
; COMPUTE_PGM_RSRC2:TRAP_HANDLER: 0
; COMPUTE_PGM_RSRC2:TGID_X_EN: 1
; COMPUTE_PGM_RSRC2:TGID_Y_EN: 0
; COMPUTE_PGM_RSRC2:TGID_Z_EN: 0
; COMPUTE_PGM_RSRC2:TIDIG_COMP_CNT: 0
; COMPUTE_PGM_RSRC3_GFX90A:ACCUM_OFFSET: 0
; COMPUTE_PGM_RSRC3_GFX90A:TG_SPLIT: 0
	.section	.text._ZN7rocprim17ROCPRIM_400000_NS6detail17trampoline_kernelINS0_14default_configENS1_35adjacent_difference_config_selectorILb1EsEEZNS1_24adjacent_difference_implIS3_Lb1ELb0EPsS7_N6thrust23THRUST_200600_302600_NS4plusIsEEEE10hipError_tPvRmT2_T3_mT4_P12ihipStream_tbEUlT_E_NS1_11comp_targetILNS1_3genE8ELNS1_11target_archE1030ELNS1_3gpuE2ELNS1_3repE0EEENS1_30default_config_static_selectorELNS0_4arch9wavefront6targetE1EEEvT1_,"axG",@progbits,_ZN7rocprim17ROCPRIM_400000_NS6detail17trampoline_kernelINS0_14default_configENS1_35adjacent_difference_config_selectorILb1EsEEZNS1_24adjacent_difference_implIS3_Lb1ELb0EPsS7_N6thrust23THRUST_200600_302600_NS4plusIsEEEE10hipError_tPvRmT2_T3_mT4_P12ihipStream_tbEUlT_E_NS1_11comp_targetILNS1_3genE8ELNS1_11target_archE1030ELNS1_3gpuE2ELNS1_3repE0EEENS1_30default_config_static_selectorELNS0_4arch9wavefront6targetE1EEEvT1_,comdat
	.protected	_ZN7rocprim17ROCPRIM_400000_NS6detail17trampoline_kernelINS0_14default_configENS1_35adjacent_difference_config_selectorILb1EsEEZNS1_24adjacent_difference_implIS3_Lb1ELb0EPsS7_N6thrust23THRUST_200600_302600_NS4plusIsEEEE10hipError_tPvRmT2_T3_mT4_P12ihipStream_tbEUlT_E_NS1_11comp_targetILNS1_3genE8ELNS1_11target_archE1030ELNS1_3gpuE2ELNS1_3repE0EEENS1_30default_config_static_selectorELNS0_4arch9wavefront6targetE1EEEvT1_ ; -- Begin function _ZN7rocprim17ROCPRIM_400000_NS6detail17trampoline_kernelINS0_14default_configENS1_35adjacent_difference_config_selectorILb1EsEEZNS1_24adjacent_difference_implIS3_Lb1ELb0EPsS7_N6thrust23THRUST_200600_302600_NS4plusIsEEEE10hipError_tPvRmT2_T3_mT4_P12ihipStream_tbEUlT_E_NS1_11comp_targetILNS1_3genE8ELNS1_11target_archE1030ELNS1_3gpuE2ELNS1_3repE0EEENS1_30default_config_static_selectorELNS0_4arch9wavefront6targetE1EEEvT1_
	.globl	_ZN7rocprim17ROCPRIM_400000_NS6detail17trampoline_kernelINS0_14default_configENS1_35adjacent_difference_config_selectorILb1EsEEZNS1_24adjacent_difference_implIS3_Lb1ELb0EPsS7_N6thrust23THRUST_200600_302600_NS4plusIsEEEE10hipError_tPvRmT2_T3_mT4_P12ihipStream_tbEUlT_E_NS1_11comp_targetILNS1_3genE8ELNS1_11target_archE1030ELNS1_3gpuE2ELNS1_3repE0EEENS1_30default_config_static_selectorELNS0_4arch9wavefront6targetE1EEEvT1_
	.p2align	8
	.type	_ZN7rocprim17ROCPRIM_400000_NS6detail17trampoline_kernelINS0_14default_configENS1_35adjacent_difference_config_selectorILb1EsEEZNS1_24adjacent_difference_implIS3_Lb1ELb0EPsS7_N6thrust23THRUST_200600_302600_NS4plusIsEEEE10hipError_tPvRmT2_T3_mT4_P12ihipStream_tbEUlT_E_NS1_11comp_targetILNS1_3genE8ELNS1_11target_archE1030ELNS1_3gpuE2ELNS1_3repE0EEENS1_30default_config_static_selectorELNS0_4arch9wavefront6targetE1EEEvT1_,@function
_ZN7rocprim17ROCPRIM_400000_NS6detail17trampoline_kernelINS0_14default_configENS1_35adjacent_difference_config_selectorILb1EsEEZNS1_24adjacent_difference_implIS3_Lb1ELb0EPsS7_N6thrust23THRUST_200600_302600_NS4plusIsEEEE10hipError_tPvRmT2_T3_mT4_P12ihipStream_tbEUlT_E_NS1_11comp_targetILNS1_3genE8ELNS1_11target_archE1030ELNS1_3gpuE2ELNS1_3repE0EEENS1_30default_config_static_selectorELNS0_4arch9wavefront6targetE1EEEvT1_: ; @_ZN7rocprim17ROCPRIM_400000_NS6detail17trampoline_kernelINS0_14default_configENS1_35adjacent_difference_config_selectorILb1EsEEZNS1_24adjacent_difference_implIS3_Lb1ELb0EPsS7_N6thrust23THRUST_200600_302600_NS4plusIsEEEE10hipError_tPvRmT2_T3_mT4_P12ihipStream_tbEUlT_E_NS1_11comp_targetILNS1_3genE8ELNS1_11target_archE1030ELNS1_3gpuE2ELNS1_3repE0EEENS1_30default_config_static_selectorELNS0_4arch9wavefront6targetE1EEEvT1_
; %bb.0:
	.section	.rodata,"a",@progbits
	.p2align	6, 0x0
	.amdhsa_kernel _ZN7rocprim17ROCPRIM_400000_NS6detail17trampoline_kernelINS0_14default_configENS1_35adjacent_difference_config_selectorILb1EsEEZNS1_24adjacent_difference_implIS3_Lb1ELb0EPsS7_N6thrust23THRUST_200600_302600_NS4plusIsEEEE10hipError_tPvRmT2_T3_mT4_P12ihipStream_tbEUlT_E_NS1_11comp_targetILNS1_3genE8ELNS1_11target_archE1030ELNS1_3gpuE2ELNS1_3repE0EEENS1_30default_config_static_selectorELNS0_4arch9wavefront6targetE1EEEvT1_
		.amdhsa_group_segment_fixed_size 0
		.amdhsa_private_segment_fixed_size 0
		.amdhsa_kernarg_size 56
		.amdhsa_user_sgpr_count 2
		.amdhsa_user_sgpr_dispatch_ptr 0
		.amdhsa_user_sgpr_queue_ptr 0
		.amdhsa_user_sgpr_kernarg_segment_ptr 1
		.amdhsa_user_sgpr_dispatch_id 0
		.amdhsa_user_sgpr_kernarg_preload_length 0
		.amdhsa_user_sgpr_kernarg_preload_offset 0
		.amdhsa_user_sgpr_private_segment_size 0
		.amdhsa_uses_dynamic_stack 0
		.amdhsa_enable_private_segment 0
		.amdhsa_system_sgpr_workgroup_id_x 1
		.amdhsa_system_sgpr_workgroup_id_y 0
		.amdhsa_system_sgpr_workgroup_id_z 0
		.amdhsa_system_sgpr_workgroup_info 0
		.amdhsa_system_vgpr_workitem_id 0
		.amdhsa_next_free_vgpr 1
		.amdhsa_next_free_sgpr 0
		.amdhsa_accum_offset 4
		.amdhsa_reserve_vcc 0
		.amdhsa_float_round_mode_32 0
		.amdhsa_float_round_mode_16_64 0
		.amdhsa_float_denorm_mode_32 3
		.amdhsa_float_denorm_mode_16_64 3
		.amdhsa_dx10_clamp 1
		.amdhsa_ieee_mode 1
		.amdhsa_fp16_overflow 0
		.amdhsa_tg_split 0
		.amdhsa_exception_fp_ieee_invalid_op 0
		.amdhsa_exception_fp_denorm_src 0
		.amdhsa_exception_fp_ieee_div_zero 0
		.amdhsa_exception_fp_ieee_overflow 0
		.amdhsa_exception_fp_ieee_underflow 0
		.amdhsa_exception_fp_ieee_inexact 0
		.amdhsa_exception_int_div_zero 0
	.end_amdhsa_kernel
	.section	.text._ZN7rocprim17ROCPRIM_400000_NS6detail17trampoline_kernelINS0_14default_configENS1_35adjacent_difference_config_selectorILb1EsEEZNS1_24adjacent_difference_implIS3_Lb1ELb0EPsS7_N6thrust23THRUST_200600_302600_NS4plusIsEEEE10hipError_tPvRmT2_T3_mT4_P12ihipStream_tbEUlT_E_NS1_11comp_targetILNS1_3genE8ELNS1_11target_archE1030ELNS1_3gpuE2ELNS1_3repE0EEENS1_30default_config_static_selectorELNS0_4arch9wavefront6targetE1EEEvT1_,"axG",@progbits,_ZN7rocprim17ROCPRIM_400000_NS6detail17trampoline_kernelINS0_14default_configENS1_35adjacent_difference_config_selectorILb1EsEEZNS1_24adjacent_difference_implIS3_Lb1ELb0EPsS7_N6thrust23THRUST_200600_302600_NS4plusIsEEEE10hipError_tPvRmT2_T3_mT4_P12ihipStream_tbEUlT_E_NS1_11comp_targetILNS1_3genE8ELNS1_11target_archE1030ELNS1_3gpuE2ELNS1_3repE0EEENS1_30default_config_static_selectorELNS0_4arch9wavefront6targetE1EEEvT1_,comdat
.Lfunc_end101:
	.size	_ZN7rocprim17ROCPRIM_400000_NS6detail17trampoline_kernelINS0_14default_configENS1_35adjacent_difference_config_selectorILb1EsEEZNS1_24adjacent_difference_implIS3_Lb1ELb0EPsS7_N6thrust23THRUST_200600_302600_NS4plusIsEEEE10hipError_tPvRmT2_T3_mT4_P12ihipStream_tbEUlT_E_NS1_11comp_targetILNS1_3genE8ELNS1_11target_archE1030ELNS1_3gpuE2ELNS1_3repE0EEENS1_30default_config_static_selectorELNS0_4arch9wavefront6targetE1EEEvT1_, .Lfunc_end101-_ZN7rocprim17ROCPRIM_400000_NS6detail17trampoline_kernelINS0_14default_configENS1_35adjacent_difference_config_selectorILb1EsEEZNS1_24adjacent_difference_implIS3_Lb1ELb0EPsS7_N6thrust23THRUST_200600_302600_NS4plusIsEEEE10hipError_tPvRmT2_T3_mT4_P12ihipStream_tbEUlT_E_NS1_11comp_targetILNS1_3genE8ELNS1_11target_archE1030ELNS1_3gpuE2ELNS1_3repE0EEENS1_30default_config_static_selectorELNS0_4arch9wavefront6targetE1EEEvT1_
                                        ; -- End function
	.section	.AMDGPU.csdata,"",@progbits
; Kernel info:
; codeLenInByte = 0
; NumSgprs: 6
; NumVgprs: 0
; NumAgprs: 0
; TotalNumVgprs: 0
; ScratchSize: 0
; MemoryBound: 0
; FloatMode: 240
; IeeeMode: 1
; LDSByteSize: 0 bytes/workgroup (compile time only)
; SGPRBlocks: 0
; VGPRBlocks: 0
; NumSGPRsForWavesPerEU: 6
; NumVGPRsForWavesPerEU: 1
; AccumOffset: 4
; Occupancy: 8
; WaveLimiterHint : 0
; COMPUTE_PGM_RSRC2:SCRATCH_EN: 0
; COMPUTE_PGM_RSRC2:USER_SGPR: 2
; COMPUTE_PGM_RSRC2:TRAP_HANDLER: 0
; COMPUTE_PGM_RSRC2:TGID_X_EN: 1
; COMPUTE_PGM_RSRC2:TGID_Y_EN: 0
; COMPUTE_PGM_RSRC2:TGID_Z_EN: 0
; COMPUTE_PGM_RSRC2:TIDIG_COMP_CNT: 0
; COMPUTE_PGM_RSRC3_GFX90A:ACCUM_OFFSET: 0
; COMPUTE_PGM_RSRC3_GFX90A:TG_SPLIT: 0
	.section	.text._ZN7rocprim17ROCPRIM_400000_NS6detail17trampoline_kernelINS0_14default_configENS1_35adjacent_difference_config_selectorILb0EiEEZNS1_24adjacent_difference_implIS3_Lb0ELb0EPiS7_N6thrust23THRUST_200600_302600_NS5minusIiEEEE10hipError_tPvRmT2_T3_mT4_P12ihipStream_tbEUlT_E_NS1_11comp_targetILNS1_3genE0ELNS1_11target_archE4294967295ELNS1_3gpuE0ELNS1_3repE0EEENS1_30default_config_static_selectorELNS0_4arch9wavefront6targetE1EEEvT1_,"axG",@progbits,_ZN7rocprim17ROCPRIM_400000_NS6detail17trampoline_kernelINS0_14default_configENS1_35adjacent_difference_config_selectorILb0EiEEZNS1_24adjacent_difference_implIS3_Lb0ELb0EPiS7_N6thrust23THRUST_200600_302600_NS5minusIiEEEE10hipError_tPvRmT2_T3_mT4_P12ihipStream_tbEUlT_E_NS1_11comp_targetILNS1_3genE0ELNS1_11target_archE4294967295ELNS1_3gpuE0ELNS1_3repE0EEENS1_30default_config_static_selectorELNS0_4arch9wavefront6targetE1EEEvT1_,comdat
	.protected	_ZN7rocprim17ROCPRIM_400000_NS6detail17trampoline_kernelINS0_14default_configENS1_35adjacent_difference_config_selectorILb0EiEEZNS1_24adjacent_difference_implIS3_Lb0ELb0EPiS7_N6thrust23THRUST_200600_302600_NS5minusIiEEEE10hipError_tPvRmT2_T3_mT4_P12ihipStream_tbEUlT_E_NS1_11comp_targetILNS1_3genE0ELNS1_11target_archE4294967295ELNS1_3gpuE0ELNS1_3repE0EEENS1_30default_config_static_selectorELNS0_4arch9wavefront6targetE1EEEvT1_ ; -- Begin function _ZN7rocprim17ROCPRIM_400000_NS6detail17trampoline_kernelINS0_14default_configENS1_35adjacent_difference_config_selectorILb0EiEEZNS1_24adjacent_difference_implIS3_Lb0ELb0EPiS7_N6thrust23THRUST_200600_302600_NS5minusIiEEEE10hipError_tPvRmT2_T3_mT4_P12ihipStream_tbEUlT_E_NS1_11comp_targetILNS1_3genE0ELNS1_11target_archE4294967295ELNS1_3gpuE0ELNS1_3repE0EEENS1_30default_config_static_selectorELNS0_4arch9wavefront6targetE1EEEvT1_
	.globl	_ZN7rocprim17ROCPRIM_400000_NS6detail17trampoline_kernelINS0_14default_configENS1_35adjacent_difference_config_selectorILb0EiEEZNS1_24adjacent_difference_implIS3_Lb0ELb0EPiS7_N6thrust23THRUST_200600_302600_NS5minusIiEEEE10hipError_tPvRmT2_T3_mT4_P12ihipStream_tbEUlT_E_NS1_11comp_targetILNS1_3genE0ELNS1_11target_archE4294967295ELNS1_3gpuE0ELNS1_3repE0EEENS1_30default_config_static_selectorELNS0_4arch9wavefront6targetE1EEEvT1_
	.p2align	8
	.type	_ZN7rocprim17ROCPRIM_400000_NS6detail17trampoline_kernelINS0_14default_configENS1_35adjacent_difference_config_selectorILb0EiEEZNS1_24adjacent_difference_implIS3_Lb0ELb0EPiS7_N6thrust23THRUST_200600_302600_NS5minusIiEEEE10hipError_tPvRmT2_T3_mT4_P12ihipStream_tbEUlT_E_NS1_11comp_targetILNS1_3genE0ELNS1_11target_archE4294967295ELNS1_3gpuE0ELNS1_3repE0EEENS1_30default_config_static_selectorELNS0_4arch9wavefront6targetE1EEEvT1_,@function
_ZN7rocprim17ROCPRIM_400000_NS6detail17trampoline_kernelINS0_14default_configENS1_35adjacent_difference_config_selectorILb0EiEEZNS1_24adjacent_difference_implIS3_Lb0ELb0EPiS7_N6thrust23THRUST_200600_302600_NS5minusIiEEEE10hipError_tPvRmT2_T3_mT4_P12ihipStream_tbEUlT_E_NS1_11comp_targetILNS1_3genE0ELNS1_11target_archE4294967295ELNS1_3gpuE0ELNS1_3repE0EEENS1_30default_config_static_selectorELNS0_4arch9wavefront6targetE1EEEvT1_: ; @_ZN7rocprim17ROCPRIM_400000_NS6detail17trampoline_kernelINS0_14default_configENS1_35adjacent_difference_config_selectorILb0EiEEZNS1_24adjacent_difference_implIS3_Lb0ELb0EPiS7_N6thrust23THRUST_200600_302600_NS5minusIiEEEE10hipError_tPvRmT2_T3_mT4_P12ihipStream_tbEUlT_E_NS1_11comp_targetILNS1_3genE0ELNS1_11target_archE4294967295ELNS1_3gpuE0ELNS1_3repE0EEENS1_30default_config_static_selectorELNS0_4arch9wavefront6targetE1EEEvT1_
; %bb.0:
	.section	.rodata,"a",@progbits
	.p2align	6, 0x0
	.amdhsa_kernel _ZN7rocprim17ROCPRIM_400000_NS6detail17trampoline_kernelINS0_14default_configENS1_35adjacent_difference_config_selectorILb0EiEEZNS1_24adjacent_difference_implIS3_Lb0ELb0EPiS7_N6thrust23THRUST_200600_302600_NS5minusIiEEEE10hipError_tPvRmT2_T3_mT4_P12ihipStream_tbEUlT_E_NS1_11comp_targetILNS1_3genE0ELNS1_11target_archE4294967295ELNS1_3gpuE0ELNS1_3repE0EEENS1_30default_config_static_selectorELNS0_4arch9wavefront6targetE1EEEvT1_
		.amdhsa_group_segment_fixed_size 0
		.amdhsa_private_segment_fixed_size 0
		.amdhsa_kernarg_size 56
		.amdhsa_user_sgpr_count 2
		.amdhsa_user_sgpr_dispatch_ptr 0
		.amdhsa_user_sgpr_queue_ptr 0
		.amdhsa_user_sgpr_kernarg_segment_ptr 1
		.amdhsa_user_sgpr_dispatch_id 0
		.amdhsa_user_sgpr_kernarg_preload_length 0
		.amdhsa_user_sgpr_kernarg_preload_offset 0
		.amdhsa_user_sgpr_private_segment_size 0
		.amdhsa_uses_dynamic_stack 0
		.amdhsa_enable_private_segment 0
		.amdhsa_system_sgpr_workgroup_id_x 1
		.amdhsa_system_sgpr_workgroup_id_y 0
		.amdhsa_system_sgpr_workgroup_id_z 0
		.amdhsa_system_sgpr_workgroup_info 0
		.amdhsa_system_vgpr_workitem_id 0
		.amdhsa_next_free_vgpr 1
		.amdhsa_next_free_sgpr 0
		.amdhsa_accum_offset 4
		.amdhsa_reserve_vcc 0
		.amdhsa_float_round_mode_32 0
		.amdhsa_float_round_mode_16_64 0
		.amdhsa_float_denorm_mode_32 3
		.amdhsa_float_denorm_mode_16_64 3
		.amdhsa_dx10_clamp 1
		.amdhsa_ieee_mode 1
		.amdhsa_fp16_overflow 0
		.amdhsa_tg_split 0
		.amdhsa_exception_fp_ieee_invalid_op 0
		.amdhsa_exception_fp_denorm_src 0
		.amdhsa_exception_fp_ieee_div_zero 0
		.amdhsa_exception_fp_ieee_overflow 0
		.amdhsa_exception_fp_ieee_underflow 0
		.amdhsa_exception_fp_ieee_inexact 0
		.amdhsa_exception_int_div_zero 0
	.end_amdhsa_kernel
	.section	.text._ZN7rocprim17ROCPRIM_400000_NS6detail17trampoline_kernelINS0_14default_configENS1_35adjacent_difference_config_selectorILb0EiEEZNS1_24adjacent_difference_implIS3_Lb0ELb0EPiS7_N6thrust23THRUST_200600_302600_NS5minusIiEEEE10hipError_tPvRmT2_T3_mT4_P12ihipStream_tbEUlT_E_NS1_11comp_targetILNS1_3genE0ELNS1_11target_archE4294967295ELNS1_3gpuE0ELNS1_3repE0EEENS1_30default_config_static_selectorELNS0_4arch9wavefront6targetE1EEEvT1_,"axG",@progbits,_ZN7rocprim17ROCPRIM_400000_NS6detail17trampoline_kernelINS0_14default_configENS1_35adjacent_difference_config_selectorILb0EiEEZNS1_24adjacent_difference_implIS3_Lb0ELb0EPiS7_N6thrust23THRUST_200600_302600_NS5minusIiEEEE10hipError_tPvRmT2_T3_mT4_P12ihipStream_tbEUlT_E_NS1_11comp_targetILNS1_3genE0ELNS1_11target_archE4294967295ELNS1_3gpuE0ELNS1_3repE0EEENS1_30default_config_static_selectorELNS0_4arch9wavefront6targetE1EEEvT1_,comdat
.Lfunc_end102:
	.size	_ZN7rocprim17ROCPRIM_400000_NS6detail17trampoline_kernelINS0_14default_configENS1_35adjacent_difference_config_selectorILb0EiEEZNS1_24adjacent_difference_implIS3_Lb0ELb0EPiS7_N6thrust23THRUST_200600_302600_NS5minusIiEEEE10hipError_tPvRmT2_T3_mT4_P12ihipStream_tbEUlT_E_NS1_11comp_targetILNS1_3genE0ELNS1_11target_archE4294967295ELNS1_3gpuE0ELNS1_3repE0EEENS1_30default_config_static_selectorELNS0_4arch9wavefront6targetE1EEEvT1_, .Lfunc_end102-_ZN7rocprim17ROCPRIM_400000_NS6detail17trampoline_kernelINS0_14default_configENS1_35adjacent_difference_config_selectorILb0EiEEZNS1_24adjacent_difference_implIS3_Lb0ELb0EPiS7_N6thrust23THRUST_200600_302600_NS5minusIiEEEE10hipError_tPvRmT2_T3_mT4_P12ihipStream_tbEUlT_E_NS1_11comp_targetILNS1_3genE0ELNS1_11target_archE4294967295ELNS1_3gpuE0ELNS1_3repE0EEENS1_30default_config_static_selectorELNS0_4arch9wavefront6targetE1EEEvT1_
                                        ; -- End function
	.section	.AMDGPU.csdata,"",@progbits
; Kernel info:
; codeLenInByte = 0
; NumSgprs: 6
; NumVgprs: 0
; NumAgprs: 0
; TotalNumVgprs: 0
; ScratchSize: 0
; MemoryBound: 0
; FloatMode: 240
; IeeeMode: 1
; LDSByteSize: 0 bytes/workgroup (compile time only)
; SGPRBlocks: 0
; VGPRBlocks: 0
; NumSGPRsForWavesPerEU: 6
; NumVGPRsForWavesPerEU: 1
; AccumOffset: 4
; Occupancy: 8
; WaveLimiterHint : 0
; COMPUTE_PGM_RSRC2:SCRATCH_EN: 0
; COMPUTE_PGM_RSRC2:USER_SGPR: 2
; COMPUTE_PGM_RSRC2:TRAP_HANDLER: 0
; COMPUTE_PGM_RSRC2:TGID_X_EN: 1
; COMPUTE_PGM_RSRC2:TGID_Y_EN: 0
; COMPUTE_PGM_RSRC2:TGID_Z_EN: 0
; COMPUTE_PGM_RSRC2:TIDIG_COMP_CNT: 0
; COMPUTE_PGM_RSRC3_GFX90A:ACCUM_OFFSET: 0
; COMPUTE_PGM_RSRC3_GFX90A:TG_SPLIT: 0
	.section	.text._ZN7rocprim17ROCPRIM_400000_NS6detail17trampoline_kernelINS0_14default_configENS1_35adjacent_difference_config_selectorILb0EiEEZNS1_24adjacent_difference_implIS3_Lb0ELb0EPiS7_N6thrust23THRUST_200600_302600_NS5minusIiEEEE10hipError_tPvRmT2_T3_mT4_P12ihipStream_tbEUlT_E_NS1_11comp_targetILNS1_3genE10ELNS1_11target_archE1201ELNS1_3gpuE5ELNS1_3repE0EEENS1_30default_config_static_selectorELNS0_4arch9wavefront6targetE1EEEvT1_,"axG",@progbits,_ZN7rocprim17ROCPRIM_400000_NS6detail17trampoline_kernelINS0_14default_configENS1_35adjacent_difference_config_selectorILb0EiEEZNS1_24adjacent_difference_implIS3_Lb0ELb0EPiS7_N6thrust23THRUST_200600_302600_NS5minusIiEEEE10hipError_tPvRmT2_T3_mT4_P12ihipStream_tbEUlT_E_NS1_11comp_targetILNS1_3genE10ELNS1_11target_archE1201ELNS1_3gpuE5ELNS1_3repE0EEENS1_30default_config_static_selectorELNS0_4arch9wavefront6targetE1EEEvT1_,comdat
	.protected	_ZN7rocprim17ROCPRIM_400000_NS6detail17trampoline_kernelINS0_14default_configENS1_35adjacent_difference_config_selectorILb0EiEEZNS1_24adjacent_difference_implIS3_Lb0ELb0EPiS7_N6thrust23THRUST_200600_302600_NS5minusIiEEEE10hipError_tPvRmT2_T3_mT4_P12ihipStream_tbEUlT_E_NS1_11comp_targetILNS1_3genE10ELNS1_11target_archE1201ELNS1_3gpuE5ELNS1_3repE0EEENS1_30default_config_static_selectorELNS0_4arch9wavefront6targetE1EEEvT1_ ; -- Begin function _ZN7rocprim17ROCPRIM_400000_NS6detail17trampoline_kernelINS0_14default_configENS1_35adjacent_difference_config_selectorILb0EiEEZNS1_24adjacent_difference_implIS3_Lb0ELb0EPiS7_N6thrust23THRUST_200600_302600_NS5minusIiEEEE10hipError_tPvRmT2_T3_mT4_P12ihipStream_tbEUlT_E_NS1_11comp_targetILNS1_3genE10ELNS1_11target_archE1201ELNS1_3gpuE5ELNS1_3repE0EEENS1_30default_config_static_selectorELNS0_4arch9wavefront6targetE1EEEvT1_
	.globl	_ZN7rocprim17ROCPRIM_400000_NS6detail17trampoline_kernelINS0_14default_configENS1_35adjacent_difference_config_selectorILb0EiEEZNS1_24adjacent_difference_implIS3_Lb0ELb0EPiS7_N6thrust23THRUST_200600_302600_NS5minusIiEEEE10hipError_tPvRmT2_T3_mT4_P12ihipStream_tbEUlT_E_NS1_11comp_targetILNS1_3genE10ELNS1_11target_archE1201ELNS1_3gpuE5ELNS1_3repE0EEENS1_30default_config_static_selectorELNS0_4arch9wavefront6targetE1EEEvT1_
	.p2align	8
	.type	_ZN7rocprim17ROCPRIM_400000_NS6detail17trampoline_kernelINS0_14default_configENS1_35adjacent_difference_config_selectorILb0EiEEZNS1_24adjacent_difference_implIS3_Lb0ELb0EPiS7_N6thrust23THRUST_200600_302600_NS5minusIiEEEE10hipError_tPvRmT2_T3_mT4_P12ihipStream_tbEUlT_E_NS1_11comp_targetILNS1_3genE10ELNS1_11target_archE1201ELNS1_3gpuE5ELNS1_3repE0EEENS1_30default_config_static_selectorELNS0_4arch9wavefront6targetE1EEEvT1_,@function
_ZN7rocprim17ROCPRIM_400000_NS6detail17trampoline_kernelINS0_14default_configENS1_35adjacent_difference_config_selectorILb0EiEEZNS1_24adjacent_difference_implIS3_Lb0ELb0EPiS7_N6thrust23THRUST_200600_302600_NS5minusIiEEEE10hipError_tPvRmT2_T3_mT4_P12ihipStream_tbEUlT_E_NS1_11comp_targetILNS1_3genE10ELNS1_11target_archE1201ELNS1_3gpuE5ELNS1_3repE0EEENS1_30default_config_static_selectorELNS0_4arch9wavefront6targetE1EEEvT1_: ; @_ZN7rocprim17ROCPRIM_400000_NS6detail17trampoline_kernelINS0_14default_configENS1_35adjacent_difference_config_selectorILb0EiEEZNS1_24adjacent_difference_implIS3_Lb0ELb0EPiS7_N6thrust23THRUST_200600_302600_NS5minusIiEEEE10hipError_tPvRmT2_T3_mT4_P12ihipStream_tbEUlT_E_NS1_11comp_targetILNS1_3genE10ELNS1_11target_archE1201ELNS1_3gpuE5ELNS1_3repE0EEENS1_30default_config_static_selectorELNS0_4arch9wavefront6targetE1EEEvT1_
; %bb.0:
	.section	.rodata,"a",@progbits
	.p2align	6, 0x0
	.amdhsa_kernel _ZN7rocprim17ROCPRIM_400000_NS6detail17trampoline_kernelINS0_14default_configENS1_35adjacent_difference_config_selectorILb0EiEEZNS1_24adjacent_difference_implIS3_Lb0ELb0EPiS7_N6thrust23THRUST_200600_302600_NS5minusIiEEEE10hipError_tPvRmT2_T3_mT4_P12ihipStream_tbEUlT_E_NS1_11comp_targetILNS1_3genE10ELNS1_11target_archE1201ELNS1_3gpuE5ELNS1_3repE0EEENS1_30default_config_static_selectorELNS0_4arch9wavefront6targetE1EEEvT1_
		.amdhsa_group_segment_fixed_size 0
		.amdhsa_private_segment_fixed_size 0
		.amdhsa_kernarg_size 56
		.amdhsa_user_sgpr_count 2
		.amdhsa_user_sgpr_dispatch_ptr 0
		.amdhsa_user_sgpr_queue_ptr 0
		.amdhsa_user_sgpr_kernarg_segment_ptr 1
		.amdhsa_user_sgpr_dispatch_id 0
		.amdhsa_user_sgpr_kernarg_preload_length 0
		.amdhsa_user_sgpr_kernarg_preload_offset 0
		.amdhsa_user_sgpr_private_segment_size 0
		.amdhsa_uses_dynamic_stack 0
		.amdhsa_enable_private_segment 0
		.amdhsa_system_sgpr_workgroup_id_x 1
		.amdhsa_system_sgpr_workgroup_id_y 0
		.amdhsa_system_sgpr_workgroup_id_z 0
		.amdhsa_system_sgpr_workgroup_info 0
		.amdhsa_system_vgpr_workitem_id 0
		.amdhsa_next_free_vgpr 1
		.amdhsa_next_free_sgpr 0
		.amdhsa_accum_offset 4
		.amdhsa_reserve_vcc 0
		.amdhsa_float_round_mode_32 0
		.amdhsa_float_round_mode_16_64 0
		.amdhsa_float_denorm_mode_32 3
		.amdhsa_float_denorm_mode_16_64 3
		.amdhsa_dx10_clamp 1
		.amdhsa_ieee_mode 1
		.amdhsa_fp16_overflow 0
		.amdhsa_tg_split 0
		.amdhsa_exception_fp_ieee_invalid_op 0
		.amdhsa_exception_fp_denorm_src 0
		.amdhsa_exception_fp_ieee_div_zero 0
		.amdhsa_exception_fp_ieee_overflow 0
		.amdhsa_exception_fp_ieee_underflow 0
		.amdhsa_exception_fp_ieee_inexact 0
		.amdhsa_exception_int_div_zero 0
	.end_amdhsa_kernel
	.section	.text._ZN7rocprim17ROCPRIM_400000_NS6detail17trampoline_kernelINS0_14default_configENS1_35adjacent_difference_config_selectorILb0EiEEZNS1_24adjacent_difference_implIS3_Lb0ELb0EPiS7_N6thrust23THRUST_200600_302600_NS5minusIiEEEE10hipError_tPvRmT2_T3_mT4_P12ihipStream_tbEUlT_E_NS1_11comp_targetILNS1_3genE10ELNS1_11target_archE1201ELNS1_3gpuE5ELNS1_3repE0EEENS1_30default_config_static_selectorELNS0_4arch9wavefront6targetE1EEEvT1_,"axG",@progbits,_ZN7rocprim17ROCPRIM_400000_NS6detail17trampoline_kernelINS0_14default_configENS1_35adjacent_difference_config_selectorILb0EiEEZNS1_24adjacent_difference_implIS3_Lb0ELb0EPiS7_N6thrust23THRUST_200600_302600_NS5minusIiEEEE10hipError_tPvRmT2_T3_mT4_P12ihipStream_tbEUlT_E_NS1_11comp_targetILNS1_3genE10ELNS1_11target_archE1201ELNS1_3gpuE5ELNS1_3repE0EEENS1_30default_config_static_selectorELNS0_4arch9wavefront6targetE1EEEvT1_,comdat
.Lfunc_end103:
	.size	_ZN7rocprim17ROCPRIM_400000_NS6detail17trampoline_kernelINS0_14default_configENS1_35adjacent_difference_config_selectorILb0EiEEZNS1_24adjacent_difference_implIS3_Lb0ELb0EPiS7_N6thrust23THRUST_200600_302600_NS5minusIiEEEE10hipError_tPvRmT2_T3_mT4_P12ihipStream_tbEUlT_E_NS1_11comp_targetILNS1_3genE10ELNS1_11target_archE1201ELNS1_3gpuE5ELNS1_3repE0EEENS1_30default_config_static_selectorELNS0_4arch9wavefront6targetE1EEEvT1_, .Lfunc_end103-_ZN7rocprim17ROCPRIM_400000_NS6detail17trampoline_kernelINS0_14default_configENS1_35adjacent_difference_config_selectorILb0EiEEZNS1_24adjacent_difference_implIS3_Lb0ELb0EPiS7_N6thrust23THRUST_200600_302600_NS5minusIiEEEE10hipError_tPvRmT2_T3_mT4_P12ihipStream_tbEUlT_E_NS1_11comp_targetILNS1_3genE10ELNS1_11target_archE1201ELNS1_3gpuE5ELNS1_3repE0EEENS1_30default_config_static_selectorELNS0_4arch9wavefront6targetE1EEEvT1_
                                        ; -- End function
	.section	.AMDGPU.csdata,"",@progbits
; Kernel info:
; codeLenInByte = 0
; NumSgprs: 6
; NumVgprs: 0
; NumAgprs: 0
; TotalNumVgprs: 0
; ScratchSize: 0
; MemoryBound: 0
; FloatMode: 240
; IeeeMode: 1
; LDSByteSize: 0 bytes/workgroup (compile time only)
; SGPRBlocks: 0
; VGPRBlocks: 0
; NumSGPRsForWavesPerEU: 6
; NumVGPRsForWavesPerEU: 1
; AccumOffset: 4
; Occupancy: 8
; WaveLimiterHint : 0
; COMPUTE_PGM_RSRC2:SCRATCH_EN: 0
; COMPUTE_PGM_RSRC2:USER_SGPR: 2
; COMPUTE_PGM_RSRC2:TRAP_HANDLER: 0
; COMPUTE_PGM_RSRC2:TGID_X_EN: 1
; COMPUTE_PGM_RSRC2:TGID_Y_EN: 0
; COMPUTE_PGM_RSRC2:TGID_Z_EN: 0
; COMPUTE_PGM_RSRC2:TIDIG_COMP_CNT: 0
; COMPUTE_PGM_RSRC3_GFX90A:ACCUM_OFFSET: 0
; COMPUTE_PGM_RSRC3_GFX90A:TG_SPLIT: 0
	.section	.text._ZN7rocprim17ROCPRIM_400000_NS6detail17trampoline_kernelINS0_14default_configENS1_35adjacent_difference_config_selectorILb0EiEEZNS1_24adjacent_difference_implIS3_Lb0ELb0EPiS7_N6thrust23THRUST_200600_302600_NS5minusIiEEEE10hipError_tPvRmT2_T3_mT4_P12ihipStream_tbEUlT_E_NS1_11comp_targetILNS1_3genE5ELNS1_11target_archE942ELNS1_3gpuE9ELNS1_3repE0EEENS1_30default_config_static_selectorELNS0_4arch9wavefront6targetE1EEEvT1_,"axG",@progbits,_ZN7rocprim17ROCPRIM_400000_NS6detail17trampoline_kernelINS0_14default_configENS1_35adjacent_difference_config_selectorILb0EiEEZNS1_24adjacent_difference_implIS3_Lb0ELb0EPiS7_N6thrust23THRUST_200600_302600_NS5minusIiEEEE10hipError_tPvRmT2_T3_mT4_P12ihipStream_tbEUlT_E_NS1_11comp_targetILNS1_3genE5ELNS1_11target_archE942ELNS1_3gpuE9ELNS1_3repE0EEENS1_30default_config_static_selectorELNS0_4arch9wavefront6targetE1EEEvT1_,comdat
	.protected	_ZN7rocprim17ROCPRIM_400000_NS6detail17trampoline_kernelINS0_14default_configENS1_35adjacent_difference_config_selectorILb0EiEEZNS1_24adjacent_difference_implIS3_Lb0ELb0EPiS7_N6thrust23THRUST_200600_302600_NS5minusIiEEEE10hipError_tPvRmT2_T3_mT4_P12ihipStream_tbEUlT_E_NS1_11comp_targetILNS1_3genE5ELNS1_11target_archE942ELNS1_3gpuE9ELNS1_3repE0EEENS1_30default_config_static_selectorELNS0_4arch9wavefront6targetE1EEEvT1_ ; -- Begin function _ZN7rocprim17ROCPRIM_400000_NS6detail17trampoline_kernelINS0_14default_configENS1_35adjacent_difference_config_selectorILb0EiEEZNS1_24adjacent_difference_implIS3_Lb0ELb0EPiS7_N6thrust23THRUST_200600_302600_NS5minusIiEEEE10hipError_tPvRmT2_T3_mT4_P12ihipStream_tbEUlT_E_NS1_11comp_targetILNS1_3genE5ELNS1_11target_archE942ELNS1_3gpuE9ELNS1_3repE0EEENS1_30default_config_static_selectorELNS0_4arch9wavefront6targetE1EEEvT1_
	.globl	_ZN7rocprim17ROCPRIM_400000_NS6detail17trampoline_kernelINS0_14default_configENS1_35adjacent_difference_config_selectorILb0EiEEZNS1_24adjacent_difference_implIS3_Lb0ELb0EPiS7_N6thrust23THRUST_200600_302600_NS5minusIiEEEE10hipError_tPvRmT2_T3_mT4_P12ihipStream_tbEUlT_E_NS1_11comp_targetILNS1_3genE5ELNS1_11target_archE942ELNS1_3gpuE9ELNS1_3repE0EEENS1_30default_config_static_selectorELNS0_4arch9wavefront6targetE1EEEvT1_
	.p2align	8
	.type	_ZN7rocprim17ROCPRIM_400000_NS6detail17trampoline_kernelINS0_14default_configENS1_35adjacent_difference_config_selectorILb0EiEEZNS1_24adjacent_difference_implIS3_Lb0ELb0EPiS7_N6thrust23THRUST_200600_302600_NS5minusIiEEEE10hipError_tPvRmT2_T3_mT4_P12ihipStream_tbEUlT_E_NS1_11comp_targetILNS1_3genE5ELNS1_11target_archE942ELNS1_3gpuE9ELNS1_3repE0EEENS1_30default_config_static_selectorELNS0_4arch9wavefront6targetE1EEEvT1_,@function
_ZN7rocprim17ROCPRIM_400000_NS6detail17trampoline_kernelINS0_14default_configENS1_35adjacent_difference_config_selectorILb0EiEEZNS1_24adjacent_difference_implIS3_Lb0ELb0EPiS7_N6thrust23THRUST_200600_302600_NS5minusIiEEEE10hipError_tPvRmT2_T3_mT4_P12ihipStream_tbEUlT_E_NS1_11comp_targetILNS1_3genE5ELNS1_11target_archE942ELNS1_3gpuE9ELNS1_3repE0EEENS1_30default_config_static_selectorELNS0_4arch9wavefront6targetE1EEEvT1_: ; @_ZN7rocprim17ROCPRIM_400000_NS6detail17trampoline_kernelINS0_14default_configENS1_35adjacent_difference_config_selectorILb0EiEEZNS1_24adjacent_difference_implIS3_Lb0ELb0EPiS7_N6thrust23THRUST_200600_302600_NS5minusIiEEEE10hipError_tPvRmT2_T3_mT4_P12ihipStream_tbEUlT_E_NS1_11comp_targetILNS1_3genE5ELNS1_11target_archE942ELNS1_3gpuE9ELNS1_3repE0EEENS1_30default_config_static_selectorELNS0_4arch9wavefront6targetE1EEEvT1_
; %bb.0:
	s_load_dwordx8 s[60:67], s[0:1], 0x0
	s_mov_b32 s4, 0x8234f460
	s_movk_i32 s3, 0x740
	s_load_dwordx2 s[0:1], s[0:1], 0x30
	s_waitcnt lgkmcnt(0)
	s_lshl_b64 s[68:69], s[62:63], 2
	s_add_u32 s12, s60, s68
	s_addc_u32 s13, s61, s69
	s_add_u32 s4, 0xec, s4
	s_addc_u32 s6, 0, 0
	v_add_co_u32_e64 v1, s[4:5], s4, 2.0
	s_cmp_lg_u64 s[4:5], 0
	s_addc_u32 s4, s6, 0x234f72
	v_readfirstlane_b32 s6, v1
	s_mul_hi_u32 s7, s6, 0xfffff8c0
	s_mul_i32 s5, s4, 0xfffff8c0
	s_sub_i32 s7, s7, s6
	s_add_i32 s7, s7, s5
	s_mul_i32 s9, s6, 0xfffff8c0
	s_mul_hi_u32 s5, s6, s7
	s_mul_i32 s8, s6, s7
	s_mul_hi_u32 s6, s6, s9
	s_add_u32 s6, s6, s8
	s_addc_u32 s5, 0, s5
	s_mul_hi_u32 s10, s4, s9
	s_mul_i32 s9, s4, s9
	s_add_u32 s6, s6, s9
	s_mul_hi_u32 s8, s4, s7
	s_addc_u32 s5, s5, s10
	s_addc_u32 s6, s8, 0
	s_mul_i32 s7, s4, s7
	s_add_u32 s5, s5, s7
	s_addc_u32 s6, 0, s6
	v_add_co_u32_e32 v1, vcc, s5, v1
	s_cmp_lg_u64 vcc, 0
	s_addc_u32 s4, s4, s6
	v_readfirstlane_b32 s7, v1
	s_mul_i32 s6, s66, s4
	s_mul_hi_u32 s8, s66, s7
	s_mul_hi_u32 s5, s66, s4
	s_add_u32 s6, s8, s6
	s_addc_u32 s5, 0, s5
	s_mul_hi_u32 s9, s67, s7
	s_mul_i32 s7, s67, s7
	s_add_u32 s6, s6, s7
	s_mul_hi_u32 s8, s67, s4
	s_addc_u32 s5, s5, s9
	s_addc_u32 s6, s8, 0
	s_mul_i32 s4, s67, s4
	s_add_u32 s4, s5, s4
	s_addc_u32 s5, 0, s6
	s_add_u32 s6, s4, 1
	s_addc_u32 s7, s5, 0
	s_add_u32 s8, s4, 2
	s_mul_i32 s10, s5, 0x740
	s_mul_hi_u32 s11, s4, 0x740
	s_addc_u32 s9, s5, 0
	s_add_i32 s11, s11, s10
	s_mul_i32 s10, s4, 0x740
	v_mov_b32_e32 v1, s10
	v_sub_co_u32_e32 v1, vcc, s66, v1
	s_cmp_lg_u64 vcc, 0
	s_subb_u32 s10, s67, s11
	v_subrev_co_u32_e32 v2, vcc, s3, v1
	s_cmp_lg_u64 vcc, 0
	s_subb_u32 s3, s10, 0
	v_readfirstlane_b32 s11, v2
	s_cmpk_gt_u32 s11, 0x73f
	s_cselect_b32 s11, -1, 0
	s_cmp_eq_u32 s3, 0
	s_cselect_b32 s3, s11, -1
	s_cmp_lg_u32 s3, 0
	s_cselect_b32 s3, s8, s6
	s_cselect_b32 s6, s9, s7
	v_readfirstlane_b32 s7, v1
	s_cmpk_gt_u32 s7, 0x73f
	s_cselect_b32 s7, -1, 0
	s_cmp_eq_u32 s10, 0
	s_cselect_b32 s7, s7, -1
	s_cmp_lg_u32 s7, 0
	s_cselect_b32 s6, s6, s5
	s_cselect_b32 s3, s3, s4
	s_mul_i32 s4, s6, 0x740
	s_mul_hi_u32 s5, s3, 0x740
	s_add_i32 s5, s5, s4
	s_mul_i32 s4, s3, 0x740
	s_sub_u32 s4, s66, s4
	s_subb_u32 s5, s67, s5
	s_cmp_lg_u64 s[4:5], 0
	s_cselect_b64 s[4:5], -1, 0
	v_cndmask_b32_e64 v1, 0, 1, s[4:5]
	s_mul_i32 s62, s2, 0x740
	v_readfirstlane_b32 s4, v1
	s_add_u32 s4, s3, s4
	s_addc_u32 s5, s6, 0
	s_add_u32 s2, s0, s2
	s_addc_u32 s3, s1, 0
	s_add_u32 s6, s4, -1
	s_addc_u32 s7, s5, -1
	v_mov_b64_e32 v[2:3], s[6:7]
	v_cmp_ge_u64_e64 s[0:1], s[2:3], v[2:3]
	s_mov_b32 s63, 0
	s_mov_b64 s[8:9], -1
	s_and_b64 vcc, exec, s[0:1]
	s_mul_i32 s33, s6, 0xfffff8c0
	s_cbranch_vccz .LBB104_60
; %bb.1:
	s_add_i32 s14, s33, s66
	s_lshl_b64 s[8:9], s[62:63], 2
	s_add_u32 s8, s12, s8
	s_addc_u32 s9, s13, s9
	v_cmp_gt_u32_e32 vcc, s14, v0
                                        ; implicit-def: $vgpr1
	s_and_saveexec_b64 s[10:11], vcc
	s_cbranch_execz .LBB104_3
; %bb.2:
	v_lshlrev_b32_e32 v1, 2, v0
	global_load_dword v1, v1, s[8:9]
.LBB104_3:
	s_or_b64 exec, exec, s[10:11]
	v_or_b32_e32 v2, 64, v0
	v_cmp_gt_u32_e32 vcc, s14, v2
                                        ; implicit-def: $vgpr2
	s_and_saveexec_b64 s[10:11], vcc
	s_cbranch_execz .LBB104_5
; %bb.4:
	v_lshlrev_b32_e32 v2, 2, v0
	global_load_dword v2, v2, s[8:9] offset:256
.LBB104_5:
	s_or_b64 exec, exec, s[10:11]
	v_or_b32_e32 v3, 0x80, v0
	v_cmp_gt_u32_e32 vcc, s14, v3
                                        ; implicit-def: $vgpr3
	s_and_saveexec_b64 s[10:11], vcc
	s_cbranch_execz .LBB104_7
; %bb.6:
	v_lshlrev_b32_e32 v3, 2, v0
	global_load_dword v3, v3, s[8:9] offset:512
.LBB104_7:
	s_or_b64 exec, exec, s[10:11]
	v_or_b32_e32 v4, 0xc0, v0
	v_cmp_gt_u32_e32 vcc, s14, v4
                                        ; implicit-def: $vgpr4
	s_and_saveexec_b64 s[10:11], vcc
	s_cbranch_execz .LBB104_9
; %bb.8:
	v_lshlrev_b32_e32 v4, 2, v0
	global_load_dword v4, v4, s[8:9] offset:768
.LBB104_9:
	s_or_b64 exec, exec, s[10:11]
	v_or_b32_e32 v5, 0x100, v0
	v_cmp_gt_u32_e32 vcc, s14, v5
                                        ; implicit-def: $vgpr5
	s_and_saveexec_b64 s[10:11], vcc
	s_cbranch_execz .LBB104_11
; %bb.10:
	v_lshlrev_b32_e32 v5, 2, v0
	global_load_dword v5, v5, s[8:9] offset:1024
.LBB104_11:
	s_or_b64 exec, exec, s[10:11]
	v_or_b32_e32 v6, 0x140, v0
	v_cmp_gt_u32_e32 vcc, s14, v6
                                        ; implicit-def: $vgpr6
	s_and_saveexec_b64 s[10:11], vcc
	s_cbranch_execz .LBB104_13
; %bb.12:
	v_lshlrev_b32_e32 v6, 2, v0
	global_load_dword v6, v6, s[8:9] offset:1280
.LBB104_13:
	s_or_b64 exec, exec, s[10:11]
	v_or_b32_e32 v7, 0x180, v0
	v_cmp_gt_u32_e32 vcc, s14, v7
                                        ; implicit-def: $vgpr7
	s_and_saveexec_b64 s[10:11], vcc
	s_cbranch_execz .LBB104_15
; %bb.14:
	v_lshlrev_b32_e32 v7, 2, v0
	global_load_dword v7, v7, s[8:9] offset:1536
.LBB104_15:
	s_or_b64 exec, exec, s[10:11]
	v_or_b32_e32 v8, 0x1c0, v0
	v_cmp_gt_u32_e32 vcc, s14, v8
                                        ; implicit-def: $vgpr8
	s_and_saveexec_b64 s[10:11], vcc
	s_cbranch_execz .LBB104_17
; %bb.16:
	v_lshlrev_b32_e32 v8, 2, v0
	global_load_dword v8, v8, s[8:9] offset:1792
.LBB104_17:
	s_or_b64 exec, exec, s[10:11]
	v_or_b32_e32 v9, 0x200, v0
	v_cmp_gt_u32_e32 vcc, s14, v9
                                        ; implicit-def: $vgpr9
	s_and_saveexec_b64 s[10:11], vcc
	s_cbranch_execz .LBB104_19
; %bb.18:
	v_lshlrev_b32_e32 v9, 2, v0
	global_load_dword v9, v9, s[8:9] offset:2048
.LBB104_19:
	s_or_b64 exec, exec, s[10:11]
	v_or_b32_e32 v10, 0x240, v0
	v_cmp_gt_u32_e32 vcc, s14, v10
                                        ; implicit-def: $vgpr10
	s_and_saveexec_b64 s[10:11], vcc
	s_cbranch_execz .LBB104_21
; %bb.20:
	v_lshlrev_b32_e32 v10, 2, v0
	global_load_dword v10, v10, s[8:9] offset:2304
.LBB104_21:
	s_or_b64 exec, exec, s[10:11]
	v_or_b32_e32 v11, 0x280, v0
	v_cmp_gt_u32_e32 vcc, s14, v11
                                        ; implicit-def: $vgpr11
	s_and_saveexec_b64 s[10:11], vcc
	s_cbranch_execz .LBB104_23
; %bb.22:
	v_lshlrev_b32_e32 v11, 2, v0
	global_load_dword v11, v11, s[8:9] offset:2560
.LBB104_23:
	s_or_b64 exec, exec, s[10:11]
	v_or_b32_e32 v12, 0x2c0, v0
	v_cmp_gt_u32_e32 vcc, s14, v12
                                        ; implicit-def: $vgpr12
	s_and_saveexec_b64 s[10:11], vcc
	s_cbranch_execz .LBB104_25
; %bb.24:
	v_lshlrev_b32_e32 v12, 2, v0
	global_load_dword v12, v12, s[8:9] offset:2816
.LBB104_25:
	s_or_b64 exec, exec, s[10:11]
	v_or_b32_e32 v13, 0x300, v0
	v_cmp_gt_u32_e32 vcc, s14, v13
                                        ; implicit-def: $vgpr13
	s_and_saveexec_b64 s[10:11], vcc
	s_cbranch_execz .LBB104_27
; %bb.26:
	v_lshlrev_b32_e32 v13, 2, v0
	global_load_dword v13, v13, s[8:9] offset:3072
.LBB104_27:
	s_or_b64 exec, exec, s[10:11]
	v_or_b32_e32 v14, 0x340, v0
	v_cmp_gt_u32_e32 vcc, s14, v14
                                        ; implicit-def: $vgpr14
	s_and_saveexec_b64 s[10:11], vcc
	s_cbranch_execz .LBB104_29
; %bb.28:
	v_lshlrev_b32_e32 v14, 2, v0
	global_load_dword v14, v14, s[8:9] offset:3328
.LBB104_29:
	s_or_b64 exec, exec, s[10:11]
	v_or_b32_e32 v15, 0x380, v0
	v_cmp_gt_u32_e32 vcc, s14, v15
                                        ; implicit-def: $vgpr15
	s_and_saveexec_b64 s[10:11], vcc
	s_cbranch_execz .LBB104_31
; %bb.30:
	v_lshlrev_b32_e32 v15, 2, v0
	global_load_dword v15, v15, s[8:9] offset:3584
.LBB104_31:
	s_or_b64 exec, exec, s[10:11]
	v_or_b32_e32 v16, 0x3c0, v0
	v_cmp_gt_u32_e32 vcc, s14, v16
                                        ; implicit-def: $vgpr16
	s_and_saveexec_b64 s[10:11], vcc
	s_cbranch_execz .LBB104_33
; %bb.32:
	v_lshlrev_b32_e32 v16, 2, v0
	global_load_dword v16, v16, s[8:9] offset:3840
.LBB104_33:
	s_or_b64 exec, exec, s[10:11]
	v_or_b32_e32 v18, 0x400, v0
	v_cmp_gt_u32_e32 vcc, s14, v18
                                        ; implicit-def: $vgpr17
	s_and_saveexec_b64 s[10:11], vcc
	s_cbranch_execz .LBB104_35
; %bb.34:
	v_lshlrev_b32_e32 v17, 2, v18
	global_load_dword v17, v17, s[8:9]
.LBB104_35:
	s_or_b64 exec, exec, s[10:11]
	v_or_b32_e32 v19, 0x440, v0
	v_cmp_gt_u32_e32 vcc, s14, v19
                                        ; implicit-def: $vgpr18
	s_and_saveexec_b64 s[10:11], vcc
	s_cbranch_execz .LBB104_37
; %bb.36:
	v_lshlrev_b32_e32 v18, 2, v19
	global_load_dword v18, v18, s[8:9]
.LBB104_37:
	s_or_b64 exec, exec, s[10:11]
	v_or_b32_e32 v20, 0x480, v0
	v_cmp_gt_u32_e32 vcc, s14, v20
                                        ; implicit-def: $vgpr19
	s_and_saveexec_b64 s[10:11], vcc
	s_cbranch_execz .LBB104_39
; %bb.38:
	v_lshlrev_b32_e32 v19, 2, v20
	global_load_dword v19, v19, s[8:9]
.LBB104_39:
	s_or_b64 exec, exec, s[10:11]
	v_or_b32_e32 v21, 0x4c0, v0
	v_cmp_gt_u32_e32 vcc, s14, v21
                                        ; implicit-def: $vgpr20
	s_and_saveexec_b64 s[10:11], vcc
	s_cbranch_execz .LBB104_41
; %bb.40:
	v_lshlrev_b32_e32 v20, 2, v21
	global_load_dword v20, v20, s[8:9]
.LBB104_41:
	s_or_b64 exec, exec, s[10:11]
	v_or_b32_e32 v22, 0x500, v0
	v_cmp_gt_u32_e32 vcc, s14, v22
                                        ; implicit-def: $vgpr21
	s_and_saveexec_b64 s[10:11], vcc
	s_cbranch_execz .LBB104_43
; %bb.42:
	v_lshlrev_b32_e32 v21, 2, v22
	global_load_dword v21, v21, s[8:9]
.LBB104_43:
	s_or_b64 exec, exec, s[10:11]
	v_or_b32_e32 v23, 0x540, v0
	v_cmp_gt_u32_e32 vcc, s14, v23
                                        ; implicit-def: $vgpr22
	s_and_saveexec_b64 s[10:11], vcc
	s_cbranch_execz .LBB104_45
; %bb.44:
	v_lshlrev_b32_e32 v22, 2, v23
	global_load_dword v22, v22, s[8:9]
.LBB104_45:
	s_or_b64 exec, exec, s[10:11]
	v_or_b32_e32 v24, 0x580, v0
	v_cmp_gt_u32_e32 vcc, s14, v24
                                        ; implicit-def: $vgpr23
	s_and_saveexec_b64 s[10:11], vcc
	s_cbranch_execz .LBB104_47
; %bb.46:
	v_lshlrev_b32_e32 v23, 2, v24
	global_load_dword v23, v23, s[8:9]
.LBB104_47:
	s_or_b64 exec, exec, s[10:11]
	v_or_b32_e32 v25, 0x5c0, v0
	v_cmp_gt_u32_e32 vcc, s14, v25
                                        ; implicit-def: $vgpr24
	s_and_saveexec_b64 s[10:11], vcc
	s_cbranch_execz .LBB104_49
; %bb.48:
	v_lshlrev_b32_e32 v24, 2, v25
	global_load_dword v24, v24, s[8:9]
.LBB104_49:
	s_or_b64 exec, exec, s[10:11]
	v_or_b32_e32 v26, 0x600, v0
	v_cmp_gt_u32_e32 vcc, s14, v26
                                        ; implicit-def: $vgpr25
	s_and_saveexec_b64 s[10:11], vcc
	s_cbranch_execz .LBB104_51
; %bb.50:
	v_lshlrev_b32_e32 v25, 2, v26
	global_load_dword v25, v25, s[8:9]
.LBB104_51:
	s_or_b64 exec, exec, s[10:11]
	v_or_b32_e32 v27, 0x640, v0
	v_cmp_gt_u32_e32 vcc, s14, v27
                                        ; implicit-def: $vgpr26
	s_and_saveexec_b64 s[10:11], vcc
	s_cbranch_execz .LBB104_53
; %bb.52:
	v_lshlrev_b32_e32 v26, 2, v27
	global_load_dword v26, v26, s[8:9]
.LBB104_53:
	s_or_b64 exec, exec, s[10:11]
	v_or_b32_e32 v28, 0x680, v0
	v_cmp_gt_u32_e32 vcc, s14, v28
                                        ; implicit-def: $vgpr27
	s_and_saveexec_b64 s[10:11], vcc
	s_cbranch_execz .LBB104_55
; %bb.54:
	v_lshlrev_b32_e32 v27, 2, v28
	global_load_dword v27, v27, s[8:9]
.LBB104_55:
	s_or_b64 exec, exec, s[10:11]
	v_or_b32_e32 v29, 0x6c0, v0
	v_cmp_gt_u32_e32 vcc, s14, v29
                                        ; implicit-def: $vgpr28
	s_and_saveexec_b64 s[10:11], vcc
	s_cbranch_execz .LBB104_57
; %bb.56:
	v_lshlrev_b32_e32 v28, 2, v29
	global_load_dword v28, v28, s[8:9]
.LBB104_57:
	s_or_b64 exec, exec, s[10:11]
	v_or_b32_e32 v30, 0x700, v0
	v_cmp_gt_u32_e32 vcc, s14, v30
                                        ; implicit-def: $vgpr29
	s_and_saveexec_b64 s[10:11], vcc
	s_cbranch_execz .LBB104_59
; %bb.58:
	v_lshlrev_b32_e32 v29, 2, v30
	global_load_dword v29, v29, s[8:9]
.LBB104_59:
	s_or_b64 exec, exec, s[10:11]
	v_lshlrev_b32_e32 v30, 2, v0
	s_mov_b64 s[8:9], 0
	s_waitcnt vmcnt(0)
	ds_write2st64_b32 v30, v1, v2 offset1:1
	ds_write2st64_b32 v30, v3, v4 offset0:2 offset1:3
	ds_write2st64_b32 v30, v5, v6 offset0:4 offset1:5
	;; [unrolled: 1-line block ×13, first 2 shown]
	ds_write_b32 v30, v29 offset:7168
	s_waitcnt lgkmcnt(0)
	; wave barrier
.LBB104_60:
	s_and_b64 vcc, exec, s[8:9]
	v_lshlrev_b32_e32 v2, 2, v0
	s_cbranch_vccz .LBB104_62
; %bb.61:
	s_lshl_b64 s[8:9], s[62:63], 2
	s_add_u32 s8, s12, s8
	s_addc_u32 s9, s13, s9
	v_mov_b32_e32 v3, 0
	v_lshl_add_u64 v[4:5], s[8:9], 0, v[2:3]
	global_load_dword v1, v2, s[8:9]
	global_load_dword v3, v2, s[8:9] offset:256
	global_load_dword v6, v2, s[8:9] offset:512
	;; [unrolled: 1-line block ×15, first 2 shown]
	s_movk_i32 s8, 0x1000
	v_add_co_u32_e32 v4, vcc, s8, v4
	s_nop 1
	v_addc_co_u32_e32 v5, vcc, 0, v5, vcc
	global_load_dword v20, v[4:5], off
	global_load_dword v21, v[4:5], off offset:256
	global_load_dword v22, v[4:5], off offset:512
	;; [unrolled: 1-line block ×12, first 2 shown]
	s_waitcnt vmcnt(27)
	ds_write2st64_b32 v2, v1, v3 offset1:1
	s_waitcnt vmcnt(25)
	ds_write2st64_b32 v2, v6, v7 offset0:2 offset1:3
	s_waitcnt vmcnt(23)
	ds_write2st64_b32 v2, v8, v9 offset0:4 offset1:5
	;; [unrolled: 2-line block ×13, first 2 shown]
	s_waitcnt vmcnt(0)
	ds_write_b32 v2, v32 offset:7168
	s_waitcnt lgkmcnt(0)
	; wave barrier
.LBB104_62:
	v_mul_u32_u24_e32 v1, 29, v0
	v_lshlrev_b32_e32 v1, 2, v1
	s_waitcnt lgkmcnt(0)
	ds_read_b32 v3, v1
	ds_read2_b32 v[30:31], v1 offset0:1 offset1:2
	ds_read2_b32 v[28:29], v1 offset0:3 offset1:4
	;; [unrolled: 1-line block ×14, first 2 shown]
	s_cmp_eq_u64 s[2:3], 0
	s_waitcnt lgkmcnt(0)
	; wave barrier
	s_waitcnt lgkmcnt(0)
	s_cbranch_scc1 .LBB104_67
; %bb.63:
	s_lshl_b64 s[8:9], s[62:63], 2
	s_add_u32 s8, s12, s8
	s_addc_u32 s9, s13, s9
	s_add_u32 s8, s8, -4
	s_addc_u32 s9, s9, -1
	s_load_dword s8, s[8:9], 0x0
	s_cmp_eq_u64 s[2:3], s[6:7]
	s_cbranch_scc1 .LBB104_68
; %bb.64:
	v_cmp_ne_u32_e32 vcc, 0, v0
	s_waitcnt lgkmcnt(0)
	v_mov_b32_e32 v1, s8
	ds_write_b32 v2, v5
	s_waitcnt lgkmcnt(0)
	; wave barrier
	s_waitcnt lgkmcnt(0)
	s_and_saveexec_b64 s[6:7], vcc
	s_cbranch_execz .LBB104_66
; %bb.65:
	v_add_u32_e32 v1, -4, v2
	ds_read_b32 v1, v1
.LBB104_66:
	s_or_b64 exec, exec, s[6:7]
	s_waitcnt lgkmcnt(0)
	v_sub_u32_e32 v1, v3, v1
	v_mov_b32_e32 v32, v4
	v_mov_b32_e32 v33, v7
	;; [unrolled: 1-line block ×28, first 2 shown]
	s_branch .LBB104_72
.LBB104_67:
                                        ; implicit-def: $vgpr32
                                        ; implicit-def: $vgpr33
                                        ; implicit-def: $vgpr34
                                        ; implicit-def: $vgpr35
                                        ; implicit-def: $vgpr36
                                        ; implicit-def: $vgpr37
                                        ; implicit-def: $vgpr38
                                        ; implicit-def: $vgpr39
                                        ; implicit-def: $vgpr40
                                        ; implicit-def: $vgpr41
                                        ; implicit-def: $vgpr42
                                        ; implicit-def: $vgpr43
                                        ; implicit-def: $vgpr44
                                        ; implicit-def: $vgpr45
                                        ; implicit-def: $vgpr46
                                        ; implicit-def: $vgpr47
                                        ; implicit-def: $vgpr48
                                        ; implicit-def: $vgpr49
                                        ; implicit-def: $vgpr50
                                        ; implicit-def: $vgpr51
                                        ; implicit-def: $vgpr58
                                        ; implicit-def: $vgpr59
                                        ; implicit-def: $vgpr56
                                        ; implicit-def: $vgpr57
                                        ; implicit-def: $vgpr54
                                        ; implicit-def: $vgpr55
                                        ; implicit-def: $vgpr52
                                        ; implicit-def: $vgpr53
                                        ; implicit-def: $vgpr1
	s_branch .LBB104_73
.LBB104_68:
                                        ; implicit-def: $vgpr32
                                        ; implicit-def: $vgpr33
                                        ; implicit-def: $vgpr34
                                        ; implicit-def: $vgpr35
                                        ; implicit-def: $vgpr36
                                        ; implicit-def: $vgpr37
                                        ; implicit-def: $vgpr38
                                        ; implicit-def: $vgpr39
                                        ; implicit-def: $vgpr40
                                        ; implicit-def: $vgpr41
                                        ; implicit-def: $vgpr42
                                        ; implicit-def: $vgpr43
                                        ; implicit-def: $vgpr44
                                        ; implicit-def: $vgpr45
                                        ; implicit-def: $vgpr46
                                        ; implicit-def: $vgpr47
                                        ; implicit-def: $vgpr48
                                        ; implicit-def: $vgpr49
                                        ; implicit-def: $vgpr50
                                        ; implicit-def: $vgpr51
                                        ; implicit-def: $vgpr58
                                        ; implicit-def: $vgpr59
                                        ; implicit-def: $vgpr56
                                        ; implicit-def: $vgpr57
                                        ; implicit-def: $vgpr54
                                        ; implicit-def: $vgpr55
                                        ; implicit-def: $vgpr52
                                        ; implicit-def: $vgpr1
	v_mov_b32_e32 v53, v3
	s_cbranch_execz .LBB104_72
; %bb.69:
	v_mul_u32_u24_e32 v1, 29, v0
	v_cmp_ne_u32_e32 vcc, 0, v0
	s_waitcnt lgkmcnt(0)
	v_mov_b32_e32 v60, s8
	ds_write_b32 v2, v5
	s_waitcnt lgkmcnt(0)
	; wave barrier
	s_waitcnt lgkmcnt(0)
	s_and_saveexec_b64 s[6:7], vcc
	s_cbranch_execz .LBB104_71
; %bb.70:
	v_add_u32_e32 v32, -4, v2
	ds_read_b32 v60, v32
.LBB104_71:
	s_or_b64 exec, exec, s[6:7]
	s_mulk_i32 s2, 0xf8c0
	s_add_i32 s2, s2, s66
	v_add_u32_e32 v32, 27, v1
	v_add_u32_e32 v34, 28, v1
	v_cmp_gt_u32_e32 vcc, s2, v32
	v_add_u32_e32 v36, 26, v1
	v_add_u32_e32 v38, 24, v1
	v_cndmask_b32_e32 v33, 0, v7, vcc
	v_cmp_gt_u32_e32 vcc, s2, v34
	v_add_u32_e32 v34, 25, v1
	v_add_u32_e32 v40, 22, v1
	v_cndmask_b32_e32 v32, 0, v4, vcc
	;; [unrolled: 4-line block ×7, first 2 shown]
	v_cmp_gt_u32_e32 vcc, s2, v40
	v_add_u32_e32 v40, 19, v1
	s_nop 0
	v_cndmask_b32_e32 v38, 0, v8, vcc
	v_cmp_gt_u32_e32 vcc, s2, v40
	s_nop 1
	v_cndmask_b32_e32 v41, 0, v15, vcc
	v_cmp_gt_u32_e32 vcc, s2, v42
	v_add_u32_e32 v42, 17, v1
	s_nop 0
	v_cndmask_b32_e32 v40, 0, v10, vcc
	v_cmp_gt_u32_e32 vcc, s2, v42
	s_nop 1
	v_cndmask_b32_e32 v43, 0, v17, vcc
	;; [unrolled: 7-line block ×6, first 2 shown]
	v_cmp_gt_u32_e32 vcc, s2, v52
	v_add_u32_e32 v52, 7, v1
	s_nop 0
	v_cndmask_b32_e32 v50, 0, v22, vcc
	v_cmp_gt_u32_e32 vcc, s2, v52
	v_add_u32_e32 v52, 5, v1
	s_nop 0
	v_cndmask_b32_e32 v59, 0, v27, vcc
	;; [unrolled: 4-line block ×6, first 2 shown]
	v_cmp_gt_u32_e32 vcc, s2, v53
	s_nop 1
	v_cndmask_b32_e32 v54, 0, v28, vcc
	v_cmp_gt_u32_e32 vcc, s2, v52
	s_nop 1
	v_cndmask_b32_e32 v53, 0, v3, vcc
	;; [unrolled: 3-line block ×3, first 2 shown]
	v_cmp_gt_u32_e32 vcc, s2, v1
	s_waitcnt lgkmcnt(0)
	s_nop 0
	v_cndmask_b32_e32 v1, 0, v60, vcc
	v_sub_u32_e32 v1, v3, v1
.LBB104_72:
	s_cbranch_execnz .LBB104_82
.LBB104_73:
	s_cmp_eq_u64 s[4:5], 1
	v_cmp_ne_u32_e32 vcc, 0, v0
	s_cbranch_scc1 .LBB104_77
; %bb.74:
	v_mov_b32_e32 v1, v3
	ds_write_b32 v2, v5
	s_waitcnt lgkmcnt(0)
	; wave barrier
	s_waitcnt lgkmcnt(0)
	s_and_saveexec_b64 s[2:3], vcc
	s_cbranch_execz .LBB104_76
; %bb.75:
	v_add_u32_e32 v1, -4, v2
	ds_read_b32 v1, v1
	s_waitcnt lgkmcnt(0)
	v_sub_u32_e32 v1, v3, v1
.LBB104_76:
	s_or_b64 exec, exec, s[2:3]
	v_mov_b32_e32 v32, v4
	v_mov_b32_e32 v33, v7
	;; [unrolled: 1-line block ×27, first 2 shown]
	s_cbranch_execz .LBB104_78
	s_branch .LBB104_81
.LBB104_77:
                                        ; implicit-def: $vgpr32
                                        ; implicit-def: $vgpr33
                                        ; implicit-def: $vgpr34
                                        ; implicit-def: $vgpr35
                                        ; implicit-def: $vgpr36
                                        ; implicit-def: $vgpr37
                                        ; implicit-def: $vgpr38
                                        ; implicit-def: $vgpr39
                                        ; implicit-def: $vgpr40
                                        ; implicit-def: $vgpr41
                                        ; implicit-def: $vgpr42
                                        ; implicit-def: $vgpr43
                                        ; implicit-def: $vgpr44
                                        ; implicit-def: $vgpr45
                                        ; implicit-def: $vgpr46
                                        ; implicit-def: $vgpr47
                                        ; implicit-def: $vgpr48
                                        ; implicit-def: $vgpr49
                                        ; implicit-def: $vgpr50
                                        ; implicit-def: $vgpr51
                                        ; implicit-def: $vgpr58
                                        ; implicit-def: $vgpr59
                                        ; implicit-def: $vgpr56
                                        ; implicit-def: $vgpr57
                                        ; implicit-def: $vgpr54
                                        ; implicit-def: $vgpr55
                                        ; implicit-def: $vgpr52
                                        ; implicit-def: $vgpr1
.LBB104_78:
	v_mad_u32_u24 v32, v0, 29, 27
	v_mad_u32_u24 v33, v0, 29, 28
	v_cmp_gt_u32_e32 vcc, s66, v33
	v_cmp_gt_u32_e64 s[2:3], s66, v32
	v_mad_u32_u24 v32, v0, 29, 25
	v_mad_u32_u24 v33, v0, 29, 26
	v_cmp_gt_u32_e64 s[4:5], s66, v33
	v_cmp_gt_u32_e64 s[6:7], s66, v32
	v_mad_u32_u24 v32, v0, 29, 23
	v_mad_u32_u24 v33, v0, 29, 24
	s_waitcnt lgkmcnt(0)
	v_cmp_gt_u32_e64 s[8:9], s66, v33
	v_cmp_gt_u32_e64 s[10:11], s66, v32
	v_mad_u32_u24 v32, v0, 29, 21
	v_mad_u32_u24 v33, v0, 29, 22
	v_cmp_gt_u32_e64 s[12:13], s66, v33
	v_cmp_gt_u32_e64 s[14:15], s66, v32
	v_mad_u32_u24 v32, v0, 29, 19
	v_mad_u32_u24 v33, v0, 29, 20
	;; [unrolled: 4-line block ×9, first 2 shown]
	v_mul_u32_u24_e32 v1, 29, v0
	v_cmp_gt_u32_e64 s[46:47], s66, v33
	v_cmp_gt_u32_e64 s[48:49], s66, v32
	v_mad_u32_u24 v32, v0, 29, 3
	v_mad_u32_u24 v33, v0, 29, 4
	v_cmp_gt_u32_e64 s[50:51], s66, v33
	v_cmp_gt_u32_e64 s[52:53], s66, v32
	v_mad_u32_u24 v32, v0, 29, 1
	v_mad_u32_u24 v33, v0, 29, 2
	v_cmp_ne_u32_e64 s[58:59], 0, v0
	v_cmp_gt_u32_e64 s[60:61], s66, v1
	v_cmp_gt_u32_e64 s[54:55], s66, v33
	;; [unrolled: 1-line block ×3, first 2 shown]
	s_and_b64 s[60:61], s[58:59], s[60:61]
	v_mov_b32_e32 v1, v3
	ds_write_b32 v2, v5
	s_waitcnt lgkmcnt(0)
	; wave barrier
	s_waitcnt lgkmcnt(0)
	s_and_saveexec_b64 s[58:59], s[60:61]
	s_cbranch_execz .LBB104_80
; %bb.79:
	v_add_u32_e32 v1, -4, v2
	ds_read_b32 v1, v1
	s_waitcnt lgkmcnt(0)
	v_sub_u32_e32 v1, v3, v1
.LBB104_80:
	s_or_b64 exec, exec, s[58:59]
	v_cndmask_b32_e64 v33, 0, v7, s[2:3]
	v_cndmask_b32_e32 v32, 0, v4, vcc
	v_cndmask_b32_e64 v35, 0, v13, s[6:7]
	v_cndmask_b32_e64 v34, 0, v6, s[4:5]
	;; [unrolled: 1-line block ×26, first 2 shown]
.LBB104_81:
	v_mov_b32_e32 v53, v3
.LBB104_82:
	s_add_u32 s4, s64, s68
	s_addc_u32 s5, s65, s69
	v_sub_u32_e32 v52, v31, v52
	v_sub_u32_e32 v53, v30, v53
	;; [unrolled: 1-line block ×28, first 2 shown]
	s_and_b64 vcc, exec, s[0:1]
	s_waitcnt lgkmcnt(0)
	; wave barrier
	s_waitcnt lgkmcnt(0)
	s_cbranch_vccz .LBB104_140
; %bb.83:
	s_movk_i32 s2, 0x74
	v_mul_i32_i24_e32 v63, 0xffffff90, v0
	v_mul_u32_u24_e32 v62, 0x74, v0
	v_mad_u32_u24 v3, v0, s2, v63
	ds_write_b32 v62, v1
	ds_write2_b32 v62, v53, v52 offset0:1 offset1:2
	ds_write2_b32 v62, v55, v54 offset0:3 offset1:4
	ds_write2_b32 v62, v57, v56 offset0:5 offset1:6
	ds_write2_b32 v62, v59, v58 offset0:7 offset1:8
	ds_write2_b32 v62, v51, v50 offset0:9 offset1:10
	ds_write2_b32 v62, v49, v48 offset0:11 offset1:12
	ds_write2_b32 v62, v47, v46 offset0:13 offset1:14
	ds_write2_b32 v62, v45, v44 offset0:15 offset1:16
	ds_write2_b32 v62, v43, v42 offset0:17 offset1:18
	ds_write2_b32 v62, v41, v40 offset0:19 offset1:20
	ds_write2_b32 v62, v39, v38 offset0:21 offset1:22
	ds_write2_b32 v62, v37, v36 offset0:23 offset1:24
	ds_write2_b32 v62, v35, v34 offset0:25 offset1:26
	ds_write2_b32 v62, v61, v60 offset0:27 offset1:28
	s_waitcnt lgkmcnt(0)
	; wave barrier
	s_waitcnt lgkmcnt(0)
	ds_read2st64_b32 v[32:33], v3 offset0:1 offset1:2
	ds_read2st64_b32 v[30:31], v3 offset0:3 offset1:4
	;; [unrolled: 1-line block ×14, first 2 shown]
	s_add_i32 s33, s33, s66
	s_lshl_b64 s[0:1], s[62:63], 2
	s_add_u32 s0, s4, s0
	s_addc_u32 s1, s5, s1
	v_mov_b32_e32 v3, 0
	v_lshl_add_u64 v[6:7], s[0:1], 0, v[2:3]
	v_cmp_gt_u32_e32 vcc, s33, v0
	s_and_saveexec_b64 s[0:1], vcc
	s_cbranch_execz .LBB104_85
; %bb.84:
	v_add_u32_e32 v3, v62, v63
	ds_read_b32 v3, v3
	s_waitcnt lgkmcnt(0)
	global_store_dword v[6:7], v3, off
.LBB104_85:
	s_or_b64 exec, exec, s[0:1]
	v_or_b32_e32 v3, 64, v0
	v_cmp_gt_u32_e32 vcc, s33, v3
	s_and_saveexec_b64 s[0:1], vcc
	s_cbranch_execz .LBB104_87
; %bb.86:
	s_waitcnt lgkmcnt(13)
	global_store_dword v[6:7], v32, off offset:256
.LBB104_87:
	s_or_b64 exec, exec, s[0:1]
	v_or_b32_e32 v3, 0x80, v0
	v_cmp_gt_u32_e32 vcc, s33, v3
	s_and_saveexec_b64 s[0:1], vcc
	s_cbranch_execz .LBB104_89
; %bb.88:
	s_waitcnt lgkmcnt(13)
	global_store_dword v[6:7], v33, off offset:512
.LBB104_89:
	s_or_b64 exec, exec, s[0:1]
	v_or_b32_e32 v3, 0xc0, v0
	v_cmp_gt_u32_e32 vcc, s33, v3
	s_and_saveexec_b64 s[0:1], vcc
	s_cbranch_execz .LBB104_91
; %bb.90:
	s_waitcnt lgkmcnt(12)
	global_store_dword v[6:7], v30, off offset:768
.LBB104_91:
	s_or_b64 exec, exec, s[0:1]
	v_or_b32_e32 v3, 0x100, v0
	v_cmp_gt_u32_e32 vcc, s33, v3
	s_and_saveexec_b64 s[0:1], vcc
	s_cbranch_execz .LBB104_93
; %bb.92:
	s_waitcnt lgkmcnt(12)
	global_store_dword v[6:7], v31, off offset:1024
.LBB104_93:
	s_or_b64 exec, exec, s[0:1]
	v_or_b32_e32 v3, 0x140, v0
	v_cmp_gt_u32_e32 vcc, s33, v3
	s_and_saveexec_b64 s[0:1], vcc
	s_cbranch_execz .LBB104_95
; %bb.94:
	s_waitcnt lgkmcnt(11)
	global_store_dword v[6:7], v28, off offset:1280
.LBB104_95:
	s_or_b64 exec, exec, s[0:1]
	v_or_b32_e32 v3, 0x180, v0
	v_cmp_gt_u32_e32 vcc, s33, v3
	s_and_saveexec_b64 s[0:1], vcc
	s_cbranch_execz .LBB104_97
; %bb.96:
	s_waitcnt lgkmcnt(11)
	global_store_dword v[6:7], v29, off offset:1536
.LBB104_97:
	s_or_b64 exec, exec, s[0:1]
	v_or_b32_e32 v3, 0x1c0, v0
	v_cmp_gt_u32_e32 vcc, s33, v3
	s_and_saveexec_b64 s[0:1], vcc
	s_cbranch_execz .LBB104_99
; %bb.98:
	s_waitcnt lgkmcnt(10)
	global_store_dword v[6:7], v26, off offset:1792
.LBB104_99:
	s_or_b64 exec, exec, s[0:1]
	v_or_b32_e32 v3, 0x200, v0
	v_cmp_gt_u32_e32 vcc, s33, v3
	s_and_saveexec_b64 s[0:1], vcc
	s_cbranch_execz .LBB104_101
; %bb.100:
	s_waitcnt lgkmcnt(10)
	global_store_dword v[6:7], v27, off offset:2048
.LBB104_101:
	s_or_b64 exec, exec, s[0:1]
	v_or_b32_e32 v3, 0x240, v0
	v_cmp_gt_u32_e32 vcc, s33, v3
	s_and_saveexec_b64 s[0:1], vcc
	s_cbranch_execz .LBB104_103
; %bb.102:
	s_waitcnt lgkmcnt(9)
	global_store_dword v[6:7], v24, off offset:2304
.LBB104_103:
	s_or_b64 exec, exec, s[0:1]
	v_or_b32_e32 v3, 0x280, v0
	v_cmp_gt_u32_e32 vcc, s33, v3
	s_and_saveexec_b64 s[0:1], vcc
	s_cbranch_execz .LBB104_105
; %bb.104:
	s_waitcnt lgkmcnt(9)
	global_store_dword v[6:7], v25, off offset:2560
.LBB104_105:
	s_or_b64 exec, exec, s[0:1]
	v_or_b32_e32 v3, 0x2c0, v0
	v_cmp_gt_u32_e32 vcc, s33, v3
	s_and_saveexec_b64 s[0:1], vcc
	s_cbranch_execz .LBB104_107
; %bb.106:
	s_waitcnt lgkmcnt(8)
	global_store_dword v[6:7], v22, off offset:2816
.LBB104_107:
	s_or_b64 exec, exec, s[0:1]
	v_or_b32_e32 v3, 0x300, v0
	v_cmp_gt_u32_e32 vcc, s33, v3
	s_and_saveexec_b64 s[0:1], vcc
	s_cbranch_execz .LBB104_109
; %bb.108:
	s_waitcnt lgkmcnt(8)
	global_store_dword v[6:7], v23, off offset:3072
.LBB104_109:
	s_or_b64 exec, exec, s[0:1]
	v_or_b32_e32 v3, 0x340, v0
	v_cmp_gt_u32_e32 vcc, s33, v3
	s_and_saveexec_b64 s[0:1], vcc
	s_cbranch_execz .LBB104_111
; %bb.110:
	s_waitcnt lgkmcnt(7)
	global_store_dword v[6:7], v20, off offset:3328
.LBB104_111:
	s_or_b64 exec, exec, s[0:1]
	v_or_b32_e32 v3, 0x380, v0
	v_cmp_gt_u32_e32 vcc, s33, v3
	s_and_saveexec_b64 s[0:1], vcc
	s_cbranch_execz .LBB104_113
; %bb.112:
	s_waitcnt lgkmcnt(7)
	global_store_dword v[6:7], v21, off offset:3584
.LBB104_113:
	s_or_b64 exec, exec, s[0:1]
	v_or_b32_e32 v3, 0x3c0, v0
	v_cmp_gt_u32_e32 vcc, s33, v3
	s_and_saveexec_b64 s[0:1], vcc
	s_cbranch_execz .LBB104_115
; %bb.114:
	s_waitcnt lgkmcnt(6)
	global_store_dword v[6:7], v18, off offset:3840
.LBB104_115:
	s_or_b64 exec, exec, s[0:1]
	v_or_b32_e32 v3, 0x400, v0
	v_cmp_gt_u32_e32 vcc, s33, v3
	s_and_saveexec_b64 s[0:1], vcc
	s_cbranch_execz .LBB104_117
; %bb.116:
	s_waitcnt lgkmcnt(7)
	v_add_co_u32_e32 v20, vcc, 0x1000, v6
	s_nop 1
	v_addc_co_u32_e32 v21, vcc, 0, v7, vcc
	s_waitcnt lgkmcnt(6)
	global_store_dword v[20:21], v19, off
.LBB104_117:
	s_or_b64 exec, exec, s[0:1]
	v_or_b32_e32 v3, 0x440, v0
	v_cmp_gt_u32_e32 vcc, s33, v3
	s_and_saveexec_b64 s[0:1], vcc
	s_cbranch_execz .LBB104_119
; %bb.118:
	s_waitcnt lgkmcnt(6)
	v_add_co_u32_e32 v18, vcc, 0x1000, v6
	s_nop 1
	v_addc_co_u32_e32 v19, vcc, 0, v7, vcc
	s_waitcnt lgkmcnt(5)
	global_store_dword v[18:19], v16, off offset:256
.LBB104_119:
	s_or_b64 exec, exec, s[0:1]
	v_or_b32_e32 v3, 0x480, v0
	v_cmp_gt_u32_e32 vcc, s33, v3
	s_and_saveexec_b64 s[0:1], vcc
	s_cbranch_execz .LBB104_121
; %bb.120:
	s_waitcnt lgkmcnt(6)
	v_add_co_u32_e32 v18, vcc, 0x1000, v6
	s_nop 1
	v_addc_co_u32_e32 v19, vcc, 0, v7, vcc
	s_waitcnt lgkmcnt(5)
	global_store_dword v[18:19], v17, off offset:512
.LBB104_121:
	;; [unrolled: 13-line block ×11, first 2 shown]
	s_or_b64 exec, exec, s[0:1]
	v_or_b32_e32 v3, 0x700, v0
	v_cmp_gt_u32_e64 s[0:1], s33, v3
	s_branch .LBB104_142
.LBB104_140:
	s_mov_b64 s[0:1], 0
                                        ; implicit-def: $vgpr5
                                        ; implicit-def: $vgpr6_vgpr7
	s_cbranch_execz .LBB104_142
; %bb.141:
	s_lshl_b64 s[2:3], s[62:63], 2
	v_mul_u32_u24_e32 v3, 0x74, v0
	s_add_u32 s2, s4, s2
	s_movk_i32 s4, 0x74
	ds_write_b32 v3, v1
	ds_write2_b32 v3, v53, v52 offset0:1 offset1:2
	ds_write2_b32 v3, v55, v54 offset0:3 offset1:4
	ds_write2_b32 v3, v57, v56 offset0:5 offset1:6
	ds_write2_b32 v3, v59, v58 offset0:7 offset1:8
	ds_write2_b32 v3, v51, v50 offset0:9 offset1:10
	ds_write2_b32 v3, v49, v48 offset0:11 offset1:12
	ds_write2_b32 v3, v47, v46 offset0:13 offset1:14
	ds_write2_b32 v3, v45, v44 offset0:15 offset1:16
	ds_write2_b32 v3, v43, v42 offset0:17 offset1:18
	ds_write2_b32 v3, v41, v40 offset0:19 offset1:20
	ds_write2_b32 v3, v39, v38 offset0:21 offset1:22
	ds_write2_b32 v3, v37, v36 offset0:23 offset1:24
	ds_write2_b32 v3, v35, v34 offset0:25 offset1:26
	ds_write2_b32 v3, v61, v60 offset0:27 offset1:28
	v_mul_i32_i24_e32 v1, 0xffffff90, v0
	v_mad_u32_u24 v3, v0, s4, v1
	s_addc_u32 s3, s5, s3
	s_waitcnt lgkmcnt(0)
	; wave barrier
	s_waitcnt lgkmcnt(0)
	ds_read2st64_b32 v[0:1], v3 offset1:1
	ds_read2st64_b32 v[8:9], v3 offset0:2 offset1:3
	ds_read2st64_b32 v[10:11], v3 offset0:4 offset1:5
	;; [unrolled: 1-line block ×13, first 2 shown]
	ds_read_b32 v5, v3 offset:7168
	v_mov_b32_e32 v3, 0
	v_lshl_add_u64 v[6:7], s[2:3], 0, v[2:3]
	s_waitcnt lgkmcnt(14)
	global_store_dword v2, v0, s[2:3]
	global_store_dword v2, v1, s[2:3] offset:256
	s_waitcnt lgkmcnt(13)
	global_store_dword v2, v8, s[2:3] offset:512
	global_store_dword v2, v9, s[2:3] offset:768
	s_waitcnt lgkmcnt(12)
	global_store_dword v2, v10, s[2:3] offset:1024
	global_store_dword v2, v11, s[2:3] offset:1280
	s_waitcnt lgkmcnt(11)
	global_store_dword v2, v12, s[2:3] offset:1536
	global_store_dword v2, v13, s[2:3] offset:1792
	s_waitcnt lgkmcnt(10)
	global_store_dword v2, v14, s[2:3] offset:2048
	global_store_dword v2, v15, s[2:3] offset:2304
	s_waitcnt lgkmcnt(9)
	global_store_dword v2, v16, s[2:3] offset:2560
	global_store_dword v2, v17, s[2:3] offset:2816
	s_waitcnt lgkmcnt(8)
	global_store_dword v2, v18, s[2:3] offset:3072
	global_store_dword v2, v19, s[2:3] offset:3328
	s_waitcnt lgkmcnt(7)
	global_store_dword v2, v20, s[2:3] offset:3584
	global_store_dword v2, v21, s[2:3] offset:3840
	s_movk_i32 s2, 0x1000
	v_add_co_u32_e32 v0, vcc, s2, v6
	s_or_b64 s[0:1], s[0:1], exec
	s_nop 0
	v_addc_co_u32_e32 v1, vcc, 0, v7, vcc
	s_waitcnt lgkmcnt(6)
	global_store_dword v[0:1], v22, off
	global_store_dword v[0:1], v23, off offset:256
	s_waitcnt lgkmcnt(5)
	global_store_dword v[0:1], v24, off offset:512
	global_store_dword v[0:1], v25, off offset:768
	s_waitcnt lgkmcnt(4)
	global_store_dword v[0:1], v26, off offset:1024
	;; [unrolled: 3-line block ×5, first 2 shown]
	global_store_dword v[0:1], v33, off offset:2816
.LBB104_142:
	s_and_saveexec_b64 s[2:3], s[0:1]
	s_cbranch_execnz .LBB104_144
; %bb.143:
	s_endpgm
.LBB104_144:
	v_add_co_u32_e32 v0, vcc, 0x1000, v6
	s_nop 1
	v_addc_co_u32_e32 v1, vcc, 0, v7, vcc
	s_waitcnt lgkmcnt(0)
	global_store_dword v[0:1], v5, off offset:3072
	s_endpgm
	.section	.rodata,"a",@progbits
	.p2align	6, 0x0
	.amdhsa_kernel _ZN7rocprim17ROCPRIM_400000_NS6detail17trampoline_kernelINS0_14default_configENS1_35adjacent_difference_config_selectorILb0EiEEZNS1_24adjacent_difference_implIS3_Lb0ELb0EPiS7_N6thrust23THRUST_200600_302600_NS5minusIiEEEE10hipError_tPvRmT2_T3_mT4_P12ihipStream_tbEUlT_E_NS1_11comp_targetILNS1_3genE5ELNS1_11target_archE942ELNS1_3gpuE9ELNS1_3repE0EEENS1_30default_config_static_selectorELNS0_4arch9wavefront6targetE1EEEvT1_
		.amdhsa_group_segment_fixed_size 7424
		.amdhsa_private_segment_fixed_size 0
		.amdhsa_kernarg_size 56
		.amdhsa_user_sgpr_count 2
		.amdhsa_user_sgpr_dispatch_ptr 0
		.amdhsa_user_sgpr_queue_ptr 0
		.amdhsa_user_sgpr_kernarg_segment_ptr 1
		.amdhsa_user_sgpr_dispatch_id 0
		.amdhsa_user_sgpr_kernarg_preload_length 0
		.amdhsa_user_sgpr_kernarg_preload_offset 0
		.amdhsa_user_sgpr_private_segment_size 0
		.amdhsa_uses_dynamic_stack 0
		.amdhsa_enable_private_segment 0
		.amdhsa_system_sgpr_workgroup_id_x 1
		.amdhsa_system_sgpr_workgroup_id_y 0
		.amdhsa_system_sgpr_workgroup_id_z 0
		.amdhsa_system_sgpr_workgroup_info 0
		.amdhsa_system_vgpr_workitem_id 0
		.amdhsa_next_free_vgpr 64
		.amdhsa_next_free_sgpr 70
		.amdhsa_accum_offset 64
		.amdhsa_reserve_vcc 1
		.amdhsa_float_round_mode_32 0
		.amdhsa_float_round_mode_16_64 0
		.amdhsa_float_denorm_mode_32 3
		.amdhsa_float_denorm_mode_16_64 3
		.amdhsa_dx10_clamp 1
		.amdhsa_ieee_mode 1
		.amdhsa_fp16_overflow 0
		.amdhsa_tg_split 0
		.amdhsa_exception_fp_ieee_invalid_op 0
		.amdhsa_exception_fp_denorm_src 0
		.amdhsa_exception_fp_ieee_div_zero 0
		.amdhsa_exception_fp_ieee_overflow 0
		.amdhsa_exception_fp_ieee_underflow 0
		.amdhsa_exception_fp_ieee_inexact 0
		.amdhsa_exception_int_div_zero 0
	.end_amdhsa_kernel
	.section	.text._ZN7rocprim17ROCPRIM_400000_NS6detail17trampoline_kernelINS0_14default_configENS1_35adjacent_difference_config_selectorILb0EiEEZNS1_24adjacent_difference_implIS3_Lb0ELb0EPiS7_N6thrust23THRUST_200600_302600_NS5minusIiEEEE10hipError_tPvRmT2_T3_mT4_P12ihipStream_tbEUlT_E_NS1_11comp_targetILNS1_3genE5ELNS1_11target_archE942ELNS1_3gpuE9ELNS1_3repE0EEENS1_30default_config_static_selectorELNS0_4arch9wavefront6targetE1EEEvT1_,"axG",@progbits,_ZN7rocprim17ROCPRIM_400000_NS6detail17trampoline_kernelINS0_14default_configENS1_35adjacent_difference_config_selectorILb0EiEEZNS1_24adjacent_difference_implIS3_Lb0ELb0EPiS7_N6thrust23THRUST_200600_302600_NS5minusIiEEEE10hipError_tPvRmT2_T3_mT4_P12ihipStream_tbEUlT_E_NS1_11comp_targetILNS1_3genE5ELNS1_11target_archE942ELNS1_3gpuE9ELNS1_3repE0EEENS1_30default_config_static_selectorELNS0_4arch9wavefront6targetE1EEEvT1_,comdat
.Lfunc_end104:
	.size	_ZN7rocprim17ROCPRIM_400000_NS6detail17trampoline_kernelINS0_14default_configENS1_35adjacent_difference_config_selectorILb0EiEEZNS1_24adjacent_difference_implIS3_Lb0ELb0EPiS7_N6thrust23THRUST_200600_302600_NS5minusIiEEEE10hipError_tPvRmT2_T3_mT4_P12ihipStream_tbEUlT_E_NS1_11comp_targetILNS1_3genE5ELNS1_11target_archE942ELNS1_3gpuE9ELNS1_3repE0EEENS1_30default_config_static_selectorELNS0_4arch9wavefront6targetE1EEEvT1_, .Lfunc_end104-_ZN7rocprim17ROCPRIM_400000_NS6detail17trampoline_kernelINS0_14default_configENS1_35adjacent_difference_config_selectorILb0EiEEZNS1_24adjacent_difference_implIS3_Lb0ELb0EPiS7_N6thrust23THRUST_200600_302600_NS5minusIiEEEE10hipError_tPvRmT2_T3_mT4_P12ihipStream_tbEUlT_E_NS1_11comp_targetILNS1_3genE5ELNS1_11target_archE942ELNS1_3gpuE9ELNS1_3repE0EEENS1_30default_config_static_selectorELNS0_4arch9wavefront6targetE1EEEvT1_
                                        ; -- End function
	.section	.AMDGPU.csdata,"",@progbits
; Kernel info:
; codeLenInByte = 6312
; NumSgprs: 76
; NumVgprs: 64
; NumAgprs: 0
; TotalNumVgprs: 64
; ScratchSize: 0
; MemoryBound: 0
; FloatMode: 240
; IeeeMode: 1
; LDSByteSize: 7424 bytes/workgroup (compile time only)
; SGPRBlocks: 9
; VGPRBlocks: 7
; NumSGPRsForWavesPerEU: 76
; NumVGPRsForWavesPerEU: 64
; AccumOffset: 64
; Occupancy: 2
; WaveLimiterHint : 1
; COMPUTE_PGM_RSRC2:SCRATCH_EN: 0
; COMPUTE_PGM_RSRC2:USER_SGPR: 2
; COMPUTE_PGM_RSRC2:TRAP_HANDLER: 0
; COMPUTE_PGM_RSRC2:TGID_X_EN: 1
; COMPUTE_PGM_RSRC2:TGID_Y_EN: 0
; COMPUTE_PGM_RSRC2:TGID_Z_EN: 0
; COMPUTE_PGM_RSRC2:TIDIG_COMP_CNT: 0
; COMPUTE_PGM_RSRC3_GFX90A:ACCUM_OFFSET: 15
; COMPUTE_PGM_RSRC3_GFX90A:TG_SPLIT: 0
	.section	.text._ZN7rocprim17ROCPRIM_400000_NS6detail17trampoline_kernelINS0_14default_configENS1_35adjacent_difference_config_selectorILb0EiEEZNS1_24adjacent_difference_implIS3_Lb0ELb0EPiS7_N6thrust23THRUST_200600_302600_NS5minusIiEEEE10hipError_tPvRmT2_T3_mT4_P12ihipStream_tbEUlT_E_NS1_11comp_targetILNS1_3genE4ELNS1_11target_archE910ELNS1_3gpuE8ELNS1_3repE0EEENS1_30default_config_static_selectorELNS0_4arch9wavefront6targetE1EEEvT1_,"axG",@progbits,_ZN7rocprim17ROCPRIM_400000_NS6detail17trampoline_kernelINS0_14default_configENS1_35adjacent_difference_config_selectorILb0EiEEZNS1_24adjacent_difference_implIS3_Lb0ELb0EPiS7_N6thrust23THRUST_200600_302600_NS5minusIiEEEE10hipError_tPvRmT2_T3_mT4_P12ihipStream_tbEUlT_E_NS1_11comp_targetILNS1_3genE4ELNS1_11target_archE910ELNS1_3gpuE8ELNS1_3repE0EEENS1_30default_config_static_selectorELNS0_4arch9wavefront6targetE1EEEvT1_,comdat
	.protected	_ZN7rocprim17ROCPRIM_400000_NS6detail17trampoline_kernelINS0_14default_configENS1_35adjacent_difference_config_selectorILb0EiEEZNS1_24adjacent_difference_implIS3_Lb0ELb0EPiS7_N6thrust23THRUST_200600_302600_NS5minusIiEEEE10hipError_tPvRmT2_T3_mT4_P12ihipStream_tbEUlT_E_NS1_11comp_targetILNS1_3genE4ELNS1_11target_archE910ELNS1_3gpuE8ELNS1_3repE0EEENS1_30default_config_static_selectorELNS0_4arch9wavefront6targetE1EEEvT1_ ; -- Begin function _ZN7rocprim17ROCPRIM_400000_NS6detail17trampoline_kernelINS0_14default_configENS1_35adjacent_difference_config_selectorILb0EiEEZNS1_24adjacent_difference_implIS3_Lb0ELb0EPiS7_N6thrust23THRUST_200600_302600_NS5minusIiEEEE10hipError_tPvRmT2_T3_mT4_P12ihipStream_tbEUlT_E_NS1_11comp_targetILNS1_3genE4ELNS1_11target_archE910ELNS1_3gpuE8ELNS1_3repE0EEENS1_30default_config_static_selectorELNS0_4arch9wavefront6targetE1EEEvT1_
	.globl	_ZN7rocprim17ROCPRIM_400000_NS6detail17trampoline_kernelINS0_14default_configENS1_35adjacent_difference_config_selectorILb0EiEEZNS1_24adjacent_difference_implIS3_Lb0ELb0EPiS7_N6thrust23THRUST_200600_302600_NS5minusIiEEEE10hipError_tPvRmT2_T3_mT4_P12ihipStream_tbEUlT_E_NS1_11comp_targetILNS1_3genE4ELNS1_11target_archE910ELNS1_3gpuE8ELNS1_3repE0EEENS1_30default_config_static_selectorELNS0_4arch9wavefront6targetE1EEEvT1_
	.p2align	8
	.type	_ZN7rocprim17ROCPRIM_400000_NS6detail17trampoline_kernelINS0_14default_configENS1_35adjacent_difference_config_selectorILb0EiEEZNS1_24adjacent_difference_implIS3_Lb0ELb0EPiS7_N6thrust23THRUST_200600_302600_NS5minusIiEEEE10hipError_tPvRmT2_T3_mT4_P12ihipStream_tbEUlT_E_NS1_11comp_targetILNS1_3genE4ELNS1_11target_archE910ELNS1_3gpuE8ELNS1_3repE0EEENS1_30default_config_static_selectorELNS0_4arch9wavefront6targetE1EEEvT1_,@function
_ZN7rocprim17ROCPRIM_400000_NS6detail17trampoline_kernelINS0_14default_configENS1_35adjacent_difference_config_selectorILb0EiEEZNS1_24adjacent_difference_implIS3_Lb0ELb0EPiS7_N6thrust23THRUST_200600_302600_NS5minusIiEEEE10hipError_tPvRmT2_T3_mT4_P12ihipStream_tbEUlT_E_NS1_11comp_targetILNS1_3genE4ELNS1_11target_archE910ELNS1_3gpuE8ELNS1_3repE0EEENS1_30default_config_static_selectorELNS0_4arch9wavefront6targetE1EEEvT1_: ; @_ZN7rocprim17ROCPRIM_400000_NS6detail17trampoline_kernelINS0_14default_configENS1_35adjacent_difference_config_selectorILb0EiEEZNS1_24adjacent_difference_implIS3_Lb0ELb0EPiS7_N6thrust23THRUST_200600_302600_NS5minusIiEEEE10hipError_tPvRmT2_T3_mT4_P12ihipStream_tbEUlT_E_NS1_11comp_targetILNS1_3genE4ELNS1_11target_archE910ELNS1_3gpuE8ELNS1_3repE0EEENS1_30default_config_static_selectorELNS0_4arch9wavefront6targetE1EEEvT1_
; %bb.0:
	.section	.rodata,"a",@progbits
	.p2align	6, 0x0
	.amdhsa_kernel _ZN7rocprim17ROCPRIM_400000_NS6detail17trampoline_kernelINS0_14default_configENS1_35adjacent_difference_config_selectorILb0EiEEZNS1_24adjacent_difference_implIS3_Lb0ELb0EPiS7_N6thrust23THRUST_200600_302600_NS5minusIiEEEE10hipError_tPvRmT2_T3_mT4_P12ihipStream_tbEUlT_E_NS1_11comp_targetILNS1_3genE4ELNS1_11target_archE910ELNS1_3gpuE8ELNS1_3repE0EEENS1_30default_config_static_selectorELNS0_4arch9wavefront6targetE1EEEvT1_
		.amdhsa_group_segment_fixed_size 0
		.amdhsa_private_segment_fixed_size 0
		.amdhsa_kernarg_size 56
		.amdhsa_user_sgpr_count 2
		.amdhsa_user_sgpr_dispatch_ptr 0
		.amdhsa_user_sgpr_queue_ptr 0
		.amdhsa_user_sgpr_kernarg_segment_ptr 1
		.amdhsa_user_sgpr_dispatch_id 0
		.amdhsa_user_sgpr_kernarg_preload_length 0
		.amdhsa_user_sgpr_kernarg_preload_offset 0
		.amdhsa_user_sgpr_private_segment_size 0
		.amdhsa_uses_dynamic_stack 0
		.amdhsa_enable_private_segment 0
		.amdhsa_system_sgpr_workgroup_id_x 1
		.amdhsa_system_sgpr_workgroup_id_y 0
		.amdhsa_system_sgpr_workgroup_id_z 0
		.amdhsa_system_sgpr_workgroup_info 0
		.amdhsa_system_vgpr_workitem_id 0
		.amdhsa_next_free_vgpr 1
		.amdhsa_next_free_sgpr 0
		.amdhsa_accum_offset 4
		.amdhsa_reserve_vcc 0
		.amdhsa_float_round_mode_32 0
		.amdhsa_float_round_mode_16_64 0
		.amdhsa_float_denorm_mode_32 3
		.amdhsa_float_denorm_mode_16_64 3
		.amdhsa_dx10_clamp 1
		.amdhsa_ieee_mode 1
		.amdhsa_fp16_overflow 0
		.amdhsa_tg_split 0
		.amdhsa_exception_fp_ieee_invalid_op 0
		.amdhsa_exception_fp_denorm_src 0
		.amdhsa_exception_fp_ieee_div_zero 0
		.amdhsa_exception_fp_ieee_overflow 0
		.amdhsa_exception_fp_ieee_underflow 0
		.amdhsa_exception_fp_ieee_inexact 0
		.amdhsa_exception_int_div_zero 0
	.end_amdhsa_kernel
	.section	.text._ZN7rocprim17ROCPRIM_400000_NS6detail17trampoline_kernelINS0_14default_configENS1_35adjacent_difference_config_selectorILb0EiEEZNS1_24adjacent_difference_implIS3_Lb0ELb0EPiS7_N6thrust23THRUST_200600_302600_NS5minusIiEEEE10hipError_tPvRmT2_T3_mT4_P12ihipStream_tbEUlT_E_NS1_11comp_targetILNS1_3genE4ELNS1_11target_archE910ELNS1_3gpuE8ELNS1_3repE0EEENS1_30default_config_static_selectorELNS0_4arch9wavefront6targetE1EEEvT1_,"axG",@progbits,_ZN7rocprim17ROCPRIM_400000_NS6detail17trampoline_kernelINS0_14default_configENS1_35adjacent_difference_config_selectorILb0EiEEZNS1_24adjacent_difference_implIS3_Lb0ELb0EPiS7_N6thrust23THRUST_200600_302600_NS5minusIiEEEE10hipError_tPvRmT2_T3_mT4_P12ihipStream_tbEUlT_E_NS1_11comp_targetILNS1_3genE4ELNS1_11target_archE910ELNS1_3gpuE8ELNS1_3repE0EEENS1_30default_config_static_selectorELNS0_4arch9wavefront6targetE1EEEvT1_,comdat
.Lfunc_end105:
	.size	_ZN7rocprim17ROCPRIM_400000_NS6detail17trampoline_kernelINS0_14default_configENS1_35adjacent_difference_config_selectorILb0EiEEZNS1_24adjacent_difference_implIS3_Lb0ELb0EPiS7_N6thrust23THRUST_200600_302600_NS5minusIiEEEE10hipError_tPvRmT2_T3_mT4_P12ihipStream_tbEUlT_E_NS1_11comp_targetILNS1_3genE4ELNS1_11target_archE910ELNS1_3gpuE8ELNS1_3repE0EEENS1_30default_config_static_selectorELNS0_4arch9wavefront6targetE1EEEvT1_, .Lfunc_end105-_ZN7rocprim17ROCPRIM_400000_NS6detail17trampoline_kernelINS0_14default_configENS1_35adjacent_difference_config_selectorILb0EiEEZNS1_24adjacent_difference_implIS3_Lb0ELb0EPiS7_N6thrust23THRUST_200600_302600_NS5minusIiEEEE10hipError_tPvRmT2_T3_mT4_P12ihipStream_tbEUlT_E_NS1_11comp_targetILNS1_3genE4ELNS1_11target_archE910ELNS1_3gpuE8ELNS1_3repE0EEENS1_30default_config_static_selectorELNS0_4arch9wavefront6targetE1EEEvT1_
                                        ; -- End function
	.section	.AMDGPU.csdata,"",@progbits
; Kernel info:
; codeLenInByte = 0
; NumSgprs: 6
; NumVgprs: 0
; NumAgprs: 0
; TotalNumVgprs: 0
; ScratchSize: 0
; MemoryBound: 0
; FloatMode: 240
; IeeeMode: 1
; LDSByteSize: 0 bytes/workgroup (compile time only)
; SGPRBlocks: 0
; VGPRBlocks: 0
; NumSGPRsForWavesPerEU: 6
; NumVGPRsForWavesPerEU: 1
; AccumOffset: 4
; Occupancy: 8
; WaveLimiterHint : 0
; COMPUTE_PGM_RSRC2:SCRATCH_EN: 0
; COMPUTE_PGM_RSRC2:USER_SGPR: 2
; COMPUTE_PGM_RSRC2:TRAP_HANDLER: 0
; COMPUTE_PGM_RSRC2:TGID_X_EN: 1
; COMPUTE_PGM_RSRC2:TGID_Y_EN: 0
; COMPUTE_PGM_RSRC2:TGID_Z_EN: 0
; COMPUTE_PGM_RSRC2:TIDIG_COMP_CNT: 0
; COMPUTE_PGM_RSRC3_GFX90A:ACCUM_OFFSET: 0
; COMPUTE_PGM_RSRC3_GFX90A:TG_SPLIT: 0
	.section	.text._ZN7rocprim17ROCPRIM_400000_NS6detail17trampoline_kernelINS0_14default_configENS1_35adjacent_difference_config_selectorILb0EiEEZNS1_24adjacent_difference_implIS3_Lb0ELb0EPiS7_N6thrust23THRUST_200600_302600_NS5minusIiEEEE10hipError_tPvRmT2_T3_mT4_P12ihipStream_tbEUlT_E_NS1_11comp_targetILNS1_3genE3ELNS1_11target_archE908ELNS1_3gpuE7ELNS1_3repE0EEENS1_30default_config_static_selectorELNS0_4arch9wavefront6targetE1EEEvT1_,"axG",@progbits,_ZN7rocprim17ROCPRIM_400000_NS6detail17trampoline_kernelINS0_14default_configENS1_35adjacent_difference_config_selectorILb0EiEEZNS1_24adjacent_difference_implIS3_Lb0ELb0EPiS7_N6thrust23THRUST_200600_302600_NS5minusIiEEEE10hipError_tPvRmT2_T3_mT4_P12ihipStream_tbEUlT_E_NS1_11comp_targetILNS1_3genE3ELNS1_11target_archE908ELNS1_3gpuE7ELNS1_3repE0EEENS1_30default_config_static_selectorELNS0_4arch9wavefront6targetE1EEEvT1_,comdat
	.protected	_ZN7rocprim17ROCPRIM_400000_NS6detail17trampoline_kernelINS0_14default_configENS1_35adjacent_difference_config_selectorILb0EiEEZNS1_24adjacent_difference_implIS3_Lb0ELb0EPiS7_N6thrust23THRUST_200600_302600_NS5minusIiEEEE10hipError_tPvRmT2_T3_mT4_P12ihipStream_tbEUlT_E_NS1_11comp_targetILNS1_3genE3ELNS1_11target_archE908ELNS1_3gpuE7ELNS1_3repE0EEENS1_30default_config_static_selectorELNS0_4arch9wavefront6targetE1EEEvT1_ ; -- Begin function _ZN7rocprim17ROCPRIM_400000_NS6detail17trampoline_kernelINS0_14default_configENS1_35adjacent_difference_config_selectorILb0EiEEZNS1_24adjacent_difference_implIS3_Lb0ELb0EPiS7_N6thrust23THRUST_200600_302600_NS5minusIiEEEE10hipError_tPvRmT2_T3_mT4_P12ihipStream_tbEUlT_E_NS1_11comp_targetILNS1_3genE3ELNS1_11target_archE908ELNS1_3gpuE7ELNS1_3repE0EEENS1_30default_config_static_selectorELNS0_4arch9wavefront6targetE1EEEvT1_
	.globl	_ZN7rocprim17ROCPRIM_400000_NS6detail17trampoline_kernelINS0_14default_configENS1_35adjacent_difference_config_selectorILb0EiEEZNS1_24adjacent_difference_implIS3_Lb0ELb0EPiS7_N6thrust23THRUST_200600_302600_NS5minusIiEEEE10hipError_tPvRmT2_T3_mT4_P12ihipStream_tbEUlT_E_NS1_11comp_targetILNS1_3genE3ELNS1_11target_archE908ELNS1_3gpuE7ELNS1_3repE0EEENS1_30default_config_static_selectorELNS0_4arch9wavefront6targetE1EEEvT1_
	.p2align	8
	.type	_ZN7rocprim17ROCPRIM_400000_NS6detail17trampoline_kernelINS0_14default_configENS1_35adjacent_difference_config_selectorILb0EiEEZNS1_24adjacent_difference_implIS3_Lb0ELb0EPiS7_N6thrust23THRUST_200600_302600_NS5minusIiEEEE10hipError_tPvRmT2_T3_mT4_P12ihipStream_tbEUlT_E_NS1_11comp_targetILNS1_3genE3ELNS1_11target_archE908ELNS1_3gpuE7ELNS1_3repE0EEENS1_30default_config_static_selectorELNS0_4arch9wavefront6targetE1EEEvT1_,@function
_ZN7rocprim17ROCPRIM_400000_NS6detail17trampoline_kernelINS0_14default_configENS1_35adjacent_difference_config_selectorILb0EiEEZNS1_24adjacent_difference_implIS3_Lb0ELb0EPiS7_N6thrust23THRUST_200600_302600_NS5minusIiEEEE10hipError_tPvRmT2_T3_mT4_P12ihipStream_tbEUlT_E_NS1_11comp_targetILNS1_3genE3ELNS1_11target_archE908ELNS1_3gpuE7ELNS1_3repE0EEENS1_30default_config_static_selectorELNS0_4arch9wavefront6targetE1EEEvT1_: ; @_ZN7rocprim17ROCPRIM_400000_NS6detail17trampoline_kernelINS0_14default_configENS1_35adjacent_difference_config_selectorILb0EiEEZNS1_24adjacent_difference_implIS3_Lb0ELb0EPiS7_N6thrust23THRUST_200600_302600_NS5minusIiEEEE10hipError_tPvRmT2_T3_mT4_P12ihipStream_tbEUlT_E_NS1_11comp_targetILNS1_3genE3ELNS1_11target_archE908ELNS1_3gpuE7ELNS1_3repE0EEENS1_30default_config_static_selectorELNS0_4arch9wavefront6targetE1EEEvT1_
; %bb.0:
	.section	.rodata,"a",@progbits
	.p2align	6, 0x0
	.amdhsa_kernel _ZN7rocprim17ROCPRIM_400000_NS6detail17trampoline_kernelINS0_14default_configENS1_35adjacent_difference_config_selectorILb0EiEEZNS1_24adjacent_difference_implIS3_Lb0ELb0EPiS7_N6thrust23THRUST_200600_302600_NS5minusIiEEEE10hipError_tPvRmT2_T3_mT4_P12ihipStream_tbEUlT_E_NS1_11comp_targetILNS1_3genE3ELNS1_11target_archE908ELNS1_3gpuE7ELNS1_3repE0EEENS1_30default_config_static_selectorELNS0_4arch9wavefront6targetE1EEEvT1_
		.amdhsa_group_segment_fixed_size 0
		.amdhsa_private_segment_fixed_size 0
		.amdhsa_kernarg_size 56
		.amdhsa_user_sgpr_count 2
		.amdhsa_user_sgpr_dispatch_ptr 0
		.amdhsa_user_sgpr_queue_ptr 0
		.amdhsa_user_sgpr_kernarg_segment_ptr 1
		.amdhsa_user_sgpr_dispatch_id 0
		.amdhsa_user_sgpr_kernarg_preload_length 0
		.amdhsa_user_sgpr_kernarg_preload_offset 0
		.amdhsa_user_sgpr_private_segment_size 0
		.amdhsa_uses_dynamic_stack 0
		.amdhsa_enable_private_segment 0
		.amdhsa_system_sgpr_workgroup_id_x 1
		.amdhsa_system_sgpr_workgroup_id_y 0
		.amdhsa_system_sgpr_workgroup_id_z 0
		.amdhsa_system_sgpr_workgroup_info 0
		.amdhsa_system_vgpr_workitem_id 0
		.amdhsa_next_free_vgpr 1
		.amdhsa_next_free_sgpr 0
		.amdhsa_accum_offset 4
		.amdhsa_reserve_vcc 0
		.amdhsa_float_round_mode_32 0
		.amdhsa_float_round_mode_16_64 0
		.amdhsa_float_denorm_mode_32 3
		.amdhsa_float_denorm_mode_16_64 3
		.amdhsa_dx10_clamp 1
		.amdhsa_ieee_mode 1
		.amdhsa_fp16_overflow 0
		.amdhsa_tg_split 0
		.amdhsa_exception_fp_ieee_invalid_op 0
		.amdhsa_exception_fp_denorm_src 0
		.amdhsa_exception_fp_ieee_div_zero 0
		.amdhsa_exception_fp_ieee_overflow 0
		.amdhsa_exception_fp_ieee_underflow 0
		.amdhsa_exception_fp_ieee_inexact 0
		.amdhsa_exception_int_div_zero 0
	.end_amdhsa_kernel
	.section	.text._ZN7rocprim17ROCPRIM_400000_NS6detail17trampoline_kernelINS0_14default_configENS1_35adjacent_difference_config_selectorILb0EiEEZNS1_24adjacent_difference_implIS3_Lb0ELb0EPiS7_N6thrust23THRUST_200600_302600_NS5minusIiEEEE10hipError_tPvRmT2_T3_mT4_P12ihipStream_tbEUlT_E_NS1_11comp_targetILNS1_3genE3ELNS1_11target_archE908ELNS1_3gpuE7ELNS1_3repE0EEENS1_30default_config_static_selectorELNS0_4arch9wavefront6targetE1EEEvT1_,"axG",@progbits,_ZN7rocprim17ROCPRIM_400000_NS6detail17trampoline_kernelINS0_14default_configENS1_35adjacent_difference_config_selectorILb0EiEEZNS1_24adjacent_difference_implIS3_Lb0ELb0EPiS7_N6thrust23THRUST_200600_302600_NS5minusIiEEEE10hipError_tPvRmT2_T3_mT4_P12ihipStream_tbEUlT_E_NS1_11comp_targetILNS1_3genE3ELNS1_11target_archE908ELNS1_3gpuE7ELNS1_3repE0EEENS1_30default_config_static_selectorELNS0_4arch9wavefront6targetE1EEEvT1_,comdat
.Lfunc_end106:
	.size	_ZN7rocprim17ROCPRIM_400000_NS6detail17trampoline_kernelINS0_14default_configENS1_35adjacent_difference_config_selectorILb0EiEEZNS1_24adjacent_difference_implIS3_Lb0ELb0EPiS7_N6thrust23THRUST_200600_302600_NS5minusIiEEEE10hipError_tPvRmT2_T3_mT4_P12ihipStream_tbEUlT_E_NS1_11comp_targetILNS1_3genE3ELNS1_11target_archE908ELNS1_3gpuE7ELNS1_3repE0EEENS1_30default_config_static_selectorELNS0_4arch9wavefront6targetE1EEEvT1_, .Lfunc_end106-_ZN7rocprim17ROCPRIM_400000_NS6detail17trampoline_kernelINS0_14default_configENS1_35adjacent_difference_config_selectorILb0EiEEZNS1_24adjacent_difference_implIS3_Lb0ELb0EPiS7_N6thrust23THRUST_200600_302600_NS5minusIiEEEE10hipError_tPvRmT2_T3_mT4_P12ihipStream_tbEUlT_E_NS1_11comp_targetILNS1_3genE3ELNS1_11target_archE908ELNS1_3gpuE7ELNS1_3repE0EEENS1_30default_config_static_selectorELNS0_4arch9wavefront6targetE1EEEvT1_
                                        ; -- End function
	.section	.AMDGPU.csdata,"",@progbits
; Kernel info:
; codeLenInByte = 0
; NumSgprs: 6
; NumVgprs: 0
; NumAgprs: 0
; TotalNumVgprs: 0
; ScratchSize: 0
; MemoryBound: 0
; FloatMode: 240
; IeeeMode: 1
; LDSByteSize: 0 bytes/workgroup (compile time only)
; SGPRBlocks: 0
; VGPRBlocks: 0
; NumSGPRsForWavesPerEU: 6
; NumVGPRsForWavesPerEU: 1
; AccumOffset: 4
; Occupancy: 8
; WaveLimiterHint : 0
; COMPUTE_PGM_RSRC2:SCRATCH_EN: 0
; COMPUTE_PGM_RSRC2:USER_SGPR: 2
; COMPUTE_PGM_RSRC2:TRAP_HANDLER: 0
; COMPUTE_PGM_RSRC2:TGID_X_EN: 1
; COMPUTE_PGM_RSRC2:TGID_Y_EN: 0
; COMPUTE_PGM_RSRC2:TGID_Z_EN: 0
; COMPUTE_PGM_RSRC2:TIDIG_COMP_CNT: 0
; COMPUTE_PGM_RSRC3_GFX90A:ACCUM_OFFSET: 0
; COMPUTE_PGM_RSRC3_GFX90A:TG_SPLIT: 0
	.section	.text._ZN7rocprim17ROCPRIM_400000_NS6detail17trampoline_kernelINS0_14default_configENS1_35adjacent_difference_config_selectorILb0EiEEZNS1_24adjacent_difference_implIS3_Lb0ELb0EPiS7_N6thrust23THRUST_200600_302600_NS5minusIiEEEE10hipError_tPvRmT2_T3_mT4_P12ihipStream_tbEUlT_E_NS1_11comp_targetILNS1_3genE2ELNS1_11target_archE906ELNS1_3gpuE6ELNS1_3repE0EEENS1_30default_config_static_selectorELNS0_4arch9wavefront6targetE1EEEvT1_,"axG",@progbits,_ZN7rocprim17ROCPRIM_400000_NS6detail17trampoline_kernelINS0_14default_configENS1_35adjacent_difference_config_selectorILb0EiEEZNS1_24adjacent_difference_implIS3_Lb0ELb0EPiS7_N6thrust23THRUST_200600_302600_NS5minusIiEEEE10hipError_tPvRmT2_T3_mT4_P12ihipStream_tbEUlT_E_NS1_11comp_targetILNS1_3genE2ELNS1_11target_archE906ELNS1_3gpuE6ELNS1_3repE0EEENS1_30default_config_static_selectorELNS0_4arch9wavefront6targetE1EEEvT1_,comdat
	.protected	_ZN7rocprim17ROCPRIM_400000_NS6detail17trampoline_kernelINS0_14default_configENS1_35adjacent_difference_config_selectorILb0EiEEZNS1_24adjacent_difference_implIS3_Lb0ELb0EPiS7_N6thrust23THRUST_200600_302600_NS5minusIiEEEE10hipError_tPvRmT2_T3_mT4_P12ihipStream_tbEUlT_E_NS1_11comp_targetILNS1_3genE2ELNS1_11target_archE906ELNS1_3gpuE6ELNS1_3repE0EEENS1_30default_config_static_selectorELNS0_4arch9wavefront6targetE1EEEvT1_ ; -- Begin function _ZN7rocprim17ROCPRIM_400000_NS6detail17trampoline_kernelINS0_14default_configENS1_35adjacent_difference_config_selectorILb0EiEEZNS1_24adjacent_difference_implIS3_Lb0ELb0EPiS7_N6thrust23THRUST_200600_302600_NS5minusIiEEEE10hipError_tPvRmT2_T3_mT4_P12ihipStream_tbEUlT_E_NS1_11comp_targetILNS1_3genE2ELNS1_11target_archE906ELNS1_3gpuE6ELNS1_3repE0EEENS1_30default_config_static_selectorELNS0_4arch9wavefront6targetE1EEEvT1_
	.globl	_ZN7rocprim17ROCPRIM_400000_NS6detail17trampoline_kernelINS0_14default_configENS1_35adjacent_difference_config_selectorILb0EiEEZNS1_24adjacent_difference_implIS3_Lb0ELb0EPiS7_N6thrust23THRUST_200600_302600_NS5minusIiEEEE10hipError_tPvRmT2_T3_mT4_P12ihipStream_tbEUlT_E_NS1_11comp_targetILNS1_3genE2ELNS1_11target_archE906ELNS1_3gpuE6ELNS1_3repE0EEENS1_30default_config_static_selectorELNS0_4arch9wavefront6targetE1EEEvT1_
	.p2align	8
	.type	_ZN7rocprim17ROCPRIM_400000_NS6detail17trampoline_kernelINS0_14default_configENS1_35adjacent_difference_config_selectorILb0EiEEZNS1_24adjacent_difference_implIS3_Lb0ELb0EPiS7_N6thrust23THRUST_200600_302600_NS5minusIiEEEE10hipError_tPvRmT2_T3_mT4_P12ihipStream_tbEUlT_E_NS1_11comp_targetILNS1_3genE2ELNS1_11target_archE906ELNS1_3gpuE6ELNS1_3repE0EEENS1_30default_config_static_selectorELNS0_4arch9wavefront6targetE1EEEvT1_,@function
_ZN7rocprim17ROCPRIM_400000_NS6detail17trampoline_kernelINS0_14default_configENS1_35adjacent_difference_config_selectorILb0EiEEZNS1_24adjacent_difference_implIS3_Lb0ELb0EPiS7_N6thrust23THRUST_200600_302600_NS5minusIiEEEE10hipError_tPvRmT2_T3_mT4_P12ihipStream_tbEUlT_E_NS1_11comp_targetILNS1_3genE2ELNS1_11target_archE906ELNS1_3gpuE6ELNS1_3repE0EEENS1_30default_config_static_selectorELNS0_4arch9wavefront6targetE1EEEvT1_: ; @_ZN7rocprim17ROCPRIM_400000_NS6detail17trampoline_kernelINS0_14default_configENS1_35adjacent_difference_config_selectorILb0EiEEZNS1_24adjacent_difference_implIS3_Lb0ELb0EPiS7_N6thrust23THRUST_200600_302600_NS5minusIiEEEE10hipError_tPvRmT2_T3_mT4_P12ihipStream_tbEUlT_E_NS1_11comp_targetILNS1_3genE2ELNS1_11target_archE906ELNS1_3gpuE6ELNS1_3repE0EEENS1_30default_config_static_selectorELNS0_4arch9wavefront6targetE1EEEvT1_
; %bb.0:
	.section	.rodata,"a",@progbits
	.p2align	6, 0x0
	.amdhsa_kernel _ZN7rocprim17ROCPRIM_400000_NS6detail17trampoline_kernelINS0_14default_configENS1_35adjacent_difference_config_selectorILb0EiEEZNS1_24adjacent_difference_implIS3_Lb0ELb0EPiS7_N6thrust23THRUST_200600_302600_NS5minusIiEEEE10hipError_tPvRmT2_T3_mT4_P12ihipStream_tbEUlT_E_NS1_11comp_targetILNS1_3genE2ELNS1_11target_archE906ELNS1_3gpuE6ELNS1_3repE0EEENS1_30default_config_static_selectorELNS0_4arch9wavefront6targetE1EEEvT1_
		.amdhsa_group_segment_fixed_size 0
		.amdhsa_private_segment_fixed_size 0
		.amdhsa_kernarg_size 56
		.amdhsa_user_sgpr_count 2
		.amdhsa_user_sgpr_dispatch_ptr 0
		.amdhsa_user_sgpr_queue_ptr 0
		.amdhsa_user_sgpr_kernarg_segment_ptr 1
		.amdhsa_user_sgpr_dispatch_id 0
		.amdhsa_user_sgpr_kernarg_preload_length 0
		.amdhsa_user_sgpr_kernarg_preload_offset 0
		.amdhsa_user_sgpr_private_segment_size 0
		.amdhsa_uses_dynamic_stack 0
		.amdhsa_enable_private_segment 0
		.amdhsa_system_sgpr_workgroup_id_x 1
		.amdhsa_system_sgpr_workgroup_id_y 0
		.amdhsa_system_sgpr_workgroup_id_z 0
		.amdhsa_system_sgpr_workgroup_info 0
		.amdhsa_system_vgpr_workitem_id 0
		.amdhsa_next_free_vgpr 1
		.amdhsa_next_free_sgpr 0
		.amdhsa_accum_offset 4
		.amdhsa_reserve_vcc 0
		.amdhsa_float_round_mode_32 0
		.amdhsa_float_round_mode_16_64 0
		.amdhsa_float_denorm_mode_32 3
		.amdhsa_float_denorm_mode_16_64 3
		.amdhsa_dx10_clamp 1
		.amdhsa_ieee_mode 1
		.amdhsa_fp16_overflow 0
		.amdhsa_tg_split 0
		.amdhsa_exception_fp_ieee_invalid_op 0
		.amdhsa_exception_fp_denorm_src 0
		.amdhsa_exception_fp_ieee_div_zero 0
		.amdhsa_exception_fp_ieee_overflow 0
		.amdhsa_exception_fp_ieee_underflow 0
		.amdhsa_exception_fp_ieee_inexact 0
		.amdhsa_exception_int_div_zero 0
	.end_amdhsa_kernel
	.section	.text._ZN7rocprim17ROCPRIM_400000_NS6detail17trampoline_kernelINS0_14default_configENS1_35adjacent_difference_config_selectorILb0EiEEZNS1_24adjacent_difference_implIS3_Lb0ELb0EPiS7_N6thrust23THRUST_200600_302600_NS5minusIiEEEE10hipError_tPvRmT2_T3_mT4_P12ihipStream_tbEUlT_E_NS1_11comp_targetILNS1_3genE2ELNS1_11target_archE906ELNS1_3gpuE6ELNS1_3repE0EEENS1_30default_config_static_selectorELNS0_4arch9wavefront6targetE1EEEvT1_,"axG",@progbits,_ZN7rocprim17ROCPRIM_400000_NS6detail17trampoline_kernelINS0_14default_configENS1_35adjacent_difference_config_selectorILb0EiEEZNS1_24adjacent_difference_implIS3_Lb0ELb0EPiS7_N6thrust23THRUST_200600_302600_NS5minusIiEEEE10hipError_tPvRmT2_T3_mT4_P12ihipStream_tbEUlT_E_NS1_11comp_targetILNS1_3genE2ELNS1_11target_archE906ELNS1_3gpuE6ELNS1_3repE0EEENS1_30default_config_static_selectorELNS0_4arch9wavefront6targetE1EEEvT1_,comdat
.Lfunc_end107:
	.size	_ZN7rocprim17ROCPRIM_400000_NS6detail17trampoline_kernelINS0_14default_configENS1_35adjacent_difference_config_selectorILb0EiEEZNS1_24adjacent_difference_implIS3_Lb0ELb0EPiS7_N6thrust23THRUST_200600_302600_NS5minusIiEEEE10hipError_tPvRmT2_T3_mT4_P12ihipStream_tbEUlT_E_NS1_11comp_targetILNS1_3genE2ELNS1_11target_archE906ELNS1_3gpuE6ELNS1_3repE0EEENS1_30default_config_static_selectorELNS0_4arch9wavefront6targetE1EEEvT1_, .Lfunc_end107-_ZN7rocprim17ROCPRIM_400000_NS6detail17trampoline_kernelINS0_14default_configENS1_35adjacent_difference_config_selectorILb0EiEEZNS1_24adjacent_difference_implIS3_Lb0ELb0EPiS7_N6thrust23THRUST_200600_302600_NS5minusIiEEEE10hipError_tPvRmT2_T3_mT4_P12ihipStream_tbEUlT_E_NS1_11comp_targetILNS1_3genE2ELNS1_11target_archE906ELNS1_3gpuE6ELNS1_3repE0EEENS1_30default_config_static_selectorELNS0_4arch9wavefront6targetE1EEEvT1_
                                        ; -- End function
	.section	.AMDGPU.csdata,"",@progbits
; Kernel info:
; codeLenInByte = 0
; NumSgprs: 6
; NumVgprs: 0
; NumAgprs: 0
; TotalNumVgprs: 0
; ScratchSize: 0
; MemoryBound: 0
; FloatMode: 240
; IeeeMode: 1
; LDSByteSize: 0 bytes/workgroup (compile time only)
; SGPRBlocks: 0
; VGPRBlocks: 0
; NumSGPRsForWavesPerEU: 6
; NumVGPRsForWavesPerEU: 1
; AccumOffset: 4
; Occupancy: 8
; WaveLimiterHint : 0
; COMPUTE_PGM_RSRC2:SCRATCH_EN: 0
; COMPUTE_PGM_RSRC2:USER_SGPR: 2
; COMPUTE_PGM_RSRC2:TRAP_HANDLER: 0
; COMPUTE_PGM_RSRC2:TGID_X_EN: 1
; COMPUTE_PGM_RSRC2:TGID_Y_EN: 0
; COMPUTE_PGM_RSRC2:TGID_Z_EN: 0
; COMPUTE_PGM_RSRC2:TIDIG_COMP_CNT: 0
; COMPUTE_PGM_RSRC3_GFX90A:ACCUM_OFFSET: 0
; COMPUTE_PGM_RSRC3_GFX90A:TG_SPLIT: 0
	.section	.text._ZN7rocprim17ROCPRIM_400000_NS6detail17trampoline_kernelINS0_14default_configENS1_35adjacent_difference_config_selectorILb0EiEEZNS1_24adjacent_difference_implIS3_Lb0ELb0EPiS7_N6thrust23THRUST_200600_302600_NS5minusIiEEEE10hipError_tPvRmT2_T3_mT4_P12ihipStream_tbEUlT_E_NS1_11comp_targetILNS1_3genE9ELNS1_11target_archE1100ELNS1_3gpuE3ELNS1_3repE0EEENS1_30default_config_static_selectorELNS0_4arch9wavefront6targetE1EEEvT1_,"axG",@progbits,_ZN7rocprim17ROCPRIM_400000_NS6detail17trampoline_kernelINS0_14default_configENS1_35adjacent_difference_config_selectorILb0EiEEZNS1_24adjacent_difference_implIS3_Lb0ELb0EPiS7_N6thrust23THRUST_200600_302600_NS5minusIiEEEE10hipError_tPvRmT2_T3_mT4_P12ihipStream_tbEUlT_E_NS1_11comp_targetILNS1_3genE9ELNS1_11target_archE1100ELNS1_3gpuE3ELNS1_3repE0EEENS1_30default_config_static_selectorELNS0_4arch9wavefront6targetE1EEEvT1_,comdat
	.protected	_ZN7rocprim17ROCPRIM_400000_NS6detail17trampoline_kernelINS0_14default_configENS1_35adjacent_difference_config_selectorILb0EiEEZNS1_24adjacent_difference_implIS3_Lb0ELb0EPiS7_N6thrust23THRUST_200600_302600_NS5minusIiEEEE10hipError_tPvRmT2_T3_mT4_P12ihipStream_tbEUlT_E_NS1_11comp_targetILNS1_3genE9ELNS1_11target_archE1100ELNS1_3gpuE3ELNS1_3repE0EEENS1_30default_config_static_selectorELNS0_4arch9wavefront6targetE1EEEvT1_ ; -- Begin function _ZN7rocprim17ROCPRIM_400000_NS6detail17trampoline_kernelINS0_14default_configENS1_35adjacent_difference_config_selectorILb0EiEEZNS1_24adjacent_difference_implIS3_Lb0ELb0EPiS7_N6thrust23THRUST_200600_302600_NS5minusIiEEEE10hipError_tPvRmT2_T3_mT4_P12ihipStream_tbEUlT_E_NS1_11comp_targetILNS1_3genE9ELNS1_11target_archE1100ELNS1_3gpuE3ELNS1_3repE0EEENS1_30default_config_static_selectorELNS0_4arch9wavefront6targetE1EEEvT1_
	.globl	_ZN7rocprim17ROCPRIM_400000_NS6detail17trampoline_kernelINS0_14default_configENS1_35adjacent_difference_config_selectorILb0EiEEZNS1_24adjacent_difference_implIS3_Lb0ELb0EPiS7_N6thrust23THRUST_200600_302600_NS5minusIiEEEE10hipError_tPvRmT2_T3_mT4_P12ihipStream_tbEUlT_E_NS1_11comp_targetILNS1_3genE9ELNS1_11target_archE1100ELNS1_3gpuE3ELNS1_3repE0EEENS1_30default_config_static_selectorELNS0_4arch9wavefront6targetE1EEEvT1_
	.p2align	8
	.type	_ZN7rocprim17ROCPRIM_400000_NS6detail17trampoline_kernelINS0_14default_configENS1_35adjacent_difference_config_selectorILb0EiEEZNS1_24adjacent_difference_implIS3_Lb0ELb0EPiS7_N6thrust23THRUST_200600_302600_NS5minusIiEEEE10hipError_tPvRmT2_T3_mT4_P12ihipStream_tbEUlT_E_NS1_11comp_targetILNS1_3genE9ELNS1_11target_archE1100ELNS1_3gpuE3ELNS1_3repE0EEENS1_30default_config_static_selectorELNS0_4arch9wavefront6targetE1EEEvT1_,@function
_ZN7rocprim17ROCPRIM_400000_NS6detail17trampoline_kernelINS0_14default_configENS1_35adjacent_difference_config_selectorILb0EiEEZNS1_24adjacent_difference_implIS3_Lb0ELb0EPiS7_N6thrust23THRUST_200600_302600_NS5minusIiEEEE10hipError_tPvRmT2_T3_mT4_P12ihipStream_tbEUlT_E_NS1_11comp_targetILNS1_3genE9ELNS1_11target_archE1100ELNS1_3gpuE3ELNS1_3repE0EEENS1_30default_config_static_selectorELNS0_4arch9wavefront6targetE1EEEvT1_: ; @_ZN7rocprim17ROCPRIM_400000_NS6detail17trampoline_kernelINS0_14default_configENS1_35adjacent_difference_config_selectorILb0EiEEZNS1_24adjacent_difference_implIS3_Lb0ELb0EPiS7_N6thrust23THRUST_200600_302600_NS5minusIiEEEE10hipError_tPvRmT2_T3_mT4_P12ihipStream_tbEUlT_E_NS1_11comp_targetILNS1_3genE9ELNS1_11target_archE1100ELNS1_3gpuE3ELNS1_3repE0EEENS1_30default_config_static_selectorELNS0_4arch9wavefront6targetE1EEEvT1_
; %bb.0:
	.section	.rodata,"a",@progbits
	.p2align	6, 0x0
	.amdhsa_kernel _ZN7rocprim17ROCPRIM_400000_NS6detail17trampoline_kernelINS0_14default_configENS1_35adjacent_difference_config_selectorILb0EiEEZNS1_24adjacent_difference_implIS3_Lb0ELb0EPiS7_N6thrust23THRUST_200600_302600_NS5minusIiEEEE10hipError_tPvRmT2_T3_mT4_P12ihipStream_tbEUlT_E_NS1_11comp_targetILNS1_3genE9ELNS1_11target_archE1100ELNS1_3gpuE3ELNS1_3repE0EEENS1_30default_config_static_selectorELNS0_4arch9wavefront6targetE1EEEvT1_
		.amdhsa_group_segment_fixed_size 0
		.amdhsa_private_segment_fixed_size 0
		.amdhsa_kernarg_size 56
		.amdhsa_user_sgpr_count 2
		.amdhsa_user_sgpr_dispatch_ptr 0
		.amdhsa_user_sgpr_queue_ptr 0
		.amdhsa_user_sgpr_kernarg_segment_ptr 1
		.amdhsa_user_sgpr_dispatch_id 0
		.amdhsa_user_sgpr_kernarg_preload_length 0
		.amdhsa_user_sgpr_kernarg_preload_offset 0
		.amdhsa_user_sgpr_private_segment_size 0
		.amdhsa_uses_dynamic_stack 0
		.amdhsa_enable_private_segment 0
		.amdhsa_system_sgpr_workgroup_id_x 1
		.amdhsa_system_sgpr_workgroup_id_y 0
		.amdhsa_system_sgpr_workgroup_id_z 0
		.amdhsa_system_sgpr_workgroup_info 0
		.amdhsa_system_vgpr_workitem_id 0
		.amdhsa_next_free_vgpr 1
		.amdhsa_next_free_sgpr 0
		.amdhsa_accum_offset 4
		.amdhsa_reserve_vcc 0
		.amdhsa_float_round_mode_32 0
		.amdhsa_float_round_mode_16_64 0
		.amdhsa_float_denorm_mode_32 3
		.amdhsa_float_denorm_mode_16_64 3
		.amdhsa_dx10_clamp 1
		.amdhsa_ieee_mode 1
		.amdhsa_fp16_overflow 0
		.amdhsa_tg_split 0
		.amdhsa_exception_fp_ieee_invalid_op 0
		.amdhsa_exception_fp_denorm_src 0
		.amdhsa_exception_fp_ieee_div_zero 0
		.amdhsa_exception_fp_ieee_overflow 0
		.amdhsa_exception_fp_ieee_underflow 0
		.amdhsa_exception_fp_ieee_inexact 0
		.amdhsa_exception_int_div_zero 0
	.end_amdhsa_kernel
	.section	.text._ZN7rocprim17ROCPRIM_400000_NS6detail17trampoline_kernelINS0_14default_configENS1_35adjacent_difference_config_selectorILb0EiEEZNS1_24adjacent_difference_implIS3_Lb0ELb0EPiS7_N6thrust23THRUST_200600_302600_NS5minusIiEEEE10hipError_tPvRmT2_T3_mT4_P12ihipStream_tbEUlT_E_NS1_11comp_targetILNS1_3genE9ELNS1_11target_archE1100ELNS1_3gpuE3ELNS1_3repE0EEENS1_30default_config_static_selectorELNS0_4arch9wavefront6targetE1EEEvT1_,"axG",@progbits,_ZN7rocprim17ROCPRIM_400000_NS6detail17trampoline_kernelINS0_14default_configENS1_35adjacent_difference_config_selectorILb0EiEEZNS1_24adjacent_difference_implIS3_Lb0ELb0EPiS7_N6thrust23THRUST_200600_302600_NS5minusIiEEEE10hipError_tPvRmT2_T3_mT4_P12ihipStream_tbEUlT_E_NS1_11comp_targetILNS1_3genE9ELNS1_11target_archE1100ELNS1_3gpuE3ELNS1_3repE0EEENS1_30default_config_static_selectorELNS0_4arch9wavefront6targetE1EEEvT1_,comdat
.Lfunc_end108:
	.size	_ZN7rocprim17ROCPRIM_400000_NS6detail17trampoline_kernelINS0_14default_configENS1_35adjacent_difference_config_selectorILb0EiEEZNS1_24adjacent_difference_implIS3_Lb0ELb0EPiS7_N6thrust23THRUST_200600_302600_NS5minusIiEEEE10hipError_tPvRmT2_T3_mT4_P12ihipStream_tbEUlT_E_NS1_11comp_targetILNS1_3genE9ELNS1_11target_archE1100ELNS1_3gpuE3ELNS1_3repE0EEENS1_30default_config_static_selectorELNS0_4arch9wavefront6targetE1EEEvT1_, .Lfunc_end108-_ZN7rocprim17ROCPRIM_400000_NS6detail17trampoline_kernelINS0_14default_configENS1_35adjacent_difference_config_selectorILb0EiEEZNS1_24adjacent_difference_implIS3_Lb0ELb0EPiS7_N6thrust23THRUST_200600_302600_NS5minusIiEEEE10hipError_tPvRmT2_T3_mT4_P12ihipStream_tbEUlT_E_NS1_11comp_targetILNS1_3genE9ELNS1_11target_archE1100ELNS1_3gpuE3ELNS1_3repE0EEENS1_30default_config_static_selectorELNS0_4arch9wavefront6targetE1EEEvT1_
                                        ; -- End function
	.section	.AMDGPU.csdata,"",@progbits
; Kernel info:
; codeLenInByte = 0
; NumSgprs: 6
; NumVgprs: 0
; NumAgprs: 0
; TotalNumVgprs: 0
; ScratchSize: 0
; MemoryBound: 0
; FloatMode: 240
; IeeeMode: 1
; LDSByteSize: 0 bytes/workgroup (compile time only)
; SGPRBlocks: 0
; VGPRBlocks: 0
; NumSGPRsForWavesPerEU: 6
; NumVGPRsForWavesPerEU: 1
; AccumOffset: 4
; Occupancy: 8
; WaveLimiterHint : 0
; COMPUTE_PGM_RSRC2:SCRATCH_EN: 0
; COMPUTE_PGM_RSRC2:USER_SGPR: 2
; COMPUTE_PGM_RSRC2:TRAP_HANDLER: 0
; COMPUTE_PGM_RSRC2:TGID_X_EN: 1
; COMPUTE_PGM_RSRC2:TGID_Y_EN: 0
; COMPUTE_PGM_RSRC2:TGID_Z_EN: 0
; COMPUTE_PGM_RSRC2:TIDIG_COMP_CNT: 0
; COMPUTE_PGM_RSRC3_GFX90A:ACCUM_OFFSET: 0
; COMPUTE_PGM_RSRC3_GFX90A:TG_SPLIT: 0
	.section	.text._ZN7rocprim17ROCPRIM_400000_NS6detail17trampoline_kernelINS0_14default_configENS1_35adjacent_difference_config_selectorILb0EiEEZNS1_24adjacent_difference_implIS3_Lb0ELb0EPiS7_N6thrust23THRUST_200600_302600_NS5minusIiEEEE10hipError_tPvRmT2_T3_mT4_P12ihipStream_tbEUlT_E_NS1_11comp_targetILNS1_3genE8ELNS1_11target_archE1030ELNS1_3gpuE2ELNS1_3repE0EEENS1_30default_config_static_selectorELNS0_4arch9wavefront6targetE1EEEvT1_,"axG",@progbits,_ZN7rocprim17ROCPRIM_400000_NS6detail17trampoline_kernelINS0_14default_configENS1_35adjacent_difference_config_selectorILb0EiEEZNS1_24adjacent_difference_implIS3_Lb0ELb0EPiS7_N6thrust23THRUST_200600_302600_NS5minusIiEEEE10hipError_tPvRmT2_T3_mT4_P12ihipStream_tbEUlT_E_NS1_11comp_targetILNS1_3genE8ELNS1_11target_archE1030ELNS1_3gpuE2ELNS1_3repE0EEENS1_30default_config_static_selectorELNS0_4arch9wavefront6targetE1EEEvT1_,comdat
	.protected	_ZN7rocprim17ROCPRIM_400000_NS6detail17trampoline_kernelINS0_14default_configENS1_35adjacent_difference_config_selectorILb0EiEEZNS1_24adjacent_difference_implIS3_Lb0ELb0EPiS7_N6thrust23THRUST_200600_302600_NS5minusIiEEEE10hipError_tPvRmT2_T3_mT4_P12ihipStream_tbEUlT_E_NS1_11comp_targetILNS1_3genE8ELNS1_11target_archE1030ELNS1_3gpuE2ELNS1_3repE0EEENS1_30default_config_static_selectorELNS0_4arch9wavefront6targetE1EEEvT1_ ; -- Begin function _ZN7rocprim17ROCPRIM_400000_NS6detail17trampoline_kernelINS0_14default_configENS1_35adjacent_difference_config_selectorILb0EiEEZNS1_24adjacent_difference_implIS3_Lb0ELb0EPiS7_N6thrust23THRUST_200600_302600_NS5minusIiEEEE10hipError_tPvRmT2_T3_mT4_P12ihipStream_tbEUlT_E_NS1_11comp_targetILNS1_3genE8ELNS1_11target_archE1030ELNS1_3gpuE2ELNS1_3repE0EEENS1_30default_config_static_selectorELNS0_4arch9wavefront6targetE1EEEvT1_
	.globl	_ZN7rocprim17ROCPRIM_400000_NS6detail17trampoline_kernelINS0_14default_configENS1_35adjacent_difference_config_selectorILb0EiEEZNS1_24adjacent_difference_implIS3_Lb0ELb0EPiS7_N6thrust23THRUST_200600_302600_NS5minusIiEEEE10hipError_tPvRmT2_T3_mT4_P12ihipStream_tbEUlT_E_NS1_11comp_targetILNS1_3genE8ELNS1_11target_archE1030ELNS1_3gpuE2ELNS1_3repE0EEENS1_30default_config_static_selectorELNS0_4arch9wavefront6targetE1EEEvT1_
	.p2align	8
	.type	_ZN7rocprim17ROCPRIM_400000_NS6detail17trampoline_kernelINS0_14default_configENS1_35adjacent_difference_config_selectorILb0EiEEZNS1_24adjacent_difference_implIS3_Lb0ELb0EPiS7_N6thrust23THRUST_200600_302600_NS5minusIiEEEE10hipError_tPvRmT2_T3_mT4_P12ihipStream_tbEUlT_E_NS1_11comp_targetILNS1_3genE8ELNS1_11target_archE1030ELNS1_3gpuE2ELNS1_3repE0EEENS1_30default_config_static_selectorELNS0_4arch9wavefront6targetE1EEEvT1_,@function
_ZN7rocprim17ROCPRIM_400000_NS6detail17trampoline_kernelINS0_14default_configENS1_35adjacent_difference_config_selectorILb0EiEEZNS1_24adjacent_difference_implIS3_Lb0ELb0EPiS7_N6thrust23THRUST_200600_302600_NS5minusIiEEEE10hipError_tPvRmT2_T3_mT4_P12ihipStream_tbEUlT_E_NS1_11comp_targetILNS1_3genE8ELNS1_11target_archE1030ELNS1_3gpuE2ELNS1_3repE0EEENS1_30default_config_static_selectorELNS0_4arch9wavefront6targetE1EEEvT1_: ; @_ZN7rocprim17ROCPRIM_400000_NS6detail17trampoline_kernelINS0_14default_configENS1_35adjacent_difference_config_selectorILb0EiEEZNS1_24adjacent_difference_implIS3_Lb0ELb0EPiS7_N6thrust23THRUST_200600_302600_NS5minusIiEEEE10hipError_tPvRmT2_T3_mT4_P12ihipStream_tbEUlT_E_NS1_11comp_targetILNS1_3genE8ELNS1_11target_archE1030ELNS1_3gpuE2ELNS1_3repE0EEENS1_30default_config_static_selectorELNS0_4arch9wavefront6targetE1EEEvT1_
; %bb.0:
	.section	.rodata,"a",@progbits
	.p2align	6, 0x0
	.amdhsa_kernel _ZN7rocprim17ROCPRIM_400000_NS6detail17trampoline_kernelINS0_14default_configENS1_35adjacent_difference_config_selectorILb0EiEEZNS1_24adjacent_difference_implIS3_Lb0ELb0EPiS7_N6thrust23THRUST_200600_302600_NS5minusIiEEEE10hipError_tPvRmT2_T3_mT4_P12ihipStream_tbEUlT_E_NS1_11comp_targetILNS1_3genE8ELNS1_11target_archE1030ELNS1_3gpuE2ELNS1_3repE0EEENS1_30default_config_static_selectorELNS0_4arch9wavefront6targetE1EEEvT1_
		.amdhsa_group_segment_fixed_size 0
		.amdhsa_private_segment_fixed_size 0
		.amdhsa_kernarg_size 56
		.amdhsa_user_sgpr_count 2
		.amdhsa_user_sgpr_dispatch_ptr 0
		.amdhsa_user_sgpr_queue_ptr 0
		.amdhsa_user_sgpr_kernarg_segment_ptr 1
		.amdhsa_user_sgpr_dispatch_id 0
		.amdhsa_user_sgpr_kernarg_preload_length 0
		.amdhsa_user_sgpr_kernarg_preload_offset 0
		.amdhsa_user_sgpr_private_segment_size 0
		.amdhsa_uses_dynamic_stack 0
		.amdhsa_enable_private_segment 0
		.amdhsa_system_sgpr_workgroup_id_x 1
		.amdhsa_system_sgpr_workgroup_id_y 0
		.amdhsa_system_sgpr_workgroup_id_z 0
		.amdhsa_system_sgpr_workgroup_info 0
		.amdhsa_system_vgpr_workitem_id 0
		.amdhsa_next_free_vgpr 1
		.amdhsa_next_free_sgpr 0
		.amdhsa_accum_offset 4
		.amdhsa_reserve_vcc 0
		.amdhsa_float_round_mode_32 0
		.amdhsa_float_round_mode_16_64 0
		.amdhsa_float_denorm_mode_32 3
		.amdhsa_float_denorm_mode_16_64 3
		.amdhsa_dx10_clamp 1
		.amdhsa_ieee_mode 1
		.amdhsa_fp16_overflow 0
		.amdhsa_tg_split 0
		.amdhsa_exception_fp_ieee_invalid_op 0
		.amdhsa_exception_fp_denorm_src 0
		.amdhsa_exception_fp_ieee_div_zero 0
		.amdhsa_exception_fp_ieee_overflow 0
		.amdhsa_exception_fp_ieee_underflow 0
		.amdhsa_exception_fp_ieee_inexact 0
		.amdhsa_exception_int_div_zero 0
	.end_amdhsa_kernel
	.section	.text._ZN7rocprim17ROCPRIM_400000_NS6detail17trampoline_kernelINS0_14default_configENS1_35adjacent_difference_config_selectorILb0EiEEZNS1_24adjacent_difference_implIS3_Lb0ELb0EPiS7_N6thrust23THRUST_200600_302600_NS5minusIiEEEE10hipError_tPvRmT2_T3_mT4_P12ihipStream_tbEUlT_E_NS1_11comp_targetILNS1_3genE8ELNS1_11target_archE1030ELNS1_3gpuE2ELNS1_3repE0EEENS1_30default_config_static_selectorELNS0_4arch9wavefront6targetE1EEEvT1_,"axG",@progbits,_ZN7rocprim17ROCPRIM_400000_NS6detail17trampoline_kernelINS0_14default_configENS1_35adjacent_difference_config_selectorILb0EiEEZNS1_24adjacent_difference_implIS3_Lb0ELb0EPiS7_N6thrust23THRUST_200600_302600_NS5minusIiEEEE10hipError_tPvRmT2_T3_mT4_P12ihipStream_tbEUlT_E_NS1_11comp_targetILNS1_3genE8ELNS1_11target_archE1030ELNS1_3gpuE2ELNS1_3repE0EEENS1_30default_config_static_selectorELNS0_4arch9wavefront6targetE1EEEvT1_,comdat
.Lfunc_end109:
	.size	_ZN7rocprim17ROCPRIM_400000_NS6detail17trampoline_kernelINS0_14default_configENS1_35adjacent_difference_config_selectorILb0EiEEZNS1_24adjacent_difference_implIS3_Lb0ELb0EPiS7_N6thrust23THRUST_200600_302600_NS5minusIiEEEE10hipError_tPvRmT2_T3_mT4_P12ihipStream_tbEUlT_E_NS1_11comp_targetILNS1_3genE8ELNS1_11target_archE1030ELNS1_3gpuE2ELNS1_3repE0EEENS1_30default_config_static_selectorELNS0_4arch9wavefront6targetE1EEEvT1_, .Lfunc_end109-_ZN7rocprim17ROCPRIM_400000_NS6detail17trampoline_kernelINS0_14default_configENS1_35adjacent_difference_config_selectorILb0EiEEZNS1_24adjacent_difference_implIS3_Lb0ELb0EPiS7_N6thrust23THRUST_200600_302600_NS5minusIiEEEE10hipError_tPvRmT2_T3_mT4_P12ihipStream_tbEUlT_E_NS1_11comp_targetILNS1_3genE8ELNS1_11target_archE1030ELNS1_3gpuE2ELNS1_3repE0EEENS1_30default_config_static_selectorELNS0_4arch9wavefront6targetE1EEEvT1_
                                        ; -- End function
	.section	.AMDGPU.csdata,"",@progbits
; Kernel info:
; codeLenInByte = 0
; NumSgprs: 6
; NumVgprs: 0
; NumAgprs: 0
; TotalNumVgprs: 0
; ScratchSize: 0
; MemoryBound: 0
; FloatMode: 240
; IeeeMode: 1
; LDSByteSize: 0 bytes/workgroup (compile time only)
; SGPRBlocks: 0
; VGPRBlocks: 0
; NumSGPRsForWavesPerEU: 6
; NumVGPRsForWavesPerEU: 1
; AccumOffset: 4
; Occupancy: 8
; WaveLimiterHint : 0
; COMPUTE_PGM_RSRC2:SCRATCH_EN: 0
; COMPUTE_PGM_RSRC2:USER_SGPR: 2
; COMPUTE_PGM_RSRC2:TRAP_HANDLER: 0
; COMPUTE_PGM_RSRC2:TGID_X_EN: 1
; COMPUTE_PGM_RSRC2:TGID_Y_EN: 0
; COMPUTE_PGM_RSRC2:TGID_Z_EN: 0
; COMPUTE_PGM_RSRC2:TIDIG_COMP_CNT: 0
; COMPUTE_PGM_RSRC3_GFX90A:ACCUM_OFFSET: 0
; COMPUTE_PGM_RSRC3_GFX90A:TG_SPLIT: 0
	.section	.text._ZN7rocprim17ROCPRIM_400000_NS6detail17trampoline_kernelINS0_14default_configENS1_25transform_config_selectorIiLb0EEEZNS1_14transform_implILb0ES3_S5_NS0_18transform_iteratorINS0_17counting_iteratorImlEEZNS1_24adjacent_difference_implIS3_Lb1ELb0EPiSB_N6thrust23THRUST_200600_302600_NS5minusIiEEEE10hipError_tPvRmT2_T3_mT4_P12ihipStream_tbEUlmE_iEESB_NS0_8identityIvEEEESG_SJ_SK_mSL_SN_bEUlT_E_NS1_11comp_targetILNS1_3genE0ELNS1_11target_archE4294967295ELNS1_3gpuE0ELNS1_3repE0EEENS1_30default_config_static_selectorELNS0_4arch9wavefront6targetE1EEEvT1_,"axG",@progbits,_ZN7rocprim17ROCPRIM_400000_NS6detail17trampoline_kernelINS0_14default_configENS1_25transform_config_selectorIiLb0EEEZNS1_14transform_implILb0ES3_S5_NS0_18transform_iteratorINS0_17counting_iteratorImlEEZNS1_24adjacent_difference_implIS3_Lb1ELb0EPiSB_N6thrust23THRUST_200600_302600_NS5minusIiEEEE10hipError_tPvRmT2_T3_mT4_P12ihipStream_tbEUlmE_iEESB_NS0_8identityIvEEEESG_SJ_SK_mSL_SN_bEUlT_E_NS1_11comp_targetILNS1_3genE0ELNS1_11target_archE4294967295ELNS1_3gpuE0ELNS1_3repE0EEENS1_30default_config_static_selectorELNS0_4arch9wavefront6targetE1EEEvT1_,comdat
	.protected	_ZN7rocprim17ROCPRIM_400000_NS6detail17trampoline_kernelINS0_14default_configENS1_25transform_config_selectorIiLb0EEEZNS1_14transform_implILb0ES3_S5_NS0_18transform_iteratorINS0_17counting_iteratorImlEEZNS1_24adjacent_difference_implIS3_Lb1ELb0EPiSB_N6thrust23THRUST_200600_302600_NS5minusIiEEEE10hipError_tPvRmT2_T3_mT4_P12ihipStream_tbEUlmE_iEESB_NS0_8identityIvEEEESG_SJ_SK_mSL_SN_bEUlT_E_NS1_11comp_targetILNS1_3genE0ELNS1_11target_archE4294967295ELNS1_3gpuE0ELNS1_3repE0EEENS1_30default_config_static_selectorELNS0_4arch9wavefront6targetE1EEEvT1_ ; -- Begin function _ZN7rocprim17ROCPRIM_400000_NS6detail17trampoline_kernelINS0_14default_configENS1_25transform_config_selectorIiLb0EEEZNS1_14transform_implILb0ES3_S5_NS0_18transform_iteratorINS0_17counting_iteratorImlEEZNS1_24adjacent_difference_implIS3_Lb1ELb0EPiSB_N6thrust23THRUST_200600_302600_NS5minusIiEEEE10hipError_tPvRmT2_T3_mT4_P12ihipStream_tbEUlmE_iEESB_NS0_8identityIvEEEESG_SJ_SK_mSL_SN_bEUlT_E_NS1_11comp_targetILNS1_3genE0ELNS1_11target_archE4294967295ELNS1_3gpuE0ELNS1_3repE0EEENS1_30default_config_static_selectorELNS0_4arch9wavefront6targetE1EEEvT1_
	.globl	_ZN7rocprim17ROCPRIM_400000_NS6detail17trampoline_kernelINS0_14default_configENS1_25transform_config_selectorIiLb0EEEZNS1_14transform_implILb0ES3_S5_NS0_18transform_iteratorINS0_17counting_iteratorImlEEZNS1_24adjacent_difference_implIS3_Lb1ELb0EPiSB_N6thrust23THRUST_200600_302600_NS5minusIiEEEE10hipError_tPvRmT2_T3_mT4_P12ihipStream_tbEUlmE_iEESB_NS0_8identityIvEEEESG_SJ_SK_mSL_SN_bEUlT_E_NS1_11comp_targetILNS1_3genE0ELNS1_11target_archE4294967295ELNS1_3gpuE0ELNS1_3repE0EEENS1_30default_config_static_selectorELNS0_4arch9wavefront6targetE1EEEvT1_
	.p2align	8
	.type	_ZN7rocprim17ROCPRIM_400000_NS6detail17trampoline_kernelINS0_14default_configENS1_25transform_config_selectorIiLb0EEEZNS1_14transform_implILb0ES3_S5_NS0_18transform_iteratorINS0_17counting_iteratorImlEEZNS1_24adjacent_difference_implIS3_Lb1ELb0EPiSB_N6thrust23THRUST_200600_302600_NS5minusIiEEEE10hipError_tPvRmT2_T3_mT4_P12ihipStream_tbEUlmE_iEESB_NS0_8identityIvEEEESG_SJ_SK_mSL_SN_bEUlT_E_NS1_11comp_targetILNS1_3genE0ELNS1_11target_archE4294967295ELNS1_3gpuE0ELNS1_3repE0EEENS1_30default_config_static_selectorELNS0_4arch9wavefront6targetE1EEEvT1_,@function
_ZN7rocprim17ROCPRIM_400000_NS6detail17trampoline_kernelINS0_14default_configENS1_25transform_config_selectorIiLb0EEEZNS1_14transform_implILb0ES3_S5_NS0_18transform_iteratorINS0_17counting_iteratorImlEEZNS1_24adjacent_difference_implIS3_Lb1ELb0EPiSB_N6thrust23THRUST_200600_302600_NS5minusIiEEEE10hipError_tPvRmT2_T3_mT4_P12ihipStream_tbEUlmE_iEESB_NS0_8identityIvEEEESG_SJ_SK_mSL_SN_bEUlT_E_NS1_11comp_targetILNS1_3genE0ELNS1_11target_archE4294967295ELNS1_3gpuE0ELNS1_3repE0EEENS1_30default_config_static_selectorELNS0_4arch9wavefront6targetE1EEEvT1_: ; @_ZN7rocprim17ROCPRIM_400000_NS6detail17trampoline_kernelINS0_14default_configENS1_25transform_config_selectorIiLb0EEEZNS1_14transform_implILb0ES3_S5_NS0_18transform_iteratorINS0_17counting_iteratorImlEEZNS1_24adjacent_difference_implIS3_Lb1ELb0EPiSB_N6thrust23THRUST_200600_302600_NS5minusIiEEEE10hipError_tPvRmT2_T3_mT4_P12ihipStream_tbEUlmE_iEESB_NS0_8identityIvEEEESG_SJ_SK_mSL_SN_bEUlT_E_NS1_11comp_targetILNS1_3genE0ELNS1_11target_archE4294967295ELNS1_3gpuE0ELNS1_3repE0EEENS1_30default_config_static_selectorELNS0_4arch9wavefront6targetE1EEEvT1_
; %bb.0:
	.section	.rodata,"a",@progbits
	.p2align	6, 0x0
	.amdhsa_kernel _ZN7rocprim17ROCPRIM_400000_NS6detail17trampoline_kernelINS0_14default_configENS1_25transform_config_selectorIiLb0EEEZNS1_14transform_implILb0ES3_S5_NS0_18transform_iteratorINS0_17counting_iteratorImlEEZNS1_24adjacent_difference_implIS3_Lb1ELb0EPiSB_N6thrust23THRUST_200600_302600_NS5minusIiEEEE10hipError_tPvRmT2_T3_mT4_P12ihipStream_tbEUlmE_iEESB_NS0_8identityIvEEEESG_SJ_SK_mSL_SN_bEUlT_E_NS1_11comp_targetILNS1_3genE0ELNS1_11target_archE4294967295ELNS1_3gpuE0ELNS1_3repE0EEENS1_30default_config_static_selectorELNS0_4arch9wavefront6targetE1EEEvT1_
		.amdhsa_group_segment_fixed_size 0
		.amdhsa_private_segment_fixed_size 0
		.amdhsa_kernarg_size 56
		.amdhsa_user_sgpr_count 2
		.amdhsa_user_sgpr_dispatch_ptr 0
		.amdhsa_user_sgpr_queue_ptr 0
		.amdhsa_user_sgpr_kernarg_segment_ptr 1
		.amdhsa_user_sgpr_dispatch_id 0
		.amdhsa_user_sgpr_kernarg_preload_length 0
		.amdhsa_user_sgpr_kernarg_preload_offset 0
		.amdhsa_user_sgpr_private_segment_size 0
		.amdhsa_uses_dynamic_stack 0
		.amdhsa_enable_private_segment 0
		.amdhsa_system_sgpr_workgroup_id_x 1
		.amdhsa_system_sgpr_workgroup_id_y 0
		.amdhsa_system_sgpr_workgroup_id_z 0
		.amdhsa_system_sgpr_workgroup_info 0
		.amdhsa_system_vgpr_workitem_id 0
		.amdhsa_next_free_vgpr 1
		.amdhsa_next_free_sgpr 0
		.amdhsa_accum_offset 4
		.amdhsa_reserve_vcc 0
		.amdhsa_float_round_mode_32 0
		.amdhsa_float_round_mode_16_64 0
		.amdhsa_float_denorm_mode_32 3
		.amdhsa_float_denorm_mode_16_64 3
		.amdhsa_dx10_clamp 1
		.amdhsa_ieee_mode 1
		.amdhsa_fp16_overflow 0
		.amdhsa_tg_split 0
		.amdhsa_exception_fp_ieee_invalid_op 0
		.amdhsa_exception_fp_denorm_src 0
		.amdhsa_exception_fp_ieee_div_zero 0
		.amdhsa_exception_fp_ieee_overflow 0
		.amdhsa_exception_fp_ieee_underflow 0
		.amdhsa_exception_fp_ieee_inexact 0
		.amdhsa_exception_int_div_zero 0
	.end_amdhsa_kernel
	.section	.text._ZN7rocprim17ROCPRIM_400000_NS6detail17trampoline_kernelINS0_14default_configENS1_25transform_config_selectorIiLb0EEEZNS1_14transform_implILb0ES3_S5_NS0_18transform_iteratorINS0_17counting_iteratorImlEEZNS1_24adjacent_difference_implIS3_Lb1ELb0EPiSB_N6thrust23THRUST_200600_302600_NS5minusIiEEEE10hipError_tPvRmT2_T3_mT4_P12ihipStream_tbEUlmE_iEESB_NS0_8identityIvEEEESG_SJ_SK_mSL_SN_bEUlT_E_NS1_11comp_targetILNS1_3genE0ELNS1_11target_archE4294967295ELNS1_3gpuE0ELNS1_3repE0EEENS1_30default_config_static_selectorELNS0_4arch9wavefront6targetE1EEEvT1_,"axG",@progbits,_ZN7rocprim17ROCPRIM_400000_NS6detail17trampoline_kernelINS0_14default_configENS1_25transform_config_selectorIiLb0EEEZNS1_14transform_implILb0ES3_S5_NS0_18transform_iteratorINS0_17counting_iteratorImlEEZNS1_24adjacent_difference_implIS3_Lb1ELb0EPiSB_N6thrust23THRUST_200600_302600_NS5minusIiEEEE10hipError_tPvRmT2_T3_mT4_P12ihipStream_tbEUlmE_iEESB_NS0_8identityIvEEEESG_SJ_SK_mSL_SN_bEUlT_E_NS1_11comp_targetILNS1_3genE0ELNS1_11target_archE4294967295ELNS1_3gpuE0ELNS1_3repE0EEENS1_30default_config_static_selectorELNS0_4arch9wavefront6targetE1EEEvT1_,comdat
.Lfunc_end110:
	.size	_ZN7rocprim17ROCPRIM_400000_NS6detail17trampoline_kernelINS0_14default_configENS1_25transform_config_selectorIiLb0EEEZNS1_14transform_implILb0ES3_S5_NS0_18transform_iteratorINS0_17counting_iteratorImlEEZNS1_24adjacent_difference_implIS3_Lb1ELb0EPiSB_N6thrust23THRUST_200600_302600_NS5minusIiEEEE10hipError_tPvRmT2_T3_mT4_P12ihipStream_tbEUlmE_iEESB_NS0_8identityIvEEEESG_SJ_SK_mSL_SN_bEUlT_E_NS1_11comp_targetILNS1_3genE0ELNS1_11target_archE4294967295ELNS1_3gpuE0ELNS1_3repE0EEENS1_30default_config_static_selectorELNS0_4arch9wavefront6targetE1EEEvT1_, .Lfunc_end110-_ZN7rocprim17ROCPRIM_400000_NS6detail17trampoline_kernelINS0_14default_configENS1_25transform_config_selectorIiLb0EEEZNS1_14transform_implILb0ES3_S5_NS0_18transform_iteratorINS0_17counting_iteratorImlEEZNS1_24adjacent_difference_implIS3_Lb1ELb0EPiSB_N6thrust23THRUST_200600_302600_NS5minusIiEEEE10hipError_tPvRmT2_T3_mT4_P12ihipStream_tbEUlmE_iEESB_NS0_8identityIvEEEESG_SJ_SK_mSL_SN_bEUlT_E_NS1_11comp_targetILNS1_3genE0ELNS1_11target_archE4294967295ELNS1_3gpuE0ELNS1_3repE0EEENS1_30default_config_static_selectorELNS0_4arch9wavefront6targetE1EEEvT1_
                                        ; -- End function
	.section	.AMDGPU.csdata,"",@progbits
; Kernel info:
; codeLenInByte = 0
; NumSgprs: 6
; NumVgprs: 0
; NumAgprs: 0
; TotalNumVgprs: 0
; ScratchSize: 0
; MemoryBound: 0
; FloatMode: 240
; IeeeMode: 1
; LDSByteSize: 0 bytes/workgroup (compile time only)
; SGPRBlocks: 0
; VGPRBlocks: 0
; NumSGPRsForWavesPerEU: 6
; NumVGPRsForWavesPerEU: 1
; AccumOffset: 4
; Occupancy: 8
; WaveLimiterHint : 0
; COMPUTE_PGM_RSRC2:SCRATCH_EN: 0
; COMPUTE_PGM_RSRC2:USER_SGPR: 2
; COMPUTE_PGM_RSRC2:TRAP_HANDLER: 0
; COMPUTE_PGM_RSRC2:TGID_X_EN: 1
; COMPUTE_PGM_RSRC2:TGID_Y_EN: 0
; COMPUTE_PGM_RSRC2:TGID_Z_EN: 0
; COMPUTE_PGM_RSRC2:TIDIG_COMP_CNT: 0
; COMPUTE_PGM_RSRC3_GFX90A:ACCUM_OFFSET: 0
; COMPUTE_PGM_RSRC3_GFX90A:TG_SPLIT: 0
	.section	.text._ZN7rocprim17ROCPRIM_400000_NS6detail17trampoline_kernelINS0_14default_configENS1_25transform_config_selectorIiLb0EEEZNS1_14transform_implILb0ES3_S5_NS0_18transform_iteratorINS0_17counting_iteratorImlEEZNS1_24adjacent_difference_implIS3_Lb1ELb0EPiSB_N6thrust23THRUST_200600_302600_NS5minusIiEEEE10hipError_tPvRmT2_T3_mT4_P12ihipStream_tbEUlmE_iEESB_NS0_8identityIvEEEESG_SJ_SK_mSL_SN_bEUlT_E_NS1_11comp_targetILNS1_3genE5ELNS1_11target_archE942ELNS1_3gpuE9ELNS1_3repE0EEENS1_30default_config_static_selectorELNS0_4arch9wavefront6targetE1EEEvT1_,"axG",@progbits,_ZN7rocprim17ROCPRIM_400000_NS6detail17trampoline_kernelINS0_14default_configENS1_25transform_config_selectorIiLb0EEEZNS1_14transform_implILb0ES3_S5_NS0_18transform_iteratorINS0_17counting_iteratorImlEEZNS1_24adjacent_difference_implIS3_Lb1ELb0EPiSB_N6thrust23THRUST_200600_302600_NS5minusIiEEEE10hipError_tPvRmT2_T3_mT4_P12ihipStream_tbEUlmE_iEESB_NS0_8identityIvEEEESG_SJ_SK_mSL_SN_bEUlT_E_NS1_11comp_targetILNS1_3genE5ELNS1_11target_archE942ELNS1_3gpuE9ELNS1_3repE0EEENS1_30default_config_static_selectorELNS0_4arch9wavefront6targetE1EEEvT1_,comdat
	.protected	_ZN7rocprim17ROCPRIM_400000_NS6detail17trampoline_kernelINS0_14default_configENS1_25transform_config_selectorIiLb0EEEZNS1_14transform_implILb0ES3_S5_NS0_18transform_iteratorINS0_17counting_iteratorImlEEZNS1_24adjacent_difference_implIS3_Lb1ELb0EPiSB_N6thrust23THRUST_200600_302600_NS5minusIiEEEE10hipError_tPvRmT2_T3_mT4_P12ihipStream_tbEUlmE_iEESB_NS0_8identityIvEEEESG_SJ_SK_mSL_SN_bEUlT_E_NS1_11comp_targetILNS1_3genE5ELNS1_11target_archE942ELNS1_3gpuE9ELNS1_3repE0EEENS1_30default_config_static_selectorELNS0_4arch9wavefront6targetE1EEEvT1_ ; -- Begin function _ZN7rocprim17ROCPRIM_400000_NS6detail17trampoline_kernelINS0_14default_configENS1_25transform_config_selectorIiLb0EEEZNS1_14transform_implILb0ES3_S5_NS0_18transform_iteratorINS0_17counting_iteratorImlEEZNS1_24adjacent_difference_implIS3_Lb1ELb0EPiSB_N6thrust23THRUST_200600_302600_NS5minusIiEEEE10hipError_tPvRmT2_T3_mT4_P12ihipStream_tbEUlmE_iEESB_NS0_8identityIvEEEESG_SJ_SK_mSL_SN_bEUlT_E_NS1_11comp_targetILNS1_3genE5ELNS1_11target_archE942ELNS1_3gpuE9ELNS1_3repE0EEENS1_30default_config_static_selectorELNS0_4arch9wavefront6targetE1EEEvT1_
	.globl	_ZN7rocprim17ROCPRIM_400000_NS6detail17trampoline_kernelINS0_14default_configENS1_25transform_config_selectorIiLb0EEEZNS1_14transform_implILb0ES3_S5_NS0_18transform_iteratorINS0_17counting_iteratorImlEEZNS1_24adjacent_difference_implIS3_Lb1ELb0EPiSB_N6thrust23THRUST_200600_302600_NS5minusIiEEEE10hipError_tPvRmT2_T3_mT4_P12ihipStream_tbEUlmE_iEESB_NS0_8identityIvEEEESG_SJ_SK_mSL_SN_bEUlT_E_NS1_11comp_targetILNS1_3genE5ELNS1_11target_archE942ELNS1_3gpuE9ELNS1_3repE0EEENS1_30default_config_static_selectorELNS0_4arch9wavefront6targetE1EEEvT1_
	.p2align	8
	.type	_ZN7rocprim17ROCPRIM_400000_NS6detail17trampoline_kernelINS0_14default_configENS1_25transform_config_selectorIiLb0EEEZNS1_14transform_implILb0ES3_S5_NS0_18transform_iteratorINS0_17counting_iteratorImlEEZNS1_24adjacent_difference_implIS3_Lb1ELb0EPiSB_N6thrust23THRUST_200600_302600_NS5minusIiEEEE10hipError_tPvRmT2_T3_mT4_P12ihipStream_tbEUlmE_iEESB_NS0_8identityIvEEEESG_SJ_SK_mSL_SN_bEUlT_E_NS1_11comp_targetILNS1_3genE5ELNS1_11target_archE942ELNS1_3gpuE9ELNS1_3repE0EEENS1_30default_config_static_selectorELNS0_4arch9wavefront6targetE1EEEvT1_,@function
_ZN7rocprim17ROCPRIM_400000_NS6detail17trampoline_kernelINS0_14default_configENS1_25transform_config_selectorIiLb0EEEZNS1_14transform_implILb0ES3_S5_NS0_18transform_iteratorINS0_17counting_iteratorImlEEZNS1_24adjacent_difference_implIS3_Lb1ELb0EPiSB_N6thrust23THRUST_200600_302600_NS5minusIiEEEE10hipError_tPvRmT2_T3_mT4_P12ihipStream_tbEUlmE_iEESB_NS0_8identityIvEEEESG_SJ_SK_mSL_SN_bEUlT_E_NS1_11comp_targetILNS1_3genE5ELNS1_11target_archE942ELNS1_3gpuE9ELNS1_3repE0EEENS1_30default_config_static_selectorELNS0_4arch9wavefront6targetE1EEEvT1_: ; @_ZN7rocprim17ROCPRIM_400000_NS6detail17trampoline_kernelINS0_14default_configENS1_25transform_config_selectorIiLb0EEEZNS1_14transform_implILb0ES3_S5_NS0_18transform_iteratorINS0_17counting_iteratorImlEEZNS1_24adjacent_difference_implIS3_Lb1ELb0EPiSB_N6thrust23THRUST_200600_302600_NS5minusIiEEEE10hipError_tPvRmT2_T3_mT4_P12ihipStream_tbEUlmE_iEESB_NS0_8identityIvEEEESG_SJ_SK_mSL_SN_bEUlT_E_NS1_11comp_targetILNS1_3genE5ELNS1_11target_archE942ELNS1_3gpuE9ELNS1_3repE0EEENS1_30default_config_static_selectorELNS0_4arch9wavefront6targetE1EEEvT1_
; %bb.0:
	s_load_dwordx4 s[8:11], s[0:1], 0x18
	s_load_dwordx2 s[14:15], s[0:1], 0x28
	s_load_dwordx4 s[4:7], s[0:1], 0x0
	s_load_dword s12, s[0:1], 0x10
	s_load_dword s3, s[0:1], 0x38
	s_waitcnt lgkmcnt(0)
	s_lshl_b64 s[0:1], s[8:9], 2
	s_add_u32 s18, s14, s0
	s_addc_u32 s19, s15, s1
	s_lshl_b32 s14, s2, 11
	s_add_i32 s3, s3, -1
	s_add_u32 s0, s4, s14
	s_addc_u32 s1, s5, 0
	s_add_u32 s16, s0, s8
	s_addc_u32 s17, s1, s9
	s_mov_b32 s15, 0
	s_cmp_lg_u32 s2, s3
	v_lshlrev_b32_e32 v6, 2, v0
	s_cbranch_scc0 .LBB111_2
; %bb.1:
	v_mov_b32_e32 v1, 0
	v_lshl_add_u64 v[2:3], s[16:17], 0, v[0:1]
	v_mad_u64_u32 v[4:5], s[0:1], v2, s12, 0
	v_mov_b32_e32 v2, v5
	v_mad_u64_u32 v[2:3], s[0:1], v3, s12, v[2:3]
	s_mov_b32 s13, s15
	v_mov_b32_e32 v5, v2
	v_lshl_add_u64 v[2:3], v[4:5], 2, s[6:7]
	s_lshl_b64 s[0:1], s[12:13], 11
	v_lshl_add_u64 v[4:5], v[2:3], 0, s[0:1]
	v_lshl_add_u64 v[8:9], v[4:5], 0, s[0:1]
	global_load_dword v10, v[2:3], off
	global_load_dword v11, v[4:5], off
	;; [unrolled: 1-line block ×3, first 2 shown]
	v_lshl_add_u64 v[2:3], v[8:9], 0, s[0:1]
	global_load_dword v2, v[2:3], off
	s_lshl_b64 s[2:3], s[14:15], 2
	s_add_u32 s2, s18, s2
	v_mov_b32_e32 v7, v1
	s_addc_u32 s3, s19, s3
	v_lshl_add_u64 v[8:9], s[2:3], 0, v[6:7]
	v_add_co_u32_e32 v4, vcc, 0x1000, v8
	s_nop 1
	v_addc_co_u32_e32 v5, vcc, 0, v9, vcc
	s_mov_b64 s[8:9], -1
	s_waitcnt vmcnt(3)
	global_store_dword v6, v10, s[2:3]
	s_waitcnt vmcnt(3)
	global_store_dword v6, v11, s[2:3] offset:2048
	s_waitcnt vmcnt(3)
	global_store_dword v[4:5], v12, off
	s_cbranch_execz .LBB111_3
	s_branch .LBB111_17
.LBB111_2:
	s_mov_b64 s[8:9], 0
                                        ; implicit-def: $vgpr2
                                        ; implicit-def: $vgpr8_vgpr9
.LBB111_3:
	s_sub_i32 s10, s10, s14
	v_cmp_gt_u32_e32 vcc, s10, v0
                                        ; implicit-def: $vgpr2_vgpr3_vgpr4_vgpr5
	s_and_saveexec_b64 s[0:1], vcc
	s_cbranch_execz .LBB111_5
; %bb.4:
	v_mov_b32_e32 v1, 0
	s_waitcnt vmcnt(3)
	v_lshl_add_u64 v[2:3], s[16:17], 0, v[0:1]
	v_mad_u64_u32 v[4:5], s[2:3], v2, s12, 0
	v_mov_b32_e32 v2, v5
	v_mad_u64_u32 v[2:3], s[2:3], v3, s12, v[2:3]
	v_mov_b32_e32 v5, v2
	v_lshl_add_u64 v[2:3], v[4:5], 2, s[6:7]
	global_load_dword v2, v[2:3], off
.LBB111_5:
	s_or_b64 exec, exec, s[0:1]
	v_or_b32_e32 v8, 0x200, v0
	v_cmp_gt_u32_e64 s[0:1], s10, v8
	s_and_saveexec_b64 s[2:3], s[0:1]
	s_cbranch_execz .LBB111_7
; %bb.6:
	v_mov_b32_e32 v9, 0
	v_lshl_add_u64 v[8:9], s[16:17], 0, v[8:9]
	v_mad_u64_u32 v[10:11], s[4:5], v8, s12, 0
	v_mov_b32_e32 v8, v11
	v_mad_u64_u32 v[8:9], s[4:5], v9, s12, v[8:9]
	v_mov_b32_e32 v11, v8
	v_lshl_add_u64 v[8:9], v[10:11], 2, s[6:7]
	global_load_dword v3, v[8:9], off
.LBB111_7:
	s_or_b64 exec, exec, s[2:3]
	v_or_b32_e32 v8, 0x400, v0
	v_cmp_gt_u32_e64 s[2:3], s10, v8
	s_and_saveexec_b64 s[4:5], s[2:3]
	s_cbranch_execz .LBB111_9
; %bb.8:
	v_mov_b32_e32 v9, 0
	v_lshl_add_u64 v[8:9], s[16:17], 0, v[8:9]
	v_mad_u64_u32 v[10:11], s[20:21], v8, s12, 0
	v_mov_b32_e32 v4, v11
	v_mad_u64_u32 v[8:9], s[20:21], v9, s12, v[4:5]
	v_mov_b32_e32 v11, v8
	v_lshl_add_u64 v[8:9], v[10:11], 2, s[6:7]
	global_load_dword v4, v[8:9], off
.LBB111_9:
	;; [unrolled: 15-line block ×3, first 2 shown]
	s_or_b64 exec, exec, s[10:11]
	s_lshl_b64 s[6:7], s[14:15], 2
	s_add_u32 s6, s18, s6
	s_addc_u32 s7, s19, s7
	v_mov_b32_e32 v7, 0
	v_lshl_add_u64 v[8:9], s[6:7], 0, v[6:7]
	s_and_saveexec_b64 s[6:7], vcc
	s_cbranch_execnz .LBB111_20
; %bb.12:
	s_or_b64 exec, exec, s[6:7]
	s_and_saveexec_b64 s[6:7], s[0:1]
	s_cbranch_execnz .LBB111_21
.LBB111_13:
	s_or_b64 exec, exec, s[6:7]
	s_and_saveexec_b64 s[0:1], s[2:3]
	s_cbranch_execnz .LBB111_22
.LBB111_14:
	s_or_b64 exec, exec, s[0:1]
                                        ; implicit-def: $vgpr2
	s_and_saveexec_b64 s[0:1], s[4:5]
	s_cbranch_execz .LBB111_16
.LBB111_15:
	s_waitcnt vmcnt(0)
	v_cndmask_b32_e64 v2, v5, v5, s[4:5]
	s_or_b64 s[8:9], s[8:9], exec
.LBB111_16:
	s_or_b64 exec, exec, s[0:1]
.LBB111_17:
	s_and_saveexec_b64 s[0:1], s[8:9]
	s_cbranch_execnz .LBB111_19
; %bb.18:
	s_endpgm
.LBB111_19:
	v_add_co_u32_e32 v0, vcc, 0x1000, v8
	s_nop 1
	v_addc_co_u32_e32 v1, vcc, 0, v9, vcc
	s_waitcnt vmcnt(0)
	global_store_dword v[0:1], v2, off offset:2048
	s_endpgm
.LBB111_20:
	s_waitcnt vmcnt(0)
	global_store_dword v[8:9], v2, off
	s_or_b64 exec, exec, s[6:7]
	s_and_saveexec_b64 s[6:7], s[0:1]
	s_cbranch_execz .LBB111_13
.LBB111_21:
	s_waitcnt vmcnt(0)
	global_store_dword v[8:9], v3, off offset:2048
	s_or_b64 exec, exec, s[6:7]
	s_and_saveexec_b64 s[0:1], s[2:3]
	s_cbranch_execz .LBB111_14
.LBB111_22:
	v_add_co_u32_e32 v0, vcc, 0x1000, v8
	s_waitcnt vmcnt(0)
	v_cndmask_b32_e64 v2, v4, v4, s[2:3]
	v_addc_co_u32_e32 v1, vcc, 0, v9, vcc
	global_store_dword v[0:1], v2, off
	s_or_b64 exec, exec, s[0:1]
                                        ; implicit-def: $vgpr2
	s_and_saveexec_b64 s[0:1], s[4:5]
	s_cbranch_execnz .LBB111_15
	s_branch .LBB111_16
	.section	.rodata,"a",@progbits
	.p2align	6, 0x0
	.amdhsa_kernel _ZN7rocprim17ROCPRIM_400000_NS6detail17trampoline_kernelINS0_14default_configENS1_25transform_config_selectorIiLb0EEEZNS1_14transform_implILb0ES3_S5_NS0_18transform_iteratorINS0_17counting_iteratorImlEEZNS1_24adjacent_difference_implIS3_Lb1ELb0EPiSB_N6thrust23THRUST_200600_302600_NS5minusIiEEEE10hipError_tPvRmT2_T3_mT4_P12ihipStream_tbEUlmE_iEESB_NS0_8identityIvEEEESG_SJ_SK_mSL_SN_bEUlT_E_NS1_11comp_targetILNS1_3genE5ELNS1_11target_archE942ELNS1_3gpuE9ELNS1_3repE0EEENS1_30default_config_static_selectorELNS0_4arch9wavefront6targetE1EEEvT1_
		.amdhsa_group_segment_fixed_size 0
		.amdhsa_private_segment_fixed_size 0
		.amdhsa_kernarg_size 312
		.amdhsa_user_sgpr_count 2
		.amdhsa_user_sgpr_dispatch_ptr 0
		.amdhsa_user_sgpr_queue_ptr 0
		.amdhsa_user_sgpr_kernarg_segment_ptr 1
		.amdhsa_user_sgpr_dispatch_id 0
		.amdhsa_user_sgpr_kernarg_preload_length 0
		.amdhsa_user_sgpr_kernarg_preload_offset 0
		.amdhsa_user_sgpr_private_segment_size 0
		.amdhsa_uses_dynamic_stack 0
		.amdhsa_enable_private_segment 0
		.amdhsa_system_sgpr_workgroup_id_x 1
		.amdhsa_system_sgpr_workgroup_id_y 0
		.amdhsa_system_sgpr_workgroup_id_z 0
		.amdhsa_system_sgpr_workgroup_info 0
		.amdhsa_system_vgpr_workitem_id 0
		.amdhsa_next_free_vgpr 13
		.amdhsa_next_free_sgpr 22
		.amdhsa_accum_offset 16
		.amdhsa_reserve_vcc 1
		.amdhsa_float_round_mode_32 0
		.amdhsa_float_round_mode_16_64 0
		.amdhsa_float_denorm_mode_32 3
		.amdhsa_float_denorm_mode_16_64 3
		.amdhsa_dx10_clamp 1
		.amdhsa_ieee_mode 1
		.amdhsa_fp16_overflow 0
		.amdhsa_tg_split 0
		.amdhsa_exception_fp_ieee_invalid_op 0
		.amdhsa_exception_fp_denorm_src 0
		.amdhsa_exception_fp_ieee_div_zero 0
		.amdhsa_exception_fp_ieee_overflow 0
		.amdhsa_exception_fp_ieee_underflow 0
		.amdhsa_exception_fp_ieee_inexact 0
		.amdhsa_exception_int_div_zero 0
	.end_amdhsa_kernel
	.section	.text._ZN7rocprim17ROCPRIM_400000_NS6detail17trampoline_kernelINS0_14default_configENS1_25transform_config_selectorIiLb0EEEZNS1_14transform_implILb0ES3_S5_NS0_18transform_iteratorINS0_17counting_iteratorImlEEZNS1_24adjacent_difference_implIS3_Lb1ELb0EPiSB_N6thrust23THRUST_200600_302600_NS5minusIiEEEE10hipError_tPvRmT2_T3_mT4_P12ihipStream_tbEUlmE_iEESB_NS0_8identityIvEEEESG_SJ_SK_mSL_SN_bEUlT_E_NS1_11comp_targetILNS1_3genE5ELNS1_11target_archE942ELNS1_3gpuE9ELNS1_3repE0EEENS1_30default_config_static_selectorELNS0_4arch9wavefront6targetE1EEEvT1_,"axG",@progbits,_ZN7rocprim17ROCPRIM_400000_NS6detail17trampoline_kernelINS0_14default_configENS1_25transform_config_selectorIiLb0EEEZNS1_14transform_implILb0ES3_S5_NS0_18transform_iteratorINS0_17counting_iteratorImlEEZNS1_24adjacent_difference_implIS3_Lb1ELb0EPiSB_N6thrust23THRUST_200600_302600_NS5minusIiEEEE10hipError_tPvRmT2_T3_mT4_P12ihipStream_tbEUlmE_iEESB_NS0_8identityIvEEEESG_SJ_SK_mSL_SN_bEUlT_E_NS1_11comp_targetILNS1_3genE5ELNS1_11target_archE942ELNS1_3gpuE9ELNS1_3repE0EEENS1_30default_config_static_selectorELNS0_4arch9wavefront6targetE1EEEvT1_,comdat
.Lfunc_end111:
	.size	_ZN7rocprim17ROCPRIM_400000_NS6detail17trampoline_kernelINS0_14default_configENS1_25transform_config_selectorIiLb0EEEZNS1_14transform_implILb0ES3_S5_NS0_18transform_iteratorINS0_17counting_iteratorImlEEZNS1_24adjacent_difference_implIS3_Lb1ELb0EPiSB_N6thrust23THRUST_200600_302600_NS5minusIiEEEE10hipError_tPvRmT2_T3_mT4_P12ihipStream_tbEUlmE_iEESB_NS0_8identityIvEEEESG_SJ_SK_mSL_SN_bEUlT_E_NS1_11comp_targetILNS1_3genE5ELNS1_11target_archE942ELNS1_3gpuE9ELNS1_3repE0EEENS1_30default_config_static_selectorELNS0_4arch9wavefront6targetE1EEEvT1_, .Lfunc_end111-_ZN7rocprim17ROCPRIM_400000_NS6detail17trampoline_kernelINS0_14default_configENS1_25transform_config_selectorIiLb0EEEZNS1_14transform_implILb0ES3_S5_NS0_18transform_iteratorINS0_17counting_iteratorImlEEZNS1_24adjacent_difference_implIS3_Lb1ELb0EPiSB_N6thrust23THRUST_200600_302600_NS5minusIiEEEE10hipError_tPvRmT2_T3_mT4_P12ihipStream_tbEUlmE_iEESB_NS0_8identityIvEEEESG_SJ_SK_mSL_SN_bEUlT_E_NS1_11comp_targetILNS1_3genE5ELNS1_11target_archE942ELNS1_3gpuE9ELNS1_3repE0EEENS1_30default_config_static_selectorELNS0_4arch9wavefront6targetE1EEEvT1_
                                        ; -- End function
	.section	.AMDGPU.csdata,"",@progbits
; Kernel info:
; codeLenInByte = 840
; NumSgprs: 28
; NumVgprs: 13
; NumAgprs: 0
; TotalNumVgprs: 13
; ScratchSize: 0
; MemoryBound: 0
; FloatMode: 240
; IeeeMode: 1
; LDSByteSize: 0 bytes/workgroup (compile time only)
; SGPRBlocks: 3
; VGPRBlocks: 1
; NumSGPRsForWavesPerEU: 28
; NumVGPRsForWavesPerEU: 13
; AccumOffset: 16
; Occupancy: 8
; WaveLimiterHint : 1
; COMPUTE_PGM_RSRC2:SCRATCH_EN: 0
; COMPUTE_PGM_RSRC2:USER_SGPR: 2
; COMPUTE_PGM_RSRC2:TRAP_HANDLER: 0
; COMPUTE_PGM_RSRC2:TGID_X_EN: 1
; COMPUTE_PGM_RSRC2:TGID_Y_EN: 0
; COMPUTE_PGM_RSRC2:TGID_Z_EN: 0
; COMPUTE_PGM_RSRC2:TIDIG_COMP_CNT: 0
; COMPUTE_PGM_RSRC3_GFX90A:ACCUM_OFFSET: 3
; COMPUTE_PGM_RSRC3_GFX90A:TG_SPLIT: 0
	.section	.text._ZN7rocprim17ROCPRIM_400000_NS6detail17trampoline_kernelINS0_14default_configENS1_25transform_config_selectorIiLb0EEEZNS1_14transform_implILb0ES3_S5_NS0_18transform_iteratorINS0_17counting_iteratorImlEEZNS1_24adjacent_difference_implIS3_Lb1ELb0EPiSB_N6thrust23THRUST_200600_302600_NS5minusIiEEEE10hipError_tPvRmT2_T3_mT4_P12ihipStream_tbEUlmE_iEESB_NS0_8identityIvEEEESG_SJ_SK_mSL_SN_bEUlT_E_NS1_11comp_targetILNS1_3genE4ELNS1_11target_archE910ELNS1_3gpuE8ELNS1_3repE0EEENS1_30default_config_static_selectorELNS0_4arch9wavefront6targetE1EEEvT1_,"axG",@progbits,_ZN7rocprim17ROCPRIM_400000_NS6detail17trampoline_kernelINS0_14default_configENS1_25transform_config_selectorIiLb0EEEZNS1_14transform_implILb0ES3_S5_NS0_18transform_iteratorINS0_17counting_iteratorImlEEZNS1_24adjacent_difference_implIS3_Lb1ELb0EPiSB_N6thrust23THRUST_200600_302600_NS5minusIiEEEE10hipError_tPvRmT2_T3_mT4_P12ihipStream_tbEUlmE_iEESB_NS0_8identityIvEEEESG_SJ_SK_mSL_SN_bEUlT_E_NS1_11comp_targetILNS1_3genE4ELNS1_11target_archE910ELNS1_3gpuE8ELNS1_3repE0EEENS1_30default_config_static_selectorELNS0_4arch9wavefront6targetE1EEEvT1_,comdat
	.protected	_ZN7rocprim17ROCPRIM_400000_NS6detail17trampoline_kernelINS0_14default_configENS1_25transform_config_selectorIiLb0EEEZNS1_14transform_implILb0ES3_S5_NS0_18transform_iteratorINS0_17counting_iteratorImlEEZNS1_24adjacent_difference_implIS3_Lb1ELb0EPiSB_N6thrust23THRUST_200600_302600_NS5minusIiEEEE10hipError_tPvRmT2_T3_mT4_P12ihipStream_tbEUlmE_iEESB_NS0_8identityIvEEEESG_SJ_SK_mSL_SN_bEUlT_E_NS1_11comp_targetILNS1_3genE4ELNS1_11target_archE910ELNS1_3gpuE8ELNS1_3repE0EEENS1_30default_config_static_selectorELNS0_4arch9wavefront6targetE1EEEvT1_ ; -- Begin function _ZN7rocprim17ROCPRIM_400000_NS6detail17trampoline_kernelINS0_14default_configENS1_25transform_config_selectorIiLb0EEEZNS1_14transform_implILb0ES3_S5_NS0_18transform_iteratorINS0_17counting_iteratorImlEEZNS1_24adjacent_difference_implIS3_Lb1ELb0EPiSB_N6thrust23THRUST_200600_302600_NS5minusIiEEEE10hipError_tPvRmT2_T3_mT4_P12ihipStream_tbEUlmE_iEESB_NS0_8identityIvEEEESG_SJ_SK_mSL_SN_bEUlT_E_NS1_11comp_targetILNS1_3genE4ELNS1_11target_archE910ELNS1_3gpuE8ELNS1_3repE0EEENS1_30default_config_static_selectorELNS0_4arch9wavefront6targetE1EEEvT1_
	.globl	_ZN7rocprim17ROCPRIM_400000_NS6detail17trampoline_kernelINS0_14default_configENS1_25transform_config_selectorIiLb0EEEZNS1_14transform_implILb0ES3_S5_NS0_18transform_iteratorINS0_17counting_iteratorImlEEZNS1_24adjacent_difference_implIS3_Lb1ELb0EPiSB_N6thrust23THRUST_200600_302600_NS5minusIiEEEE10hipError_tPvRmT2_T3_mT4_P12ihipStream_tbEUlmE_iEESB_NS0_8identityIvEEEESG_SJ_SK_mSL_SN_bEUlT_E_NS1_11comp_targetILNS1_3genE4ELNS1_11target_archE910ELNS1_3gpuE8ELNS1_3repE0EEENS1_30default_config_static_selectorELNS0_4arch9wavefront6targetE1EEEvT1_
	.p2align	8
	.type	_ZN7rocprim17ROCPRIM_400000_NS6detail17trampoline_kernelINS0_14default_configENS1_25transform_config_selectorIiLb0EEEZNS1_14transform_implILb0ES3_S5_NS0_18transform_iteratorINS0_17counting_iteratorImlEEZNS1_24adjacent_difference_implIS3_Lb1ELb0EPiSB_N6thrust23THRUST_200600_302600_NS5minusIiEEEE10hipError_tPvRmT2_T3_mT4_P12ihipStream_tbEUlmE_iEESB_NS0_8identityIvEEEESG_SJ_SK_mSL_SN_bEUlT_E_NS1_11comp_targetILNS1_3genE4ELNS1_11target_archE910ELNS1_3gpuE8ELNS1_3repE0EEENS1_30default_config_static_selectorELNS0_4arch9wavefront6targetE1EEEvT1_,@function
_ZN7rocprim17ROCPRIM_400000_NS6detail17trampoline_kernelINS0_14default_configENS1_25transform_config_selectorIiLb0EEEZNS1_14transform_implILb0ES3_S5_NS0_18transform_iteratorINS0_17counting_iteratorImlEEZNS1_24adjacent_difference_implIS3_Lb1ELb0EPiSB_N6thrust23THRUST_200600_302600_NS5minusIiEEEE10hipError_tPvRmT2_T3_mT4_P12ihipStream_tbEUlmE_iEESB_NS0_8identityIvEEEESG_SJ_SK_mSL_SN_bEUlT_E_NS1_11comp_targetILNS1_3genE4ELNS1_11target_archE910ELNS1_3gpuE8ELNS1_3repE0EEENS1_30default_config_static_selectorELNS0_4arch9wavefront6targetE1EEEvT1_: ; @_ZN7rocprim17ROCPRIM_400000_NS6detail17trampoline_kernelINS0_14default_configENS1_25transform_config_selectorIiLb0EEEZNS1_14transform_implILb0ES3_S5_NS0_18transform_iteratorINS0_17counting_iteratorImlEEZNS1_24adjacent_difference_implIS3_Lb1ELb0EPiSB_N6thrust23THRUST_200600_302600_NS5minusIiEEEE10hipError_tPvRmT2_T3_mT4_P12ihipStream_tbEUlmE_iEESB_NS0_8identityIvEEEESG_SJ_SK_mSL_SN_bEUlT_E_NS1_11comp_targetILNS1_3genE4ELNS1_11target_archE910ELNS1_3gpuE8ELNS1_3repE0EEENS1_30default_config_static_selectorELNS0_4arch9wavefront6targetE1EEEvT1_
; %bb.0:
	.section	.rodata,"a",@progbits
	.p2align	6, 0x0
	.amdhsa_kernel _ZN7rocprim17ROCPRIM_400000_NS6detail17trampoline_kernelINS0_14default_configENS1_25transform_config_selectorIiLb0EEEZNS1_14transform_implILb0ES3_S5_NS0_18transform_iteratorINS0_17counting_iteratorImlEEZNS1_24adjacent_difference_implIS3_Lb1ELb0EPiSB_N6thrust23THRUST_200600_302600_NS5minusIiEEEE10hipError_tPvRmT2_T3_mT4_P12ihipStream_tbEUlmE_iEESB_NS0_8identityIvEEEESG_SJ_SK_mSL_SN_bEUlT_E_NS1_11comp_targetILNS1_3genE4ELNS1_11target_archE910ELNS1_3gpuE8ELNS1_3repE0EEENS1_30default_config_static_selectorELNS0_4arch9wavefront6targetE1EEEvT1_
		.amdhsa_group_segment_fixed_size 0
		.amdhsa_private_segment_fixed_size 0
		.amdhsa_kernarg_size 56
		.amdhsa_user_sgpr_count 2
		.amdhsa_user_sgpr_dispatch_ptr 0
		.amdhsa_user_sgpr_queue_ptr 0
		.amdhsa_user_sgpr_kernarg_segment_ptr 1
		.amdhsa_user_sgpr_dispatch_id 0
		.amdhsa_user_sgpr_kernarg_preload_length 0
		.amdhsa_user_sgpr_kernarg_preload_offset 0
		.amdhsa_user_sgpr_private_segment_size 0
		.amdhsa_uses_dynamic_stack 0
		.amdhsa_enable_private_segment 0
		.amdhsa_system_sgpr_workgroup_id_x 1
		.amdhsa_system_sgpr_workgroup_id_y 0
		.amdhsa_system_sgpr_workgroup_id_z 0
		.amdhsa_system_sgpr_workgroup_info 0
		.amdhsa_system_vgpr_workitem_id 0
		.amdhsa_next_free_vgpr 1
		.amdhsa_next_free_sgpr 0
		.amdhsa_accum_offset 4
		.amdhsa_reserve_vcc 0
		.amdhsa_float_round_mode_32 0
		.amdhsa_float_round_mode_16_64 0
		.amdhsa_float_denorm_mode_32 3
		.amdhsa_float_denorm_mode_16_64 3
		.amdhsa_dx10_clamp 1
		.amdhsa_ieee_mode 1
		.amdhsa_fp16_overflow 0
		.amdhsa_tg_split 0
		.amdhsa_exception_fp_ieee_invalid_op 0
		.amdhsa_exception_fp_denorm_src 0
		.amdhsa_exception_fp_ieee_div_zero 0
		.amdhsa_exception_fp_ieee_overflow 0
		.amdhsa_exception_fp_ieee_underflow 0
		.amdhsa_exception_fp_ieee_inexact 0
		.amdhsa_exception_int_div_zero 0
	.end_amdhsa_kernel
	.section	.text._ZN7rocprim17ROCPRIM_400000_NS6detail17trampoline_kernelINS0_14default_configENS1_25transform_config_selectorIiLb0EEEZNS1_14transform_implILb0ES3_S5_NS0_18transform_iteratorINS0_17counting_iteratorImlEEZNS1_24adjacent_difference_implIS3_Lb1ELb0EPiSB_N6thrust23THRUST_200600_302600_NS5minusIiEEEE10hipError_tPvRmT2_T3_mT4_P12ihipStream_tbEUlmE_iEESB_NS0_8identityIvEEEESG_SJ_SK_mSL_SN_bEUlT_E_NS1_11comp_targetILNS1_3genE4ELNS1_11target_archE910ELNS1_3gpuE8ELNS1_3repE0EEENS1_30default_config_static_selectorELNS0_4arch9wavefront6targetE1EEEvT1_,"axG",@progbits,_ZN7rocprim17ROCPRIM_400000_NS6detail17trampoline_kernelINS0_14default_configENS1_25transform_config_selectorIiLb0EEEZNS1_14transform_implILb0ES3_S5_NS0_18transform_iteratorINS0_17counting_iteratorImlEEZNS1_24adjacent_difference_implIS3_Lb1ELb0EPiSB_N6thrust23THRUST_200600_302600_NS5minusIiEEEE10hipError_tPvRmT2_T3_mT4_P12ihipStream_tbEUlmE_iEESB_NS0_8identityIvEEEESG_SJ_SK_mSL_SN_bEUlT_E_NS1_11comp_targetILNS1_3genE4ELNS1_11target_archE910ELNS1_3gpuE8ELNS1_3repE0EEENS1_30default_config_static_selectorELNS0_4arch9wavefront6targetE1EEEvT1_,comdat
.Lfunc_end112:
	.size	_ZN7rocprim17ROCPRIM_400000_NS6detail17trampoline_kernelINS0_14default_configENS1_25transform_config_selectorIiLb0EEEZNS1_14transform_implILb0ES3_S5_NS0_18transform_iteratorINS0_17counting_iteratorImlEEZNS1_24adjacent_difference_implIS3_Lb1ELb0EPiSB_N6thrust23THRUST_200600_302600_NS5minusIiEEEE10hipError_tPvRmT2_T3_mT4_P12ihipStream_tbEUlmE_iEESB_NS0_8identityIvEEEESG_SJ_SK_mSL_SN_bEUlT_E_NS1_11comp_targetILNS1_3genE4ELNS1_11target_archE910ELNS1_3gpuE8ELNS1_3repE0EEENS1_30default_config_static_selectorELNS0_4arch9wavefront6targetE1EEEvT1_, .Lfunc_end112-_ZN7rocprim17ROCPRIM_400000_NS6detail17trampoline_kernelINS0_14default_configENS1_25transform_config_selectorIiLb0EEEZNS1_14transform_implILb0ES3_S5_NS0_18transform_iteratorINS0_17counting_iteratorImlEEZNS1_24adjacent_difference_implIS3_Lb1ELb0EPiSB_N6thrust23THRUST_200600_302600_NS5minusIiEEEE10hipError_tPvRmT2_T3_mT4_P12ihipStream_tbEUlmE_iEESB_NS0_8identityIvEEEESG_SJ_SK_mSL_SN_bEUlT_E_NS1_11comp_targetILNS1_3genE4ELNS1_11target_archE910ELNS1_3gpuE8ELNS1_3repE0EEENS1_30default_config_static_selectorELNS0_4arch9wavefront6targetE1EEEvT1_
                                        ; -- End function
	.section	.AMDGPU.csdata,"",@progbits
; Kernel info:
; codeLenInByte = 0
; NumSgprs: 6
; NumVgprs: 0
; NumAgprs: 0
; TotalNumVgprs: 0
; ScratchSize: 0
; MemoryBound: 0
; FloatMode: 240
; IeeeMode: 1
; LDSByteSize: 0 bytes/workgroup (compile time only)
; SGPRBlocks: 0
; VGPRBlocks: 0
; NumSGPRsForWavesPerEU: 6
; NumVGPRsForWavesPerEU: 1
; AccumOffset: 4
; Occupancy: 8
; WaveLimiterHint : 0
; COMPUTE_PGM_RSRC2:SCRATCH_EN: 0
; COMPUTE_PGM_RSRC2:USER_SGPR: 2
; COMPUTE_PGM_RSRC2:TRAP_HANDLER: 0
; COMPUTE_PGM_RSRC2:TGID_X_EN: 1
; COMPUTE_PGM_RSRC2:TGID_Y_EN: 0
; COMPUTE_PGM_RSRC2:TGID_Z_EN: 0
; COMPUTE_PGM_RSRC2:TIDIG_COMP_CNT: 0
; COMPUTE_PGM_RSRC3_GFX90A:ACCUM_OFFSET: 0
; COMPUTE_PGM_RSRC3_GFX90A:TG_SPLIT: 0
	.section	.text._ZN7rocprim17ROCPRIM_400000_NS6detail17trampoline_kernelINS0_14default_configENS1_25transform_config_selectorIiLb0EEEZNS1_14transform_implILb0ES3_S5_NS0_18transform_iteratorINS0_17counting_iteratorImlEEZNS1_24adjacent_difference_implIS3_Lb1ELb0EPiSB_N6thrust23THRUST_200600_302600_NS5minusIiEEEE10hipError_tPvRmT2_T3_mT4_P12ihipStream_tbEUlmE_iEESB_NS0_8identityIvEEEESG_SJ_SK_mSL_SN_bEUlT_E_NS1_11comp_targetILNS1_3genE3ELNS1_11target_archE908ELNS1_3gpuE7ELNS1_3repE0EEENS1_30default_config_static_selectorELNS0_4arch9wavefront6targetE1EEEvT1_,"axG",@progbits,_ZN7rocprim17ROCPRIM_400000_NS6detail17trampoline_kernelINS0_14default_configENS1_25transform_config_selectorIiLb0EEEZNS1_14transform_implILb0ES3_S5_NS0_18transform_iteratorINS0_17counting_iteratorImlEEZNS1_24adjacent_difference_implIS3_Lb1ELb0EPiSB_N6thrust23THRUST_200600_302600_NS5minusIiEEEE10hipError_tPvRmT2_T3_mT4_P12ihipStream_tbEUlmE_iEESB_NS0_8identityIvEEEESG_SJ_SK_mSL_SN_bEUlT_E_NS1_11comp_targetILNS1_3genE3ELNS1_11target_archE908ELNS1_3gpuE7ELNS1_3repE0EEENS1_30default_config_static_selectorELNS0_4arch9wavefront6targetE1EEEvT1_,comdat
	.protected	_ZN7rocprim17ROCPRIM_400000_NS6detail17trampoline_kernelINS0_14default_configENS1_25transform_config_selectorIiLb0EEEZNS1_14transform_implILb0ES3_S5_NS0_18transform_iteratorINS0_17counting_iteratorImlEEZNS1_24adjacent_difference_implIS3_Lb1ELb0EPiSB_N6thrust23THRUST_200600_302600_NS5minusIiEEEE10hipError_tPvRmT2_T3_mT4_P12ihipStream_tbEUlmE_iEESB_NS0_8identityIvEEEESG_SJ_SK_mSL_SN_bEUlT_E_NS1_11comp_targetILNS1_3genE3ELNS1_11target_archE908ELNS1_3gpuE7ELNS1_3repE0EEENS1_30default_config_static_selectorELNS0_4arch9wavefront6targetE1EEEvT1_ ; -- Begin function _ZN7rocprim17ROCPRIM_400000_NS6detail17trampoline_kernelINS0_14default_configENS1_25transform_config_selectorIiLb0EEEZNS1_14transform_implILb0ES3_S5_NS0_18transform_iteratorINS0_17counting_iteratorImlEEZNS1_24adjacent_difference_implIS3_Lb1ELb0EPiSB_N6thrust23THRUST_200600_302600_NS5minusIiEEEE10hipError_tPvRmT2_T3_mT4_P12ihipStream_tbEUlmE_iEESB_NS0_8identityIvEEEESG_SJ_SK_mSL_SN_bEUlT_E_NS1_11comp_targetILNS1_3genE3ELNS1_11target_archE908ELNS1_3gpuE7ELNS1_3repE0EEENS1_30default_config_static_selectorELNS0_4arch9wavefront6targetE1EEEvT1_
	.globl	_ZN7rocprim17ROCPRIM_400000_NS6detail17trampoline_kernelINS0_14default_configENS1_25transform_config_selectorIiLb0EEEZNS1_14transform_implILb0ES3_S5_NS0_18transform_iteratorINS0_17counting_iteratorImlEEZNS1_24adjacent_difference_implIS3_Lb1ELb0EPiSB_N6thrust23THRUST_200600_302600_NS5minusIiEEEE10hipError_tPvRmT2_T3_mT4_P12ihipStream_tbEUlmE_iEESB_NS0_8identityIvEEEESG_SJ_SK_mSL_SN_bEUlT_E_NS1_11comp_targetILNS1_3genE3ELNS1_11target_archE908ELNS1_3gpuE7ELNS1_3repE0EEENS1_30default_config_static_selectorELNS0_4arch9wavefront6targetE1EEEvT1_
	.p2align	8
	.type	_ZN7rocprim17ROCPRIM_400000_NS6detail17trampoline_kernelINS0_14default_configENS1_25transform_config_selectorIiLb0EEEZNS1_14transform_implILb0ES3_S5_NS0_18transform_iteratorINS0_17counting_iteratorImlEEZNS1_24adjacent_difference_implIS3_Lb1ELb0EPiSB_N6thrust23THRUST_200600_302600_NS5minusIiEEEE10hipError_tPvRmT2_T3_mT4_P12ihipStream_tbEUlmE_iEESB_NS0_8identityIvEEEESG_SJ_SK_mSL_SN_bEUlT_E_NS1_11comp_targetILNS1_3genE3ELNS1_11target_archE908ELNS1_3gpuE7ELNS1_3repE0EEENS1_30default_config_static_selectorELNS0_4arch9wavefront6targetE1EEEvT1_,@function
_ZN7rocprim17ROCPRIM_400000_NS6detail17trampoline_kernelINS0_14default_configENS1_25transform_config_selectorIiLb0EEEZNS1_14transform_implILb0ES3_S5_NS0_18transform_iteratorINS0_17counting_iteratorImlEEZNS1_24adjacent_difference_implIS3_Lb1ELb0EPiSB_N6thrust23THRUST_200600_302600_NS5minusIiEEEE10hipError_tPvRmT2_T3_mT4_P12ihipStream_tbEUlmE_iEESB_NS0_8identityIvEEEESG_SJ_SK_mSL_SN_bEUlT_E_NS1_11comp_targetILNS1_3genE3ELNS1_11target_archE908ELNS1_3gpuE7ELNS1_3repE0EEENS1_30default_config_static_selectorELNS0_4arch9wavefront6targetE1EEEvT1_: ; @_ZN7rocprim17ROCPRIM_400000_NS6detail17trampoline_kernelINS0_14default_configENS1_25transform_config_selectorIiLb0EEEZNS1_14transform_implILb0ES3_S5_NS0_18transform_iteratorINS0_17counting_iteratorImlEEZNS1_24adjacent_difference_implIS3_Lb1ELb0EPiSB_N6thrust23THRUST_200600_302600_NS5minusIiEEEE10hipError_tPvRmT2_T3_mT4_P12ihipStream_tbEUlmE_iEESB_NS0_8identityIvEEEESG_SJ_SK_mSL_SN_bEUlT_E_NS1_11comp_targetILNS1_3genE3ELNS1_11target_archE908ELNS1_3gpuE7ELNS1_3repE0EEENS1_30default_config_static_selectorELNS0_4arch9wavefront6targetE1EEEvT1_
; %bb.0:
	.section	.rodata,"a",@progbits
	.p2align	6, 0x0
	.amdhsa_kernel _ZN7rocprim17ROCPRIM_400000_NS6detail17trampoline_kernelINS0_14default_configENS1_25transform_config_selectorIiLb0EEEZNS1_14transform_implILb0ES3_S5_NS0_18transform_iteratorINS0_17counting_iteratorImlEEZNS1_24adjacent_difference_implIS3_Lb1ELb0EPiSB_N6thrust23THRUST_200600_302600_NS5minusIiEEEE10hipError_tPvRmT2_T3_mT4_P12ihipStream_tbEUlmE_iEESB_NS0_8identityIvEEEESG_SJ_SK_mSL_SN_bEUlT_E_NS1_11comp_targetILNS1_3genE3ELNS1_11target_archE908ELNS1_3gpuE7ELNS1_3repE0EEENS1_30default_config_static_selectorELNS0_4arch9wavefront6targetE1EEEvT1_
		.amdhsa_group_segment_fixed_size 0
		.amdhsa_private_segment_fixed_size 0
		.amdhsa_kernarg_size 56
		.amdhsa_user_sgpr_count 2
		.amdhsa_user_sgpr_dispatch_ptr 0
		.amdhsa_user_sgpr_queue_ptr 0
		.amdhsa_user_sgpr_kernarg_segment_ptr 1
		.amdhsa_user_sgpr_dispatch_id 0
		.amdhsa_user_sgpr_kernarg_preload_length 0
		.amdhsa_user_sgpr_kernarg_preload_offset 0
		.amdhsa_user_sgpr_private_segment_size 0
		.amdhsa_uses_dynamic_stack 0
		.amdhsa_enable_private_segment 0
		.amdhsa_system_sgpr_workgroup_id_x 1
		.amdhsa_system_sgpr_workgroup_id_y 0
		.amdhsa_system_sgpr_workgroup_id_z 0
		.amdhsa_system_sgpr_workgroup_info 0
		.amdhsa_system_vgpr_workitem_id 0
		.amdhsa_next_free_vgpr 1
		.amdhsa_next_free_sgpr 0
		.amdhsa_accum_offset 4
		.amdhsa_reserve_vcc 0
		.amdhsa_float_round_mode_32 0
		.amdhsa_float_round_mode_16_64 0
		.amdhsa_float_denorm_mode_32 3
		.amdhsa_float_denorm_mode_16_64 3
		.amdhsa_dx10_clamp 1
		.amdhsa_ieee_mode 1
		.amdhsa_fp16_overflow 0
		.amdhsa_tg_split 0
		.amdhsa_exception_fp_ieee_invalid_op 0
		.amdhsa_exception_fp_denorm_src 0
		.amdhsa_exception_fp_ieee_div_zero 0
		.amdhsa_exception_fp_ieee_overflow 0
		.amdhsa_exception_fp_ieee_underflow 0
		.amdhsa_exception_fp_ieee_inexact 0
		.amdhsa_exception_int_div_zero 0
	.end_amdhsa_kernel
	.section	.text._ZN7rocprim17ROCPRIM_400000_NS6detail17trampoline_kernelINS0_14default_configENS1_25transform_config_selectorIiLb0EEEZNS1_14transform_implILb0ES3_S5_NS0_18transform_iteratorINS0_17counting_iteratorImlEEZNS1_24adjacent_difference_implIS3_Lb1ELb0EPiSB_N6thrust23THRUST_200600_302600_NS5minusIiEEEE10hipError_tPvRmT2_T3_mT4_P12ihipStream_tbEUlmE_iEESB_NS0_8identityIvEEEESG_SJ_SK_mSL_SN_bEUlT_E_NS1_11comp_targetILNS1_3genE3ELNS1_11target_archE908ELNS1_3gpuE7ELNS1_3repE0EEENS1_30default_config_static_selectorELNS0_4arch9wavefront6targetE1EEEvT1_,"axG",@progbits,_ZN7rocprim17ROCPRIM_400000_NS6detail17trampoline_kernelINS0_14default_configENS1_25transform_config_selectorIiLb0EEEZNS1_14transform_implILb0ES3_S5_NS0_18transform_iteratorINS0_17counting_iteratorImlEEZNS1_24adjacent_difference_implIS3_Lb1ELb0EPiSB_N6thrust23THRUST_200600_302600_NS5minusIiEEEE10hipError_tPvRmT2_T3_mT4_P12ihipStream_tbEUlmE_iEESB_NS0_8identityIvEEEESG_SJ_SK_mSL_SN_bEUlT_E_NS1_11comp_targetILNS1_3genE3ELNS1_11target_archE908ELNS1_3gpuE7ELNS1_3repE0EEENS1_30default_config_static_selectorELNS0_4arch9wavefront6targetE1EEEvT1_,comdat
.Lfunc_end113:
	.size	_ZN7rocprim17ROCPRIM_400000_NS6detail17trampoline_kernelINS0_14default_configENS1_25transform_config_selectorIiLb0EEEZNS1_14transform_implILb0ES3_S5_NS0_18transform_iteratorINS0_17counting_iteratorImlEEZNS1_24adjacent_difference_implIS3_Lb1ELb0EPiSB_N6thrust23THRUST_200600_302600_NS5minusIiEEEE10hipError_tPvRmT2_T3_mT4_P12ihipStream_tbEUlmE_iEESB_NS0_8identityIvEEEESG_SJ_SK_mSL_SN_bEUlT_E_NS1_11comp_targetILNS1_3genE3ELNS1_11target_archE908ELNS1_3gpuE7ELNS1_3repE0EEENS1_30default_config_static_selectorELNS0_4arch9wavefront6targetE1EEEvT1_, .Lfunc_end113-_ZN7rocprim17ROCPRIM_400000_NS6detail17trampoline_kernelINS0_14default_configENS1_25transform_config_selectorIiLb0EEEZNS1_14transform_implILb0ES3_S5_NS0_18transform_iteratorINS0_17counting_iteratorImlEEZNS1_24adjacent_difference_implIS3_Lb1ELb0EPiSB_N6thrust23THRUST_200600_302600_NS5minusIiEEEE10hipError_tPvRmT2_T3_mT4_P12ihipStream_tbEUlmE_iEESB_NS0_8identityIvEEEESG_SJ_SK_mSL_SN_bEUlT_E_NS1_11comp_targetILNS1_3genE3ELNS1_11target_archE908ELNS1_3gpuE7ELNS1_3repE0EEENS1_30default_config_static_selectorELNS0_4arch9wavefront6targetE1EEEvT1_
                                        ; -- End function
	.section	.AMDGPU.csdata,"",@progbits
; Kernel info:
; codeLenInByte = 0
; NumSgprs: 6
; NumVgprs: 0
; NumAgprs: 0
; TotalNumVgprs: 0
; ScratchSize: 0
; MemoryBound: 0
; FloatMode: 240
; IeeeMode: 1
; LDSByteSize: 0 bytes/workgroup (compile time only)
; SGPRBlocks: 0
; VGPRBlocks: 0
; NumSGPRsForWavesPerEU: 6
; NumVGPRsForWavesPerEU: 1
; AccumOffset: 4
; Occupancy: 8
; WaveLimiterHint : 0
; COMPUTE_PGM_RSRC2:SCRATCH_EN: 0
; COMPUTE_PGM_RSRC2:USER_SGPR: 2
; COMPUTE_PGM_RSRC2:TRAP_HANDLER: 0
; COMPUTE_PGM_RSRC2:TGID_X_EN: 1
; COMPUTE_PGM_RSRC2:TGID_Y_EN: 0
; COMPUTE_PGM_RSRC2:TGID_Z_EN: 0
; COMPUTE_PGM_RSRC2:TIDIG_COMP_CNT: 0
; COMPUTE_PGM_RSRC3_GFX90A:ACCUM_OFFSET: 0
; COMPUTE_PGM_RSRC3_GFX90A:TG_SPLIT: 0
	.section	.text._ZN7rocprim17ROCPRIM_400000_NS6detail17trampoline_kernelINS0_14default_configENS1_25transform_config_selectorIiLb0EEEZNS1_14transform_implILb0ES3_S5_NS0_18transform_iteratorINS0_17counting_iteratorImlEEZNS1_24adjacent_difference_implIS3_Lb1ELb0EPiSB_N6thrust23THRUST_200600_302600_NS5minusIiEEEE10hipError_tPvRmT2_T3_mT4_P12ihipStream_tbEUlmE_iEESB_NS0_8identityIvEEEESG_SJ_SK_mSL_SN_bEUlT_E_NS1_11comp_targetILNS1_3genE2ELNS1_11target_archE906ELNS1_3gpuE6ELNS1_3repE0EEENS1_30default_config_static_selectorELNS0_4arch9wavefront6targetE1EEEvT1_,"axG",@progbits,_ZN7rocprim17ROCPRIM_400000_NS6detail17trampoline_kernelINS0_14default_configENS1_25transform_config_selectorIiLb0EEEZNS1_14transform_implILb0ES3_S5_NS0_18transform_iteratorINS0_17counting_iteratorImlEEZNS1_24adjacent_difference_implIS3_Lb1ELb0EPiSB_N6thrust23THRUST_200600_302600_NS5minusIiEEEE10hipError_tPvRmT2_T3_mT4_P12ihipStream_tbEUlmE_iEESB_NS0_8identityIvEEEESG_SJ_SK_mSL_SN_bEUlT_E_NS1_11comp_targetILNS1_3genE2ELNS1_11target_archE906ELNS1_3gpuE6ELNS1_3repE0EEENS1_30default_config_static_selectorELNS0_4arch9wavefront6targetE1EEEvT1_,comdat
	.protected	_ZN7rocprim17ROCPRIM_400000_NS6detail17trampoline_kernelINS0_14default_configENS1_25transform_config_selectorIiLb0EEEZNS1_14transform_implILb0ES3_S5_NS0_18transform_iteratorINS0_17counting_iteratorImlEEZNS1_24adjacent_difference_implIS3_Lb1ELb0EPiSB_N6thrust23THRUST_200600_302600_NS5minusIiEEEE10hipError_tPvRmT2_T3_mT4_P12ihipStream_tbEUlmE_iEESB_NS0_8identityIvEEEESG_SJ_SK_mSL_SN_bEUlT_E_NS1_11comp_targetILNS1_3genE2ELNS1_11target_archE906ELNS1_3gpuE6ELNS1_3repE0EEENS1_30default_config_static_selectorELNS0_4arch9wavefront6targetE1EEEvT1_ ; -- Begin function _ZN7rocprim17ROCPRIM_400000_NS6detail17trampoline_kernelINS0_14default_configENS1_25transform_config_selectorIiLb0EEEZNS1_14transform_implILb0ES3_S5_NS0_18transform_iteratorINS0_17counting_iteratorImlEEZNS1_24adjacent_difference_implIS3_Lb1ELb0EPiSB_N6thrust23THRUST_200600_302600_NS5minusIiEEEE10hipError_tPvRmT2_T3_mT4_P12ihipStream_tbEUlmE_iEESB_NS0_8identityIvEEEESG_SJ_SK_mSL_SN_bEUlT_E_NS1_11comp_targetILNS1_3genE2ELNS1_11target_archE906ELNS1_3gpuE6ELNS1_3repE0EEENS1_30default_config_static_selectorELNS0_4arch9wavefront6targetE1EEEvT1_
	.globl	_ZN7rocprim17ROCPRIM_400000_NS6detail17trampoline_kernelINS0_14default_configENS1_25transform_config_selectorIiLb0EEEZNS1_14transform_implILb0ES3_S5_NS0_18transform_iteratorINS0_17counting_iteratorImlEEZNS1_24adjacent_difference_implIS3_Lb1ELb0EPiSB_N6thrust23THRUST_200600_302600_NS5minusIiEEEE10hipError_tPvRmT2_T3_mT4_P12ihipStream_tbEUlmE_iEESB_NS0_8identityIvEEEESG_SJ_SK_mSL_SN_bEUlT_E_NS1_11comp_targetILNS1_3genE2ELNS1_11target_archE906ELNS1_3gpuE6ELNS1_3repE0EEENS1_30default_config_static_selectorELNS0_4arch9wavefront6targetE1EEEvT1_
	.p2align	8
	.type	_ZN7rocprim17ROCPRIM_400000_NS6detail17trampoline_kernelINS0_14default_configENS1_25transform_config_selectorIiLb0EEEZNS1_14transform_implILb0ES3_S5_NS0_18transform_iteratorINS0_17counting_iteratorImlEEZNS1_24adjacent_difference_implIS3_Lb1ELb0EPiSB_N6thrust23THRUST_200600_302600_NS5minusIiEEEE10hipError_tPvRmT2_T3_mT4_P12ihipStream_tbEUlmE_iEESB_NS0_8identityIvEEEESG_SJ_SK_mSL_SN_bEUlT_E_NS1_11comp_targetILNS1_3genE2ELNS1_11target_archE906ELNS1_3gpuE6ELNS1_3repE0EEENS1_30default_config_static_selectorELNS0_4arch9wavefront6targetE1EEEvT1_,@function
_ZN7rocprim17ROCPRIM_400000_NS6detail17trampoline_kernelINS0_14default_configENS1_25transform_config_selectorIiLb0EEEZNS1_14transform_implILb0ES3_S5_NS0_18transform_iteratorINS0_17counting_iteratorImlEEZNS1_24adjacent_difference_implIS3_Lb1ELb0EPiSB_N6thrust23THRUST_200600_302600_NS5minusIiEEEE10hipError_tPvRmT2_T3_mT4_P12ihipStream_tbEUlmE_iEESB_NS0_8identityIvEEEESG_SJ_SK_mSL_SN_bEUlT_E_NS1_11comp_targetILNS1_3genE2ELNS1_11target_archE906ELNS1_3gpuE6ELNS1_3repE0EEENS1_30default_config_static_selectorELNS0_4arch9wavefront6targetE1EEEvT1_: ; @_ZN7rocprim17ROCPRIM_400000_NS6detail17trampoline_kernelINS0_14default_configENS1_25transform_config_selectorIiLb0EEEZNS1_14transform_implILb0ES3_S5_NS0_18transform_iteratorINS0_17counting_iteratorImlEEZNS1_24adjacent_difference_implIS3_Lb1ELb0EPiSB_N6thrust23THRUST_200600_302600_NS5minusIiEEEE10hipError_tPvRmT2_T3_mT4_P12ihipStream_tbEUlmE_iEESB_NS0_8identityIvEEEESG_SJ_SK_mSL_SN_bEUlT_E_NS1_11comp_targetILNS1_3genE2ELNS1_11target_archE906ELNS1_3gpuE6ELNS1_3repE0EEENS1_30default_config_static_selectorELNS0_4arch9wavefront6targetE1EEEvT1_
; %bb.0:
	.section	.rodata,"a",@progbits
	.p2align	6, 0x0
	.amdhsa_kernel _ZN7rocprim17ROCPRIM_400000_NS6detail17trampoline_kernelINS0_14default_configENS1_25transform_config_selectorIiLb0EEEZNS1_14transform_implILb0ES3_S5_NS0_18transform_iteratorINS0_17counting_iteratorImlEEZNS1_24adjacent_difference_implIS3_Lb1ELb0EPiSB_N6thrust23THRUST_200600_302600_NS5minusIiEEEE10hipError_tPvRmT2_T3_mT4_P12ihipStream_tbEUlmE_iEESB_NS0_8identityIvEEEESG_SJ_SK_mSL_SN_bEUlT_E_NS1_11comp_targetILNS1_3genE2ELNS1_11target_archE906ELNS1_3gpuE6ELNS1_3repE0EEENS1_30default_config_static_selectorELNS0_4arch9wavefront6targetE1EEEvT1_
		.amdhsa_group_segment_fixed_size 0
		.amdhsa_private_segment_fixed_size 0
		.amdhsa_kernarg_size 56
		.amdhsa_user_sgpr_count 2
		.amdhsa_user_sgpr_dispatch_ptr 0
		.amdhsa_user_sgpr_queue_ptr 0
		.amdhsa_user_sgpr_kernarg_segment_ptr 1
		.amdhsa_user_sgpr_dispatch_id 0
		.amdhsa_user_sgpr_kernarg_preload_length 0
		.amdhsa_user_sgpr_kernarg_preload_offset 0
		.amdhsa_user_sgpr_private_segment_size 0
		.amdhsa_uses_dynamic_stack 0
		.amdhsa_enable_private_segment 0
		.amdhsa_system_sgpr_workgroup_id_x 1
		.amdhsa_system_sgpr_workgroup_id_y 0
		.amdhsa_system_sgpr_workgroup_id_z 0
		.amdhsa_system_sgpr_workgroup_info 0
		.amdhsa_system_vgpr_workitem_id 0
		.amdhsa_next_free_vgpr 1
		.amdhsa_next_free_sgpr 0
		.amdhsa_accum_offset 4
		.amdhsa_reserve_vcc 0
		.amdhsa_float_round_mode_32 0
		.amdhsa_float_round_mode_16_64 0
		.amdhsa_float_denorm_mode_32 3
		.amdhsa_float_denorm_mode_16_64 3
		.amdhsa_dx10_clamp 1
		.amdhsa_ieee_mode 1
		.amdhsa_fp16_overflow 0
		.amdhsa_tg_split 0
		.amdhsa_exception_fp_ieee_invalid_op 0
		.amdhsa_exception_fp_denorm_src 0
		.amdhsa_exception_fp_ieee_div_zero 0
		.amdhsa_exception_fp_ieee_overflow 0
		.amdhsa_exception_fp_ieee_underflow 0
		.amdhsa_exception_fp_ieee_inexact 0
		.amdhsa_exception_int_div_zero 0
	.end_amdhsa_kernel
	.section	.text._ZN7rocprim17ROCPRIM_400000_NS6detail17trampoline_kernelINS0_14default_configENS1_25transform_config_selectorIiLb0EEEZNS1_14transform_implILb0ES3_S5_NS0_18transform_iteratorINS0_17counting_iteratorImlEEZNS1_24adjacent_difference_implIS3_Lb1ELb0EPiSB_N6thrust23THRUST_200600_302600_NS5minusIiEEEE10hipError_tPvRmT2_T3_mT4_P12ihipStream_tbEUlmE_iEESB_NS0_8identityIvEEEESG_SJ_SK_mSL_SN_bEUlT_E_NS1_11comp_targetILNS1_3genE2ELNS1_11target_archE906ELNS1_3gpuE6ELNS1_3repE0EEENS1_30default_config_static_selectorELNS0_4arch9wavefront6targetE1EEEvT1_,"axG",@progbits,_ZN7rocprim17ROCPRIM_400000_NS6detail17trampoline_kernelINS0_14default_configENS1_25transform_config_selectorIiLb0EEEZNS1_14transform_implILb0ES3_S5_NS0_18transform_iteratorINS0_17counting_iteratorImlEEZNS1_24adjacent_difference_implIS3_Lb1ELb0EPiSB_N6thrust23THRUST_200600_302600_NS5minusIiEEEE10hipError_tPvRmT2_T3_mT4_P12ihipStream_tbEUlmE_iEESB_NS0_8identityIvEEEESG_SJ_SK_mSL_SN_bEUlT_E_NS1_11comp_targetILNS1_3genE2ELNS1_11target_archE906ELNS1_3gpuE6ELNS1_3repE0EEENS1_30default_config_static_selectorELNS0_4arch9wavefront6targetE1EEEvT1_,comdat
.Lfunc_end114:
	.size	_ZN7rocprim17ROCPRIM_400000_NS6detail17trampoline_kernelINS0_14default_configENS1_25transform_config_selectorIiLb0EEEZNS1_14transform_implILb0ES3_S5_NS0_18transform_iteratorINS0_17counting_iteratorImlEEZNS1_24adjacent_difference_implIS3_Lb1ELb0EPiSB_N6thrust23THRUST_200600_302600_NS5minusIiEEEE10hipError_tPvRmT2_T3_mT4_P12ihipStream_tbEUlmE_iEESB_NS0_8identityIvEEEESG_SJ_SK_mSL_SN_bEUlT_E_NS1_11comp_targetILNS1_3genE2ELNS1_11target_archE906ELNS1_3gpuE6ELNS1_3repE0EEENS1_30default_config_static_selectorELNS0_4arch9wavefront6targetE1EEEvT1_, .Lfunc_end114-_ZN7rocprim17ROCPRIM_400000_NS6detail17trampoline_kernelINS0_14default_configENS1_25transform_config_selectorIiLb0EEEZNS1_14transform_implILb0ES3_S5_NS0_18transform_iteratorINS0_17counting_iteratorImlEEZNS1_24adjacent_difference_implIS3_Lb1ELb0EPiSB_N6thrust23THRUST_200600_302600_NS5minusIiEEEE10hipError_tPvRmT2_T3_mT4_P12ihipStream_tbEUlmE_iEESB_NS0_8identityIvEEEESG_SJ_SK_mSL_SN_bEUlT_E_NS1_11comp_targetILNS1_3genE2ELNS1_11target_archE906ELNS1_3gpuE6ELNS1_3repE0EEENS1_30default_config_static_selectorELNS0_4arch9wavefront6targetE1EEEvT1_
                                        ; -- End function
	.section	.AMDGPU.csdata,"",@progbits
; Kernel info:
; codeLenInByte = 0
; NumSgprs: 6
; NumVgprs: 0
; NumAgprs: 0
; TotalNumVgprs: 0
; ScratchSize: 0
; MemoryBound: 0
; FloatMode: 240
; IeeeMode: 1
; LDSByteSize: 0 bytes/workgroup (compile time only)
; SGPRBlocks: 0
; VGPRBlocks: 0
; NumSGPRsForWavesPerEU: 6
; NumVGPRsForWavesPerEU: 1
; AccumOffset: 4
; Occupancy: 8
; WaveLimiterHint : 0
; COMPUTE_PGM_RSRC2:SCRATCH_EN: 0
; COMPUTE_PGM_RSRC2:USER_SGPR: 2
; COMPUTE_PGM_RSRC2:TRAP_HANDLER: 0
; COMPUTE_PGM_RSRC2:TGID_X_EN: 1
; COMPUTE_PGM_RSRC2:TGID_Y_EN: 0
; COMPUTE_PGM_RSRC2:TGID_Z_EN: 0
; COMPUTE_PGM_RSRC2:TIDIG_COMP_CNT: 0
; COMPUTE_PGM_RSRC3_GFX90A:ACCUM_OFFSET: 0
; COMPUTE_PGM_RSRC3_GFX90A:TG_SPLIT: 0
	.section	.text._ZN7rocprim17ROCPRIM_400000_NS6detail17trampoline_kernelINS0_14default_configENS1_25transform_config_selectorIiLb0EEEZNS1_14transform_implILb0ES3_S5_NS0_18transform_iteratorINS0_17counting_iteratorImlEEZNS1_24adjacent_difference_implIS3_Lb1ELb0EPiSB_N6thrust23THRUST_200600_302600_NS5minusIiEEEE10hipError_tPvRmT2_T3_mT4_P12ihipStream_tbEUlmE_iEESB_NS0_8identityIvEEEESG_SJ_SK_mSL_SN_bEUlT_E_NS1_11comp_targetILNS1_3genE10ELNS1_11target_archE1201ELNS1_3gpuE5ELNS1_3repE0EEENS1_30default_config_static_selectorELNS0_4arch9wavefront6targetE1EEEvT1_,"axG",@progbits,_ZN7rocprim17ROCPRIM_400000_NS6detail17trampoline_kernelINS0_14default_configENS1_25transform_config_selectorIiLb0EEEZNS1_14transform_implILb0ES3_S5_NS0_18transform_iteratorINS0_17counting_iteratorImlEEZNS1_24adjacent_difference_implIS3_Lb1ELb0EPiSB_N6thrust23THRUST_200600_302600_NS5minusIiEEEE10hipError_tPvRmT2_T3_mT4_P12ihipStream_tbEUlmE_iEESB_NS0_8identityIvEEEESG_SJ_SK_mSL_SN_bEUlT_E_NS1_11comp_targetILNS1_3genE10ELNS1_11target_archE1201ELNS1_3gpuE5ELNS1_3repE0EEENS1_30default_config_static_selectorELNS0_4arch9wavefront6targetE1EEEvT1_,comdat
	.protected	_ZN7rocprim17ROCPRIM_400000_NS6detail17trampoline_kernelINS0_14default_configENS1_25transform_config_selectorIiLb0EEEZNS1_14transform_implILb0ES3_S5_NS0_18transform_iteratorINS0_17counting_iteratorImlEEZNS1_24adjacent_difference_implIS3_Lb1ELb0EPiSB_N6thrust23THRUST_200600_302600_NS5minusIiEEEE10hipError_tPvRmT2_T3_mT4_P12ihipStream_tbEUlmE_iEESB_NS0_8identityIvEEEESG_SJ_SK_mSL_SN_bEUlT_E_NS1_11comp_targetILNS1_3genE10ELNS1_11target_archE1201ELNS1_3gpuE5ELNS1_3repE0EEENS1_30default_config_static_selectorELNS0_4arch9wavefront6targetE1EEEvT1_ ; -- Begin function _ZN7rocprim17ROCPRIM_400000_NS6detail17trampoline_kernelINS0_14default_configENS1_25transform_config_selectorIiLb0EEEZNS1_14transform_implILb0ES3_S5_NS0_18transform_iteratorINS0_17counting_iteratorImlEEZNS1_24adjacent_difference_implIS3_Lb1ELb0EPiSB_N6thrust23THRUST_200600_302600_NS5minusIiEEEE10hipError_tPvRmT2_T3_mT4_P12ihipStream_tbEUlmE_iEESB_NS0_8identityIvEEEESG_SJ_SK_mSL_SN_bEUlT_E_NS1_11comp_targetILNS1_3genE10ELNS1_11target_archE1201ELNS1_3gpuE5ELNS1_3repE0EEENS1_30default_config_static_selectorELNS0_4arch9wavefront6targetE1EEEvT1_
	.globl	_ZN7rocprim17ROCPRIM_400000_NS6detail17trampoline_kernelINS0_14default_configENS1_25transform_config_selectorIiLb0EEEZNS1_14transform_implILb0ES3_S5_NS0_18transform_iteratorINS0_17counting_iteratorImlEEZNS1_24adjacent_difference_implIS3_Lb1ELb0EPiSB_N6thrust23THRUST_200600_302600_NS5minusIiEEEE10hipError_tPvRmT2_T3_mT4_P12ihipStream_tbEUlmE_iEESB_NS0_8identityIvEEEESG_SJ_SK_mSL_SN_bEUlT_E_NS1_11comp_targetILNS1_3genE10ELNS1_11target_archE1201ELNS1_3gpuE5ELNS1_3repE0EEENS1_30default_config_static_selectorELNS0_4arch9wavefront6targetE1EEEvT1_
	.p2align	8
	.type	_ZN7rocprim17ROCPRIM_400000_NS6detail17trampoline_kernelINS0_14default_configENS1_25transform_config_selectorIiLb0EEEZNS1_14transform_implILb0ES3_S5_NS0_18transform_iteratorINS0_17counting_iteratorImlEEZNS1_24adjacent_difference_implIS3_Lb1ELb0EPiSB_N6thrust23THRUST_200600_302600_NS5minusIiEEEE10hipError_tPvRmT2_T3_mT4_P12ihipStream_tbEUlmE_iEESB_NS0_8identityIvEEEESG_SJ_SK_mSL_SN_bEUlT_E_NS1_11comp_targetILNS1_3genE10ELNS1_11target_archE1201ELNS1_3gpuE5ELNS1_3repE0EEENS1_30default_config_static_selectorELNS0_4arch9wavefront6targetE1EEEvT1_,@function
_ZN7rocprim17ROCPRIM_400000_NS6detail17trampoline_kernelINS0_14default_configENS1_25transform_config_selectorIiLb0EEEZNS1_14transform_implILb0ES3_S5_NS0_18transform_iteratorINS0_17counting_iteratorImlEEZNS1_24adjacent_difference_implIS3_Lb1ELb0EPiSB_N6thrust23THRUST_200600_302600_NS5minusIiEEEE10hipError_tPvRmT2_T3_mT4_P12ihipStream_tbEUlmE_iEESB_NS0_8identityIvEEEESG_SJ_SK_mSL_SN_bEUlT_E_NS1_11comp_targetILNS1_3genE10ELNS1_11target_archE1201ELNS1_3gpuE5ELNS1_3repE0EEENS1_30default_config_static_selectorELNS0_4arch9wavefront6targetE1EEEvT1_: ; @_ZN7rocprim17ROCPRIM_400000_NS6detail17trampoline_kernelINS0_14default_configENS1_25transform_config_selectorIiLb0EEEZNS1_14transform_implILb0ES3_S5_NS0_18transform_iteratorINS0_17counting_iteratorImlEEZNS1_24adjacent_difference_implIS3_Lb1ELb0EPiSB_N6thrust23THRUST_200600_302600_NS5minusIiEEEE10hipError_tPvRmT2_T3_mT4_P12ihipStream_tbEUlmE_iEESB_NS0_8identityIvEEEESG_SJ_SK_mSL_SN_bEUlT_E_NS1_11comp_targetILNS1_3genE10ELNS1_11target_archE1201ELNS1_3gpuE5ELNS1_3repE0EEENS1_30default_config_static_selectorELNS0_4arch9wavefront6targetE1EEEvT1_
; %bb.0:
	.section	.rodata,"a",@progbits
	.p2align	6, 0x0
	.amdhsa_kernel _ZN7rocprim17ROCPRIM_400000_NS6detail17trampoline_kernelINS0_14default_configENS1_25transform_config_selectorIiLb0EEEZNS1_14transform_implILb0ES3_S5_NS0_18transform_iteratorINS0_17counting_iteratorImlEEZNS1_24adjacent_difference_implIS3_Lb1ELb0EPiSB_N6thrust23THRUST_200600_302600_NS5minusIiEEEE10hipError_tPvRmT2_T3_mT4_P12ihipStream_tbEUlmE_iEESB_NS0_8identityIvEEEESG_SJ_SK_mSL_SN_bEUlT_E_NS1_11comp_targetILNS1_3genE10ELNS1_11target_archE1201ELNS1_3gpuE5ELNS1_3repE0EEENS1_30default_config_static_selectorELNS0_4arch9wavefront6targetE1EEEvT1_
		.amdhsa_group_segment_fixed_size 0
		.amdhsa_private_segment_fixed_size 0
		.amdhsa_kernarg_size 56
		.amdhsa_user_sgpr_count 2
		.amdhsa_user_sgpr_dispatch_ptr 0
		.amdhsa_user_sgpr_queue_ptr 0
		.amdhsa_user_sgpr_kernarg_segment_ptr 1
		.amdhsa_user_sgpr_dispatch_id 0
		.amdhsa_user_sgpr_kernarg_preload_length 0
		.amdhsa_user_sgpr_kernarg_preload_offset 0
		.amdhsa_user_sgpr_private_segment_size 0
		.amdhsa_uses_dynamic_stack 0
		.amdhsa_enable_private_segment 0
		.amdhsa_system_sgpr_workgroup_id_x 1
		.amdhsa_system_sgpr_workgroup_id_y 0
		.amdhsa_system_sgpr_workgroup_id_z 0
		.amdhsa_system_sgpr_workgroup_info 0
		.amdhsa_system_vgpr_workitem_id 0
		.amdhsa_next_free_vgpr 1
		.amdhsa_next_free_sgpr 0
		.amdhsa_accum_offset 4
		.amdhsa_reserve_vcc 0
		.amdhsa_float_round_mode_32 0
		.amdhsa_float_round_mode_16_64 0
		.amdhsa_float_denorm_mode_32 3
		.amdhsa_float_denorm_mode_16_64 3
		.amdhsa_dx10_clamp 1
		.amdhsa_ieee_mode 1
		.amdhsa_fp16_overflow 0
		.amdhsa_tg_split 0
		.amdhsa_exception_fp_ieee_invalid_op 0
		.amdhsa_exception_fp_denorm_src 0
		.amdhsa_exception_fp_ieee_div_zero 0
		.amdhsa_exception_fp_ieee_overflow 0
		.amdhsa_exception_fp_ieee_underflow 0
		.amdhsa_exception_fp_ieee_inexact 0
		.amdhsa_exception_int_div_zero 0
	.end_amdhsa_kernel
	.section	.text._ZN7rocprim17ROCPRIM_400000_NS6detail17trampoline_kernelINS0_14default_configENS1_25transform_config_selectorIiLb0EEEZNS1_14transform_implILb0ES3_S5_NS0_18transform_iteratorINS0_17counting_iteratorImlEEZNS1_24adjacent_difference_implIS3_Lb1ELb0EPiSB_N6thrust23THRUST_200600_302600_NS5minusIiEEEE10hipError_tPvRmT2_T3_mT4_P12ihipStream_tbEUlmE_iEESB_NS0_8identityIvEEEESG_SJ_SK_mSL_SN_bEUlT_E_NS1_11comp_targetILNS1_3genE10ELNS1_11target_archE1201ELNS1_3gpuE5ELNS1_3repE0EEENS1_30default_config_static_selectorELNS0_4arch9wavefront6targetE1EEEvT1_,"axG",@progbits,_ZN7rocprim17ROCPRIM_400000_NS6detail17trampoline_kernelINS0_14default_configENS1_25transform_config_selectorIiLb0EEEZNS1_14transform_implILb0ES3_S5_NS0_18transform_iteratorINS0_17counting_iteratorImlEEZNS1_24adjacent_difference_implIS3_Lb1ELb0EPiSB_N6thrust23THRUST_200600_302600_NS5minusIiEEEE10hipError_tPvRmT2_T3_mT4_P12ihipStream_tbEUlmE_iEESB_NS0_8identityIvEEEESG_SJ_SK_mSL_SN_bEUlT_E_NS1_11comp_targetILNS1_3genE10ELNS1_11target_archE1201ELNS1_3gpuE5ELNS1_3repE0EEENS1_30default_config_static_selectorELNS0_4arch9wavefront6targetE1EEEvT1_,comdat
.Lfunc_end115:
	.size	_ZN7rocprim17ROCPRIM_400000_NS6detail17trampoline_kernelINS0_14default_configENS1_25transform_config_selectorIiLb0EEEZNS1_14transform_implILb0ES3_S5_NS0_18transform_iteratorINS0_17counting_iteratorImlEEZNS1_24adjacent_difference_implIS3_Lb1ELb0EPiSB_N6thrust23THRUST_200600_302600_NS5minusIiEEEE10hipError_tPvRmT2_T3_mT4_P12ihipStream_tbEUlmE_iEESB_NS0_8identityIvEEEESG_SJ_SK_mSL_SN_bEUlT_E_NS1_11comp_targetILNS1_3genE10ELNS1_11target_archE1201ELNS1_3gpuE5ELNS1_3repE0EEENS1_30default_config_static_selectorELNS0_4arch9wavefront6targetE1EEEvT1_, .Lfunc_end115-_ZN7rocprim17ROCPRIM_400000_NS6detail17trampoline_kernelINS0_14default_configENS1_25transform_config_selectorIiLb0EEEZNS1_14transform_implILb0ES3_S5_NS0_18transform_iteratorINS0_17counting_iteratorImlEEZNS1_24adjacent_difference_implIS3_Lb1ELb0EPiSB_N6thrust23THRUST_200600_302600_NS5minusIiEEEE10hipError_tPvRmT2_T3_mT4_P12ihipStream_tbEUlmE_iEESB_NS0_8identityIvEEEESG_SJ_SK_mSL_SN_bEUlT_E_NS1_11comp_targetILNS1_3genE10ELNS1_11target_archE1201ELNS1_3gpuE5ELNS1_3repE0EEENS1_30default_config_static_selectorELNS0_4arch9wavefront6targetE1EEEvT1_
                                        ; -- End function
	.section	.AMDGPU.csdata,"",@progbits
; Kernel info:
; codeLenInByte = 0
; NumSgprs: 6
; NumVgprs: 0
; NumAgprs: 0
; TotalNumVgprs: 0
; ScratchSize: 0
; MemoryBound: 0
; FloatMode: 240
; IeeeMode: 1
; LDSByteSize: 0 bytes/workgroup (compile time only)
; SGPRBlocks: 0
; VGPRBlocks: 0
; NumSGPRsForWavesPerEU: 6
; NumVGPRsForWavesPerEU: 1
; AccumOffset: 4
; Occupancy: 8
; WaveLimiterHint : 0
; COMPUTE_PGM_RSRC2:SCRATCH_EN: 0
; COMPUTE_PGM_RSRC2:USER_SGPR: 2
; COMPUTE_PGM_RSRC2:TRAP_HANDLER: 0
; COMPUTE_PGM_RSRC2:TGID_X_EN: 1
; COMPUTE_PGM_RSRC2:TGID_Y_EN: 0
; COMPUTE_PGM_RSRC2:TGID_Z_EN: 0
; COMPUTE_PGM_RSRC2:TIDIG_COMP_CNT: 0
; COMPUTE_PGM_RSRC3_GFX90A:ACCUM_OFFSET: 0
; COMPUTE_PGM_RSRC3_GFX90A:TG_SPLIT: 0
	.section	.text._ZN7rocprim17ROCPRIM_400000_NS6detail17trampoline_kernelINS0_14default_configENS1_25transform_config_selectorIiLb0EEEZNS1_14transform_implILb0ES3_S5_NS0_18transform_iteratorINS0_17counting_iteratorImlEEZNS1_24adjacent_difference_implIS3_Lb1ELb0EPiSB_N6thrust23THRUST_200600_302600_NS5minusIiEEEE10hipError_tPvRmT2_T3_mT4_P12ihipStream_tbEUlmE_iEESB_NS0_8identityIvEEEESG_SJ_SK_mSL_SN_bEUlT_E_NS1_11comp_targetILNS1_3genE10ELNS1_11target_archE1200ELNS1_3gpuE4ELNS1_3repE0EEENS1_30default_config_static_selectorELNS0_4arch9wavefront6targetE1EEEvT1_,"axG",@progbits,_ZN7rocprim17ROCPRIM_400000_NS6detail17trampoline_kernelINS0_14default_configENS1_25transform_config_selectorIiLb0EEEZNS1_14transform_implILb0ES3_S5_NS0_18transform_iteratorINS0_17counting_iteratorImlEEZNS1_24adjacent_difference_implIS3_Lb1ELb0EPiSB_N6thrust23THRUST_200600_302600_NS5minusIiEEEE10hipError_tPvRmT2_T3_mT4_P12ihipStream_tbEUlmE_iEESB_NS0_8identityIvEEEESG_SJ_SK_mSL_SN_bEUlT_E_NS1_11comp_targetILNS1_3genE10ELNS1_11target_archE1200ELNS1_3gpuE4ELNS1_3repE0EEENS1_30default_config_static_selectorELNS0_4arch9wavefront6targetE1EEEvT1_,comdat
	.protected	_ZN7rocprim17ROCPRIM_400000_NS6detail17trampoline_kernelINS0_14default_configENS1_25transform_config_selectorIiLb0EEEZNS1_14transform_implILb0ES3_S5_NS0_18transform_iteratorINS0_17counting_iteratorImlEEZNS1_24adjacent_difference_implIS3_Lb1ELb0EPiSB_N6thrust23THRUST_200600_302600_NS5minusIiEEEE10hipError_tPvRmT2_T3_mT4_P12ihipStream_tbEUlmE_iEESB_NS0_8identityIvEEEESG_SJ_SK_mSL_SN_bEUlT_E_NS1_11comp_targetILNS1_3genE10ELNS1_11target_archE1200ELNS1_3gpuE4ELNS1_3repE0EEENS1_30default_config_static_selectorELNS0_4arch9wavefront6targetE1EEEvT1_ ; -- Begin function _ZN7rocprim17ROCPRIM_400000_NS6detail17trampoline_kernelINS0_14default_configENS1_25transform_config_selectorIiLb0EEEZNS1_14transform_implILb0ES3_S5_NS0_18transform_iteratorINS0_17counting_iteratorImlEEZNS1_24adjacent_difference_implIS3_Lb1ELb0EPiSB_N6thrust23THRUST_200600_302600_NS5minusIiEEEE10hipError_tPvRmT2_T3_mT4_P12ihipStream_tbEUlmE_iEESB_NS0_8identityIvEEEESG_SJ_SK_mSL_SN_bEUlT_E_NS1_11comp_targetILNS1_3genE10ELNS1_11target_archE1200ELNS1_3gpuE4ELNS1_3repE0EEENS1_30default_config_static_selectorELNS0_4arch9wavefront6targetE1EEEvT1_
	.globl	_ZN7rocprim17ROCPRIM_400000_NS6detail17trampoline_kernelINS0_14default_configENS1_25transform_config_selectorIiLb0EEEZNS1_14transform_implILb0ES3_S5_NS0_18transform_iteratorINS0_17counting_iteratorImlEEZNS1_24adjacent_difference_implIS3_Lb1ELb0EPiSB_N6thrust23THRUST_200600_302600_NS5minusIiEEEE10hipError_tPvRmT2_T3_mT4_P12ihipStream_tbEUlmE_iEESB_NS0_8identityIvEEEESG_SJ_SK_mSL_SN_bEUlT_E_NS1_11comp_targetILNS1_3genE10ELNS1_11target_archE1200ELNS1_3gpuE4ELNS1_3repE0EEENS1_30default_config_static_selectorELNS0_4arch9wavefront6targetE1EEEvT1_
	.p2align	8
	.type	_ZN7rocprim17ROCPRIM_400000_NS6detail17trampoline_kernelINS0_14default_configENS1_25transform_config_selectorIiLb0EEEZNS1_14transform_implILb0ES3_S5_NS0_18transform_iteratorINS0_17counting_iteratorImlEEZNS1_24adjacent_difference_implIS3_Lb1ELb0EPiSB_N6thrust23THRUST_200600_302600_NS5minusIiEEEE10hipError_tPvRmT2_T3_mT4_P12ihipStream_tbEUlmE_iEESB_NS0_8identityIvEEEESG_SJ_SK_mSL_SN_bEUlT_E_NS1_11comp_targetILNS1_3genE10ELNS1_11target_archE1200ELNS1_3gpuE4ELNS1_3repE0EEENS1_30default_config_static_selectorELNS0_4arch9wavefront6targetE1EEEvT1_,@function
_ZN7rocprim17ROCPRIM_400000_NS6detail17trampoline_kernelINS0_14default_configENS1_25transform_config_selectorIiLb0EEEZNS1_14transform_implILb0ES3_S5_NS0_18transform_iteratorINS0_17counting_iteratorImlEEZNS1_24adjacent_difference_implIS3_Lb1ELb0EPiSB_N6thrust23THRUST_200600_302600_NS5minusIiEEEE10hipError_tPvRmT2_T3_mT4_P12ihipStream_tbEUlmE_iEESB_NS0_8identityIvEEEESG_SJ_SK_mSL_SN_bEUlT_E_NS1_11comp_targetILNS1_3genE10ELNS1_11target_archE1200ELNS1_3gpuE4ELNS1_3repE0EEENS1_30default_config_static_selectorELNS0_4arch9wavefront6targetE1EEEvT1_: ; @_ZN7rocprim17ROCPRIM_400000_NS6detail17trampoline_kernelINS0_14default_configENS1_25transform_config_selectorIiLb0EEEZNS1_14transform_implILb0ES3_S5_NS0_18transform_iteratorINS0_17counting_iteratorImlEEZNS1_24adjacent_difference_implIS3_Lb1ELb0EPiSB_N6thrust23THRUST_200600_302600_NS5minusIiEEEE10hipError_tPvRmT2_T3_mT4_P12ihipStream_tbEUlmE_iEESB_NS0_8identityIvEEEESG_SJ_SK_mSL_SN_bEUlT_E_NS1_11comp_targetILNS1_3genE10ELNS1_11target_archE1200ELNS1_3gpuE4ELNS1_3repE0EEENS1_30default_config_static_selectorELNS0_4arch9wavefront6targetE1EEEvT1_
; %bb.0:
	.section	.rodata,"a",@progbits
	.p2align	6, 0x0
	.amdhsa_kernel _ZN7rocprim17ROCPRIM_400000_NS6detail17trampoline_kernelINS0_14default_configENS1_25transform_config_selectorIiLb0EEEZNS1_14transform_implILb0ES3_S5_NS0_18transform_iteratorINS0_17counting_iteratorImlEEZNS1_24adjacent_difference_implIS3_Lb1ELb0EPiSB_N6thrust23THRUST_200600_302600_NS5minusIiEEEE10hipError_tPvRmT2_T3_mT4_P12ihipStream_tbEUlmE_iEESB_NS0_8identityIvEEEESG_SJ_SK_mSL_SN_bEUlT_E_NS1_11comp_targetILNS1_3genE10ELNS1_11target_archE1200ELNS1_3gpuE4ELNS1_3repE0EEENS1_30default_config_static_selectorELNS0_4arch9wavefront6targetE1EEEvT1_
		.amdhsa_group_segment_fixed_size 0
		.amdhsa_private_segment_fixed_size 0
		.amdhsa_kernarg_size 56
		.amdhsa_user_sgpr_count 2
		.amdhsa_user_sgpr_dispatch_ptr 0
		.amdhsa_user_sgpr_queue_ptr 0
		.amdhsa_user_sgpr_kernarg_segment_ptr 1
		.amdhsa_user_sgpr_dispatch_id 0
		.amdhsa_user_sgpr_kernarg_preload_length 0
		.amdhsa_user_sgpr_kernarg_preload_offset 0
		.amdhsa_user_sgpr_private_segment_size 0
		.amdhsa_uses_dynamic_stack 0
		.amdhsa_enable_private_segment 0
		.amdhsa_system_sgpr_workgroup_id_x 1
		.amdhsa_system_sgpr_workgroup_id_y 0
		.amdhsa_system_sgpr_workgroup_id_z 0
		.amdhsa_system_sgpr_workgroup_info 0
		.amdhsa_system_vgpr_workitem_id 0
		.amdhsa_next_free_vgpr 1
		.amdhsa_next_free_sgpr 0
		.amdhsa_accum_offset 4
		.amdhsa_reserve_vcc 0
		.amdhsa_float_round_mode_32 0
		.amdhsa_float_round_mode_16_64 0
		.amdhsa_float_denorm_mode_32 3
		.amdhsa_float_denorm_mode_16_64 3
		.amdhsa_dx10_clamp 1
		.amdhsa_ieee_mode 1
		.amdhsa_fp16_overflow 0
		.amdhsa_tg_split 0
		.amdhsa_exception_fp_ieee_invalid_op 0
		.amdhsa_exception_fp_denorm_src 0
		.amdhsa_exception_fp_ieee_div_zero 0
		.amdhsa_exception_fp_ieee_overflow 0
		.amdhsa_exception_fp_ieee_underflow 0
		.amdhsa_exception_fp_ieee_inexact 0
		.amdhsa_exception_int_div_zero 0
	.end_amdhsa_kernel
	.section	.text._ZN7rocprim17ROCPRIM_400000_NS6detail17trampoline_kernelINS0_14default_configENS1_25transform_config_selectorIiLb0EEEZNS1_14transform_implILb0ES3_S5_NS0_18transform_iteratorINS0_17counting_iteratorImlEEZNS1_24adjacent_difference_implIS3_Lb1ELb0EPiSB_N6thrust23THRUST_200600_302600_NS5minusIiEEEE10hipError_tPvRmT2_T3_mT4_P12ihipStream_tbEUlmE_iEESB_NS0_8identityIvEEEESG_SJ_SK_mSL_SN_bEUlT_E_NS1_11comp_targetILNS1_3genE10ELNS1_11target_archE1200ELNS1_3gpuE4ELNS1_3repE0EEENS1_30default_config_static_selectorELNS0_4arch9wavefront6targetE1EEEvT1_,"axG",@progbits,_ZN7rocprim17ROCPRIM_400000_NS6detail17trampoline_kernelINS0_14default_configENS1_25transform_config_selectorIiLb0EEEZNS1_14transform_implILb0ES3_S5_NS0_18transform_iteratorINS0_17counting_iteratorImlEEZNS1_24adjacent_difference_implIS3_Lb1ELb0EPiSB_N6thrust23THRUST_200600_302600_NS5minusIiEEEE10hipError_tPvRmT2_T3_mT4_P12ihipStream_tbEUlmE_iEESB_NS0_8identityIvEEEESG_SJ_SK_mSL_SN_bEUlT_E_NS1_11comp_targetILNS1_3genE10ELNS1_11target_archE1200ELNS1_3gpuE4ELNS1_3repE0EEENS1_30default_config_static_selectorELNS0_4arch9wavefront6targetE1EEEvT1_,comdat
.Lfunc_end116:
	.size	_ZN7rocprim17ROCPRIM_400000_NS6detail17trampoline_kernelINS0_14default_configENS1_25transform_config_selectorIiLb0EEEZNS1_14transform_implILb0ES3_S5_NS0_18transform_iteratorINS0_17counting_iteratorImlEEZNS1_24adjacent_difference_implIS3_Lb1ELb0EPiSB_N6thrust23THRUST_200600_302600_NS5minusIiEEEE10hipError_tPvRmT2_T3_mT4_P12ihipStream_tbEUlmE_iEESB_NS0_8identityIvEEEESG_SJ_SK_mSL_SN_bEUlT_E_NS1_11comp_targetILNS1_3genE10ELNS1_11target_archE1200ELNS1_3gpuE4ELNS1_3repE0EEENS1_30default_config_static_selectorELNS0_4arch9wavefront6targetE1EEEvT1_, .Lfunc_end116-_ZN7rocprim17ROCPRIM_400000_NS6detail17trampoline_kernelINS0_14default_configENS1_25transform_config_selectorIiLb0EEEZNS1_14transform_implILb0ES3_S5_NS0_18transform_iteratorINS0_17counting_iteratorImlEEZNS1_24adjacent_difference_implIS3_Lb1ELb0EPiSB_N6thrust23THRUST_200600_302600_NS5minusIiEEEE10hipError_tPvRmT2_T3_mT4_P12ihipStream_tbEUlmE_iEESB_NS0_8identityIvEEEESG_SJ_SK_mSL_SN_bEUlT_E_NS1_11comp_targetILNS1_3genE10ELNS1_11target_archE1200ELNS1_3gpuE4ELNS1_3repE0EEENS1_30default_config_static_selectorELNS0_4arch9wavefront6targetE1EEEvT1_
                                        ; -- End function
	.section	.AMDGPU.csdata,"",@progbits
; Kernel info:
; codeLenInByte = 0
; NumSgprs: 6
; NumVgprs: 0
; NumAgprs: 0
; TotalNumVgprs: 0
; ScratchSize: 0
; MemoryBound: 0
; FloatMode: 240
; IeeeMode: 1
; LDSByteSize: 0 bytes/workgroup (compile time only)
; SGPRBlocks: 0
; VGPRBlocks: 0
; NumSGPRsForWavesPerEU: 6
; NumVGPRsForWavesPerEU: 1
; AccumOffset: 4
; Occupancy: 8
; WaveLimiterHint : 0
; COMPUTE_PGM_RSRC2:SCRATCH_EN: 0
; COMPUTE_PGM_RSRC2:USER_SGPR: 2
; COMPUTE_PGM_RSRC2:TRAP_HANDLER: 0
; COMPUTE_PGM_RSRC2:TGID_X_EN: 1
; COMPUTE_PGM_RSRC2:TGID_Y_EN: 0
; COMPUTE_PGM_RSRC2:TGID_Z_EN: 0
; COMPUTE_PGM_RSRC2:TIDIG_COMP_CNT: 0
; COMPUTE_PGM_RSRC3_GFX90A:ACCUM_OFFSET: 0
; COMPUTE_PGM_RSRC3_GFX90A:TG_SPLIT: 0
	.section	.text._ZN7rocprim17ROCPRIM_400000_NS6detail17trampoline_kernelINS0_14default_configENS1_25transform_config_selectorIiLb0EEEZNS1_14transform_implILb0ES3_S5_NS0_18transform_iteratorINS0_17counting_iteratorImlEEZNS1_24adjacent_difference_implIS3_Lb1ELb0EPiSB_N6thrust23THRUST_200600_302600_NS5minusIiEEEE10hipError_tPvRmT2_T3_mT4_P12ihipStream_tbEUlmE_iEESB_NS0_8identityIvEEEESG_SJ_SK_mSL_SN_bEUlT_E_NS1_11comp_targetILNS1_3genE9ELNS1_11target_archE1100ELNS1_3gpuE3ELNS1_3repE0EEENS1_30default_config_static_selectorELNS0_4arch9wavefront6targetE1EEEvT1_,"axG",@progbits,_ZN7rocprim17ROCPRIM_400000_NS6detail17trampoline_kernelINS0_14default_configENS1_25transform_config_selectorIiLb0EEEZNS1_14transform_implILb0ES3_S5_NS0_18transform_iteratorINS0_17counting_iteratorImlEEZNS1_24adjacent_difference_implIS3_Lb1ELb0EPiSB_N6thrust23THRUST_200600_302600_NS5minusIiEEEE10hipError_tPvRmT2_T3_mT4_P12ihipStream_tbEUlmE_iEESB_NS0_8identityIvEEEESG_SJ_SK_mSL_SN_bEUlT_E_NS1_11comp_targetILNS1_3genE9ELNS1_11target_archE1100ELNS1_3gpuE3ELNS1_3repE0EEENS1_30default_config_static_selectorELNS0_4arch9wavefront6targetE1EEEvT1_,comdat
	.protected	_ZN7rocprim17ROCPRIM_400000_NS6detail17trampoline_kernelINS0_14default_configENS1_25transform_config_selectorIiLb0EEEZNS1_14transform_implILb0ES3_S5_NS0_18transform_iteratorINS0_17counting_iteratorImlEEZNS1_24adjacent_difference_implIS3_Lb1ELb0EPiSB_N6thrust23THRUST_200600_302600_NS5minusIiEEEE10hipError_tPvRmT2_T3_mT4_P12ihipStream_tbEUlmE_iEESB_NS0_8identityIvEEEESG_SJ_SK_mSL_SN_bEUlT_E_NS1_11comp_targetILNS1_3genE9ELNS1_11target_archE1100ELNS1_3gpuE3ELNS1_3repE0EEENS1_30default_config_static_selectorELNS0_4arch9wavefront6targetE1EEEvT1_ ; -- Begin function _ZN7rocprim17ROCPRIM_400000_NS6detail17trampoline_kernelINS0_14default_configENS1_25transform_config_selectorIiLb0EEEZNS1_14transform_implILb0ES3_S5_NS0_18transform_iteratorINS0_17counting_iteratorImlEEZNS1_24adjacent_difference_implIS3_Lb1ELb0EPiSB_N6thrust23THRUST_200600_302600_NS5minusIiEEEE10hipError_tPvRmT2_T3_mT4_P12ihipStream_tbEUlmE_iEESB_NS0_8identityIvEEEESG_SJ_SK_mSL_SN_bEUlT_E_NS1_11comp_targetILNS1_3genE9ELNS1_11target_archE1100ELNS1_3gpuE3ELNS1_3repE0EEENS1_30default_config_static_selectorELNS0_4arch9wavefront6targetE1EEEvT1_
	.globl	_ZN7rocprim17ROCPRIM_400000_NS6detail17trampoline_kernelINS0_14default_configENS1_25transform_config_selectorIiLb0EEEZNS1_14transform_implILb0ES3_S5_NS0_18transform_iteratorINS0_17counting_iteratorImlEEZNS1_24adjacent_difference_implIS3_Lb1ELb0EPiSB_N6thrust23THRUST_200600_302600_NS5minusIiEEEE10hipError_tPvRmT2_T3_mT4_P12ihipStream_tbEUlmE_iEESB_NS0_8identityIvEEEESG_SJ_SK_mSL_SN_bEUlT_E_NS1_11comp_targetILNS1_3genE9ELNS1_11target_archE1100ELNS1_3gpuE3ELNS1_3repE0EEENS1_30default_config_static_selectorELNS0_4arch9wavefront6targetE1EEEvT1_
	.p2align	8
	.type	_ZN7rocprim17ROCPRIM_400000_NS6detail17trampoline_kernelINS0_14default_configENS1_25transform_config_selectorIiLb0EEEZNS1_14transform_implILb0ES3_S5_NS0_18transform_iteratorINS0_17counting_iteratorImlEEZNS1_24adjacent_difference_implIS3_Lb1ELb0EPiSB_N6thrust23THRUST_200600_302600_NS5minusIiEEEE10hipError_tPvRmT2_T3_mT4_P12ihipStream_tbEUlmE_iEESB_NS0_8identityIvEEEESG_SJ_SK_mSL_SN_bEUlT_E_NS1_11comp_targetILNS1_3genE9ELNS1_11target_archE1100ELNS1_3gpuE3ELNS1_3repE0EEENS1_30default_config_static_selectorELNS0_4arch9wavefront6targetE1EEEvT1_,@function
_ZN7rocprim17ROCPRIM_400000_NS6detail17trampoline_kernelINS0_14default_configENS1_25transform_config_selectorIiLb0EEEZNS1_14transform_implILb0ES3_S5_NS0_18transform_iteratorINS0_17counting_iteratorImlEEZNS1_24adjacent_difference_implIS3_Lb1ELb0EPiSB_N6thrust23THRUST_200600_302600_NS5minusIiEEEE10hipError_tPvRmT2_T3_mT4_P12ihipStream_tbEUlmE_iEESB_NS0_8identityIvEEEESG_SJ_SK_mSL_SN_bEUlT_E_NS1_11comp_targetILNS1_3genE9ELNS1_11target_archE1100ELNS1_3gpuE3ELNS1_3repE0EEENS1_30default_config_static_selectorELNS0_4arch9wavefront6targetE1EEEvT1_: ; @_ZN7rocprim17ROCPRIM_400000_NS6detail17trampoline_kernelINS0_14default_configENS1_25transform_config_selectorIiLb0EEEZNS1_14transform_implILb0ES3_S5_NS0_18transform_iteratorINS0_17counting_iteratorImlEEZNS1_24adjacent_difference_implIS3_Lb1ELb0EPiSB_N6thrust23THRUST_200600_302600_NS5minusIiEEEE10hipError_tPvRmT2_T3_mT4_P12ihipStream_tbEUlmE_iEESB_NS0_8identityIvEEEESG_SJ_SK_mSL_SN_bEUlT_E_NS1_11comp_targetILNS1_3genE9ELNS1_11target_archE1100ELNS1_3gpuE3ELNS1_3repE0EEENS1_30default_config_static_selectorELNS0_4arch9wavefront6targetE1EEEvT1_
; %bb.0:
	.section	.rodata,"a",@progbits
	.p2align	6, 0x0
	.amdhsa_kernel _ZN7rocprim17ROCPRIM_400000_NS6detail17trampoline_kernelINS0_14default_configENS1_25transform_config_selectorIiLb0EEEZNS1_14transform_implILb0ES3_S5_NS0_18transform_iteratorINS0_17counting_iteratorImlEEZNS1_24adjacent_difference_implIS3_Lb1ELb0EPiSB_N6thrust23THRUST_200600_302600_NS5minusIiEEEE10hipError_tPvRmT2_T3_mT4_P12ihipStream_tbEUlmE_iEESB_NS0_8identityIvEEEESG_SJ_SK_mSL_SN_bEUlT_E_NS1_11comp_targetILNS1_3genE9ELNS1_11target_archE1100ELNS1_3gpuE3ELNS1_3repE0EEENS1_30default_config_static_selectorELNS0_4arch9wavefront6targetE1EEEvT1_
		.amdhsa_group_segment_fixed_size 0
		.amdhsa_private_segment_fixed_size 0
		.amdhsa_kernarg_size 56
		.amdhsa_user_sgpr_count 2
		.amdhsa_user_sgpr_dispatch_ptr 0
		.amdhsa_user_sgpr_queue_ptr 0
		.amdhsa_user_sgpr_kernarg_segment_ptr 1
		.amdhsa_user_sgpr_dispatch_id 0
		.amdhsa_user_sgpr_kernarg_preload_length 0
		.amdhsa_user_sgpr_kernarg_preload_offset 0
		.amdhsa_user_sgpr_private_segment_size 0
		.amdhsa_uses_dynamic_stack 0
		.amdhsa_enable_private_segment 0
		.amdhsa_system_sgpr_workgroup_id_x 1
		.amdhsa_system_sgpr_workgroup_id_y 0
		.amdhsa_system_sgpr_workgroup_id_z 0
		.amdhsa_system_sgpr_workgroup_info 0
		.amdhsa_system_vgpr_workitem_id 0
		.amdhsa_next_free_vgpr 1
		.amdhsa_next_free_sgpr 0
		.amdhsa_accum_offset 4
		.amdhsa_reserve_vcc 0
		.amdhsa_float_round_mode_32 0
		.amdhsa_float_round_mode_16_64 0
		.amdhsa_float_denorm_mode_32 3
		.amdhsa_float_denorm_mode_16_64 3
		.amdhsa_dx10_clamp 1
		.amdhsa_ieee_mode 1
		.amdhsa_fp16_overflow 0
		.amdhsa_tg_split 0
		.amdhsa_exception_fp_ieee_invalid_op 0
		.amdhsa_exception_fp_denorm_src 0
		.amdhsa_exception_fp_ieee_div_zero 0
		.amdhsa_exception_fp_ieee_overflow 0
		.amdhsa_exception_fp_ieee_underflow 0
		.amdhsa_exception_fp_ieee_inexact 0
		.amdhsa_exception_int_div_zero 0
	.end_amdhsa_kernel
	.section	.text._ZN7rocprim17ROCPRIM_400000_NS6detail17trampoline_kernelINS0_14default_configENS1_25transform_config_selectorIiLb0EEEZNS1_14transform_implILb0ES3_S5_NS0_18transform_iteratorINS0_17counting_iteratorImlEEZNS1_24adjacent_difference_implIS3_Lb1ELb0EPiSB_N6thrust23THRUST_200600_302600_NS5minusIiEEEE10hipError_tPvRmT2_T3_mT4_P12ihipStream_tbEUlmE_iEESB_NS0_8identityIvEEEESG_SJ_SK_mSL_SN_bEUlT_E_NS1_11comp_targetILNS1_3genE9ELNS1_11target_archE1100ELNS1_3gpuE3ELNS1_3repE0EEENS1_30default_config_static_selectorELNS0_4arch9wavefront6targetE1EEEvT1_,"axG",@progbits,_ZN7rocprim17ROCPRIM_400000_NS6detail17trampoline_kernelINS0_14default_configENS1_25transform_config_selectorIiLb0EEEZNS1_14transform_implILb0ES3_S5_NS0_18transform_iteratorINS0_17counting_iteratorImlEEZNS1_24adjacent_difference_implIS3_Lb1ELb0EPiSB_N6thrust23THRUST_200600_302600_NS5minusIiEEEE10hipError_tPvRmT2_T3_mT4_P12ihipStream_tbEUlmE_iEESB_NS0_8identityIvEEEESG_SJ_SK_mSL_SN_bEUlT_E_NS1_11comp_targetILNS1_3genE9ELNS1_11target_archE1100ELNS1_3gpuE3ELNS1_3repE0EEENS1_30default_config_static_selectorELNS0_4arch9wavefront6targetE1EEEvT1_,comdat
.Lfunc_end117:
	.size	_ZN7rocprim17ROCPRIM_400000_NS6detail17trampoline_kernelINS0_14default_configENS1_25transform_config_selectorIiLb0EEEZNS1_14transform_implILb0ES3_S5_NS0_18transform_iteratorINS0_17counting_iteratorImlEEZNS1_24adjacent_difference_implIS3_Lb1ELb0EPiSB_N6thrust23THRUST_200600_302600_NS5minusIiEEEE10hipError_tPvRmT2_T3_mT4_P12ihipStream_tbEUlmE_iEESB_NS0_8identityIvEEEESG_SJ_SK_mSL_SN_bEUlT_E_NS1_11comp_targetILNS1_3genE9ELNS1_11target_archE1100ELNS1_3gpuE3ELNS1_3repE0EEENS1_30default_config_static_selectorELNS0_4arch9wavefront6targetE1EEEvT1_, .Lfunc_end117-_ZN7rocprim17ROCPRIM_400000_NS6detail17trampoline_kernelINS0_14default_configENS1_25transform_config_selectorIiLb0EEEZNS1_14transform_implILb0ES3_S5_NS0_18transform_iteratorINS0_17counting_iteratorImlEEZNS1_24adjacent_difference_implIS3_Lb1ELb0EPiSB_N6thrust23THRUST_200600_302600_NS5minusIiEEEE10hipError_tPvRmT2_T3_mT4_P12ihipStream_tbEUlmE_iEESB_NS0_8identityIvEEEESG_SJ_SK_mSL_SN_bEUlT_E_NS1_11comp_targetILNS1_3genE9ELNS1_11target_archE1100ELNS1_3gpuE3ELNS1_3repE0EEENS1_30default_config_static_selectorELNS0_4arch9wavefront6targetE1EEEvT1_
                                        ; -- End function
	.section	.AMDGPU.csdata,"",@progbits
; Kernel info:
; codeLenInByte = 0
; NumSgprs: 6
; NumVgprs: 0
; NumAgprs: 0
; TotalNumVgprs: 0
; ScratchSize: 0
; MemoryBound: 0
; FloatMode: 240
; IeeeMode: 1
; LDSByteSize: 0 bytes/workgroup (compile time only)
; SGPRBlocks: 0
; VGPRBlocks: 0
; NumSGPRsForWavesPerEU: 6
; NumVGPRsForWavesPerEU: 1
; AccumOffset: 4
; Occupancy: 8
; WaveLimiterHint : 0
; COMPUTE_PGM_RSRC2:SCRATCH_EN: 0
; COMPUTE_PGM_RSRC2:USER_SGPR: 2
; COMPUTE_PGM_RSRC2:TRAP_HANDLER: 0
; COMPUTE_PGM_RSRC2:TGID_X_EN: 1
; COMPUTE_PGM_RSRC2:TGID_Y_EN: 0
; COMPUTE_PGM_RSRC2:TGID_Z_EN: 0
; COMPUTE_PGM_RSRC2:TIDIG_COMP_CNT: 0
; COMPUTE_PGM_RSRC3_GFX90A:ACCUM_OFFSET: 0
; COMPUTE_PGM_RSRC3_GFX90A:TG_SPLIT: 0
	.section	.text._ZN7rocprim17ROCPRIM_400000_NS6detail17trampoline_kernelINS0_14default_configENS1_25transform_config_selectorIiLb0EEEZNS1_14transform_implILb0ES3_S5_NS0_18transform_iteratorINS0_17counting_iteratorImlEEZNS1_24adjacent_difference_implIS3_Lb1ELb0EPiSB_N6thrust23THRUST_200600_302600_NS5minusIiEEEE10hipError_tPvRmT2_T3_mT4_P12ihipStream_tbEUlmE_iEESB_NS0_8identityIvEEEESG_SJ_SK_mSL_SN_bEUlT_E_NS1_11comp_targetILNS1_3genE8ELNS1_11target_archE1030ELNS1_3gpuE2ELNS1_3repE0EEENS1_30default_config_static_selectorELNS0_4arch9wavefront6targetE1EEEvT1_,"axG",@progbits,_ZN7rocprim17ROCPRIM_400000_NS6detail17trampoline_kernelINS0_14default_configENS1_25transform_config_selectorIiLb0EEEZNS1_14transform_implILb0ES3_S5_NS0_18transform_iteratorINS0_17counting_iteratorImlEEZNS1_24adjacent_difference_implIS3_Lb1ELb0EPiSB_N6thrust23THRUST_200600_302600_NS5minusIiEEEE10hipError_tPvRmT2_T3_mT4_P12ihipStream_tbEUlmE_iEESB_NS0_8identityIvEEEESG_SJ_SK_mSL_SN_bEUlT_E_NS1_11comp_targetILNS1_3genE8ELNS1_11target_archE1030ELNS1_3gpuE2ELNS1_3repE0EEENS1_30default_config_static_selectorELNS0_4arch9wavefront6targetE1EEEvT1_,comdat
	.protected	_ZN7rocprim17ROCPRIM_400000_NS6detail17trampoline_kernelINS0_14default_configENS1_25transform_config_selectorIiLb0EEEZNS1_14transform_implILb0ES3_S5_NS0_18transform_iteratorINS0_17counting_iteratorImlEEZNS1_24adjacent_difference_implIS3_Lb1ELb0EPiSB_N6thrust23THRUST_200600_302600_NS5minusIiEEEE10hipError_tPvRmT2_T3_mT4_P12ihipStream_tbEUlmE_iEESB_NS0_8identityIvEEEESG_SJ_SK_mSL_SN_bEUlT_E_NS1_11comp_targetILNS1_3genE8ELNS1_11target_archE1030ELNS1_3gpuE2ELNS1_3repE0EEENS1_30default_config_static_selectorELNS0_4arch9wavefront6targetE1EEEvT1_ ; -- Begin function _ZN7rocprim17ROCPRIM_400000_NS6detail17trampoline_kernelINS0_14default_configENS1_25transform_config_selectorIiLb0EEEZNS1_14transform_implILb0ES3_S5_NS0_18transform_iteratorINS0_17counting_iteratorImlEEZNS1_24adjacent_difference_implIS3_Lb1ELb0EPiSB_N6thrust23THRUST_200600_302600_NS5minusIiEEEE10hipError_tPvRmT2_T3_mT4_P12ihipStream_tbEUlmE_iEESB_NS0_8identityIvEEEESG_SJ_SK_mSL_SN_bEUlT_E_NS1_11comp_targetILNS1_3genE8ELNS1_11target_archE1030ELNS1_3gpuE2ELNS1_3repE0EEENS1_30default_config_static_selectorELNS0_4arch9wavefront6targetE1EEEvT1_
	.globl	_ZN7rocprim17ROCPRIM_400000_NS6detail17trampoline_kernelINS0_14default_configENS1_25transform_config_selectorIiLb0EEEZNS1_14transform_implILb0ES3_S5_NS0_18transform_iteratorINS0_17counting_iteratorImlEEZNS1_24adjacent_difference_implIS3_Lb1ELb0EPiSB_N6thrust23THRUST_200600_302600_NS5minusIiEEEE10hipError_tPvRmT2_T3_mT4_P12ihipStream_tbEUlmE_iEESB_NS0_8identityIvEEEESG_SJ_SK_mSL_SN_bEUlT_E_NS1_11comp_targetILNS1_3genE8ELNS1_11target_archE1030ELNS1_3gpuE2ELNS1_3repE0EEENS1_30default_config_static_selectorELNS0_4arch9wavefront6targetE1EEEvT1_
	.p2align	8
	.type	_ZN7rocprim17ROCPRIM_400000_NS6detail17trampoline_kernelINS0_14default_configENS1_25transform_config_selectorIiLb0EEEZNS1_14transform_implILb0ES3_S5_NS0_18transform_iteratorINS0_17counting_iteratorImlEEZNS1_24adjacent_difference_implIS3_Lb1ELb0EPiSB_N6thrust23THRUST_200600_302600_NS5minusIiEEEE10hipError_tPvRmT2_T3_mT4_P12ihipStream_tbEUlmE_iEESB_NS0_8identityIvEEEESG_SJ_SK_mSL_SN_bEUlT_E_NS1_11comp_targetILNS1_3genE8ELNS1_11target_archE1030ELNS1_3gpuE2ELNS1_3repE0EEENS1_30default_config_static_selectorELNS0_4arch9wavefront6targetE1EEEvT1_,@function
_ZN7rocprim17ROCPRIM_400000_NS6detail17trampoline_kernelINS0_14default_configENS1_25transform_config_selectorIiLb0EEEZNS1_14transform_implILb0ES3_S5_NS0_18transform_iteratorINS0_17counting_iteratorImlEEZNS1_24adjacent_difference_implIS3_Lb1ELb0EPiSB_N6thrust23THRUST_200600_302600_NS5minusIiEEEE10hipError_tPvRmT2_T3_mT4_P12ihipStream_tbEUlmE_iEESB_NS0_8identityIvEEEESG_SJ_SK_mSL_SN_bEUlT_E_NS1_11comp_targetILNS1_3genE8ELNS1_11target_archE1030ELNS1_3gpuE2ELNS1_3repE0EEENS1_30default_config_static_selectorELNS0_4arch9wavefront6targetE1EEEvT1_: ; @_ZN7rocprim17ROCPRIM_400000_NS6detail17trampoline_kernelINS0_14default_configENS1_25transform_config_selectorIiLb0EEEZNS1_14transform_implILb0ES3_S5_NS0_18transform_iteratorINS0_17counting_iteratorImlEEZNS1_24adjacent_difference_implIS3_Lb1ELb0EPiSB_N6thrust23THRUST_200600_302600_NS5minusIiEEEE10hipError_tPvRmT2_T3_mT4_P12ihipStream_tbEUlmE_iEESB_NS0_8identityIvEEEESG_SJ_SK_mSL_SN_bEUlT_E_NS1_11comp_targetILNS1_3genE8ELNS1_11target_archE1030ELNS1_3gpuE2ELNS1_3repE0EEENS1_30default_config_static_selectorELNS0_4arch9wavefront6targetE1EEEvT1_
; %bb.0:
	.section	.rodata,"a",@progbits
	.p2align	6, 0x0
	.amdhsa_kernel _ZN7rocprim17ROCPRIM_400000_NS6detail17trampoline_kernelINS0_14default_configENS1_25transform_config_selectorIiLb0EEEZNS1_14transform_implILb0ES3_S5_NS0_18transform_iteratorINS0_17counting_iteratorImlEEZNS1_24adjacent_difference_implIS3_Lb1ELb0EPiSB_N6thrust23THRUST_200600_302600_NS5minusIiEEEE10hipError_tPvRmT2_T3_mT4_P12ihipStream_tbEUlmE_iEESB_NS0_8identityIvEEEESG_SJ_SK_mSL_SN_bEUlT_E_NS1_11comp_targetILNS1_3genE8ELNS1_11target_archE1030ELNS1_3gpuE2ELNS1_3repE0EEENS1_30default_config_static_selectorELNS0_4arch9wavefront6targetE1EEEvT1_
		.amdhsa_group_segment_fixed_size 0
		.amdhsa_private_segment_fixed_size 0
		.amdhsa_kernarg_size 56
		.amdhsa_user_sgpr_count 2
		.amdhsa_user_sgpr_dispatch_ptr 0
		.amdhsa_user_sgpr_queue_ptr 0
		.amdhsa_user_sgpr_kernarg_segment_ptr 1
		.amdhsa_user_sgpr_dispatch_id 0
		.amdhsa_user_sgpr_kernarg_preload_length 0
		.amdhsa_user_sgpr_kernarg_preload_offset 0
		.amdhsa_user_sgpr_private_segment_size 0
		.amdhsa_uses_dynamic_stack 0
		.amdhsa_enable_private_segment 0
		.amdhsa_system_sgpr_workgroup_id_x 1
		.amdhsa_system_sgpr_workgroup_id_y 0
		.amdhsa_system_sgpr_workgroup_id_z 0
		.amdhsa_system_sgpr_workgroup_info 0
		.amdhsa_system_vgpr_workitem_id 0
		.amdhsa_next_free_vgpr 1
		.amdhsa_next_free_sgpr 0
		.amdhsa_accum_offset 4
		.amdhsa_reserve_vcc 0
		.amdhsa_float_round_mode_32 0
		.amdhsa_float_round_mode_16_64 0
		.amdhsa_float_denorm_mode_32 3
		.amdhsa_float_denorm_mode_16_64 3
		.amdhsa_dx10_clamp 1
		.amdhsa_ieee_mode 1
		.amdhsa_fp16_overflow 0
		.amdhsa_tg_split 0
		.amdhsa_exception_fp_ieee_invalid_op 0
		.amdhsa_exception_fp_denorm_src 0
		.amdhsa_exception_fp_ieee_div_zero 0
		.amdhsa_exception_fp_ieee_overflow 0
		.amdhsa_exception_fp_ieee_underflow 0
		.amdhsa_exception_fp_ieee_inexact 0
		.amdhsa_exception_int_div_zero 0
	.end_amdhsa_kernel
	.section	.text._ZN7rocprim17ROCPRIM_400000_NS6detail17trampoline_kernelINS0_14default_configENS1_25transform_config_selectorIiLb0EEEZNS1_14transform_implILb0ES3_S5_NS0_18transform_iteratorINS0_17counting_iteratorImlEEZNS1_24adjacent_difference_implIS3_Lb1ELb0EPiSB_N6thrust23THRUST_200600_302600_NS5minusIiEEEE10hipError_tPvRmT2_T3_mT4_P12ihipStream_tbEUlmE_iEESB_NS0_8identityIvEEEESG_SJ_SK_mSL_SN_bEUlT_E_NS1_11comp_targetILNS1_3genE8ELNS1_11target_archE1030ELNS1_3gpuE2ELNS1_3repE0EEENS1_30default_config_static_selectorELNS0_4arch9wavefront6targetE1EEEvT1_,"axG",@progbits,_ZN7rocprim17ROCPRIM_400000_NS6detail17trampoline_kernelINS0_14default_configENS1_25transform_config_selectorIiLb0EEEZNS1_14transform_implILb0ES3_S5_NS0_18transform_iteratorINS0_17counting_iteratorImlEEZNS1_24adjacent_difference_implIS3_Lb1ELb0EPiSB_N6thrust23THRUST_200600_302600_NS5minusIiEEEE10hipError_tPvRmT2_T3_mT4_P12ihipStream_tbEUlmE_iEESB_NS0_8identityIvEEEESG_SJ_SK_mSL_SN_bEUlT_E_NS1_11comp_targetILNS1_3genE8ELNS1_11target_archE1030ELNS1_3gpuE2ELNS1_3repE0EEENS1_30default_config_static_selectorELNS0_4arch9wavefront6targetE1EEEvT1_,comdat
.Lfunc_end118:
	.size	_ZN7rocprim17ROCPRIM_400000_NS6detail17trampoline_kernelINS0_14default_configENS1_25transform_config_selectorIiLb0EEEZNS1_14transform_implILb0ES3_S5_NS0_18transform_iteratorINS0_17counting_iteratorImlEEZNS1_24adjacent_difference_implIS3_Lb1ELb0EPiSB_N6thrust23THRUST_200600_302600_NS5minusIiEEEE10hipError_tPvRmT2_T3_mT4_P12ihipStream_tbEUlmE_iEESB_NS0_8identityIvEEEESG_SJ_SK_mSL_SN_bEUlT_E_NS1_11comp_targetILNS1_3genE8ELNS1_11target_archE1030ELNS1_3gpuE2ELNS1_3repE0EEENS1_30default_config_static_selectorELNS0_4arch9wavefront6targetE1EEEvT1_, .Lfunc_end118-_ZN7rocprim17ROCPRIM_400000_NS6detail17trampoline_kernelINS0_14default_configENS1_25transform_config_selectorIiLb0EEEZNS1_14transform_implILb0ES3_S5_NS0_18transform_iteratorINS0_17counting_iteratorImlEEZNS1_24adjacent_difference_implIS3_Lb1ELb0EPiSB_N6thrust23THRUST_200600_302600_NS5minusIiEEEE10hipError_tPvRmT2_T3_mT4_P12ihipStream_tbEUlmE_iEESB_NS0_8identityIvEEEESG_SJ_SK_mSL_SN_bEUlT_E_NS1_11comp_targetILNS1_3genE8ELNS1_11target_archE1030ELNS1_3gpuE2ELNS1_3repE0EEENS1_30default_config_static_selectorELNS0_4arch9wavefront6targetE1EEEvT1_
                                        ; -- End function
	.section	.AMDGPU.csdata,"",@progbits
; Kernel info:
; codeLenInByte = 0
; NumSgprs: 6
; NumVgprs: 0
; NumAgprs: 0
; TotalNumVgprs: 0
; ScratchSize: 0
; MemoryBound: 0
; FloatMode: 240
; IeeeMode: 1
; LDSByteSize: 0 bytes/workgroup (compile time only)
; SGPRBlocks: 0
; VGPRBlocks: 0
; NumSGPRsForWavesPerEU: 6
; NumVGPRsForWavesPerEU: 1
; AccumOffset: 4
; Occupancy: 8
; WaveLimiterHint : 0
; COMPUTE_PGM_RSRC2:SCRATCH_EN: 0
; COMPUTE_PGM_RSRC2:USER_SGPR: 2
; COMPUTE_PGM_RSRC2:TRAP_HANDLER: 0
; COMPUTE_PGM_RSRC2:TGID_X_EN: 1
; COMPUTE_PGM_RSRC2:TGID_Y_EN: 0
; COMPUTE_PGM_RSRC2:TGID_Z_EN: 0
; COMPUTE_PGM_RSRC2:TIDIG_COMP_CNT: 0
; COMPUTE_PGM_RSRC3_GFX90A:ACCUM_OFFSET: 0
; COMPUTE_PGM_RSRC3_GFX90A:TG_SPLIT: 0
	.section	.text._ZN7rocprim17ROCPRIM_400000_NS6detail17trampoline_kernelINS0_14default_configENS1_35adjacent_difference_config_selectorILb1EiEEZNS1_24adjacent_difference_implIS3_Lb1ELb0EPiS7_N6thrust23THRUST_200600_302600_NS5minusIiEEEE10hipError_tPvRmT2_T3_mT4_P12ihipStream_tbEUlT_E_NS1_11comp_targetILNS1_3genE0ELNS1_11target_archE4294967295ELNS1_3gpuE0ELNS1_3repE0EEENS1_30default_config_static_selectorELNS0_4arch9wavefront6targetE1EEEvT1_,"axG",@progbits,_ZN7rocprim17ROCPRIM_400000_NS6detail17trampoline_kernelINS0_14default_configENS1_35adjacent_difference_config_selectorILb1EiEEZNS1_24adjacent_difference_implIS3_Lb1ELb0EPiS7_N6thrust23THRUST_200600_302600_NS5minusIiEEEE10hipError_tPvRmT2_T3_mT4_P12ihipStream_tbEUlT_E_NS1_11comp_targetILNS1_3genE0ELNS1_11target_archE4294967295ELNS1_3gpuE0ELNS1_3repE0EEENS1_30default_config_static_selectorELNS0_4arch9wavefront6targetE1EEEvT1_,comdat
	.protected	_ZN7rocprim17ROCPRIM_400000_NS6detail17trampoline_kernelINS0_14default_configENS1_35adjacent_difference_config_selectorILb1EiEEZNS1_24adjacent_difference_implIS3_Lb1ELb0EPiS7_N6thrust23THRUST_200600_302600_NS5minusIiEEEE10hipError_tPvRmT2_T3_mT4_P12ihipStream_tbEUlT_E_NS1_11comp_targetILNS1_3genE0ELNS1_11target_archE4294967295ELNS1_3gpuE0ELNS1_3repE0EEENS1_30default_config_static_selectorELNS0_4arch9wavefront6targetE1EEEvT1_ ; -- Begin function _ZN7rocprim17ROCPRIM_400000_NS6detail17trampoline_kernelINS0_14default_configENS1_35adjacent_difference_config_selectorILb1EiEEZNS1_24adjacent_difference_implIS3_Lb1ELb0EPiS7_N6thrust23THRUST_200600_302600_NS5minusIiEEEE10hipError_tPvRmT2_T3_mT4_P12ihipStream_tbEUlT_E_NS1_11comp_targetILNS1_3genE0ELNS1_11target_archE4294967295ELNS1_3gpuE0ELNS1_3repE0EEENS1_30default_config_static_selectorELNS0_4arch9wavefront6targetE1EEEvT1_
	.globl	_ZN7rocprim17ROCPRIM_400000_NS6detail17trampoline_kernelINS0_14default_configENS1_35adjacent_difference_config_selectorILb1EiEEZNS1_24adjacent_difference_implIS3_Lb1ELb0EPiS7_N6thrust23THRUST_200600_302600_NS5minusIiEEEE10hipError_tPvRmT2_T3_mT4_P12ihipStream_tbEUlT_E_NS1_11comp_targetILNS1_3genE0ELNS1_11target_archE4294967295ELNS1_3gpuE0ELNS1_3repE0EEENS1_30default_config_static_selectorELNS0_4arch9wavefront6targetE1EEEvT1_
	.p2align	8
	.type	_ZN7rocprim17ROCPRIM_400000_NS6detail17trampoline_kernelINS0_14default_configENS1_35adjacent_difference_config_selectorILb1EiEEZNS1_24adjacent_difference_implIS3_Lb1ELb0EPiS7_N6thrust23THRUST_200600_302600_NS5minusIiEEEE10hipError_tPvRmT2_T3_mT4_P12ihipStream_tbEUlT_E_NS1_11comp_targetILNS1_3genE0ELNS1_11target_archE4294967295ELNS1_3gpuE0ELNS1_3repE0EEENS1_30default_config_static_selectorELNS0_4arch9wavefront6targetE1EEEvT1_,@function
_ZN7rocprim17ROCPRIM_400000_NS6detail17trampoline_kernelINS0_14default_configENS1_35adjacent_difference_config_selectorILb1EiEEZNS1_24adjacent_difference_implIS3_Lb1ELb0EPiS7_N6thrust23THRUST_200600_302600_NS5minusIiEEEE10hipError_tPvRmT2_T3_mT4_P12ihipStream_tbEUlT_E_NS1_11comp_targetILNS1_3genE0ELNS1_11target_archE4294967295ELNS1_3gpuE0ELNS1_3repE0EEENS1_30default_config_static_selectorELNS0_4arch9wavefront6targetE1EEEvT1_: ; @_ZN7rocprim17ROCPRIM_400000_NS6detail17trampoline_kernelINS0_14default_configENS1_35adjacent_difference_config_selectorILb1EiEEZNS1_24adjacent_difference_implIS3_Lb1ELb0EPiS7_N6thrust23THRUST_200600_302600_NS5minusIiEEEE10hipError_tPvRmT2_T3_mT4_P12ihipStream_tbEUlT_E_NS1_11comp_targetILNS1_3genE0ELNS1_11target_archE4294967295ELNS1_3gpuE0ELNS1_3repE0EEENS1_30default_config_static_selectorELNS0_4arch9wavefront6targetE1EEEvT1_
; %bb.0:
	.section	.rodata,"a",@progbits
	.p2align	6, 0x0
	.amdhsa_kernel _ZN7rocprim17ROCPRIM_400000_NS6detail17trampoline_kernelINS0_14default_configENS1_35adjacent_difference_config_selectorILb1EiEEZNS1_24adjacent_difference_implIS3_Lb1ELb0EPiS7_N6thrust23THRUST_200600_302600_NS5minusIiEEEE10hipError_tPvRmT2_T3_mT4_P12ihipStream_tbEUlT_E_NS1_11comp_targetILNS1_3genE0ELNS1_11target_archE4294967295ELNS1_3gpuE0ELNS1_3repE0EEENS1_30default_config_static_selectorELNS0_4arch9wavefront6targetE1EEEvT1_
		.amdhsa_group_segment_fixed_size 0
		.amdhsa_private_segment_fixed_size 0
		.amdhsa_kernarg_size 56
		.amdhsa_user_sgpr_count 2
		.amdhsa_user_sgpr_dispatch_ptr 0
		.amdhsa_user_sgpr_queue_ptr 0
		.amdhsa_user_sgpr_kernarg_segment_ptr 1
		.amdhsa_user_sgpr_dispatch_id 0
		.amdhsa_user_sgpr_kernarg_preload_length 0
		.amdhsa_user_sgpr_kernarg_preload_offset 0
		.amdhsa_user_sgpr_private_segment_size 0
		.amdhsa_uses_dynamic_stack 0
		.amdhsa_enable_private_segment 0
		.amdhsa_system_sgpr_workgroup_id_x 1
		.amdhsa_system_sgpr_workgroup_id_y 0
		.amdhsa_system_sgpr_workgroup_id_z 0
		.amdhsa_system_sgpr_workgroup_info 0
		.amdhsa_system_vgpr_workitem_id 0
		.amdhsa_next_free_vgpr 1
		.amdhsa_next_free_sgpr 0
		.amdhsa_accum_offset 4
		.amdhsa_reserve_vcc 0
		.amdhsa_float_round_mode_32 0
		.amdhsa_float_round_mode_16_64 0
		.amdhsa_float_denorm_mode_32 3
		.amdhsa_float_denorm_mode_16_64 3
		.amdhsa_dx10_clamp 1
		.amdhsa_ieee_mode 1
		.amdhsa_fp16_overflow 0
		.amdhsa_tg_split 0
		.amdhsa_exception_fp_ieee_invalid_op 0
		.amdhsa_exception_fp_denorm_src 0
		.amdhsa_exception_fp_ieee_div_zero 0
		.amdhsa_exception_fp_ieee_overflow 0
		.amdhsa_exception_fp_ieee_underflow 0
		.amdhsa_exception_fp_ieee_inexact 0
		.amdhsa_exception_int_div_zero 0
	.end_amdhsa_kernel
	.section	.text._ZN7rocprim17ROCPRIM_400000_NS6detail17trampoline_kernelINS0_14default_configENS1_35adjacent_difference_config_selectorILb1EiEEZNS1_24adjacent_difference_implIS3_Lb1ELb0EPiS7_N6thrust23THRUST_200600_302600_NS5minusIiEEEE10hipError_tPvRmT2_T3_mT4_P12ihipStream_tbEUlT_E_NS1_11comp_targetILNS1_3genE0ELNS1_11target_archE4294967295ELNS1_3gpuE0ELNS1_3repE0EEENS1_30default_config_static_selectorELNS0_4arch9wavefront6targetE1EEEvT1_,"axG",@progbits,_ZN7rocprim17ROCPRIM_400000_NS6detail17trampoline_kernelINS0_14default_configENS1_35adjacent_difference_config_selectorILb1EiEEZNS1_24adjacent_difference_implIS3_Lb1ELb0EPiS7_N6thrust23THRUST_200600_302600_NS5minusIiEEEE10hipError_tPvRmT2_T3_mT4_P12ihipStream_tbEUlT_E_NS1_11comp_targetILNS1_3genE0ELNS1_11target_archE4294967295ELNS1_3gpuE0ELNS1_3repE0EEENS1_30default_config_static_selectorELNS0_4arch9wavefront6targetE1EEEvT1_,comdat
.Lfunc_end119:
	.size	_ZN7rocprim17ROCPRIM_400000_NS6detail17trampoline_kernelINS0_14default_configENS1_35adjacent_difference_config_selectorILb1EiEEZNS1_24adjacent_difference_implIS3_Lb1ELb0EPiS7_N6thrust23THRUST_200600_302600_NS5minusIiEEEE10hipError_tPvRmT2_T3_mT4_P12ihipStream_tbEUlT_E_NS1_11comp_targetILNS1_3genE0ELNS1_11target_archE4294967295ELNS1_3gpuE0ELNS1_3repE0EEENS1_30default_config_static_selectorELNS0_4arch9wavefront6targetE1EEEvT1_, .Lfunc_end119-_ZN7rocprim17ROCPRIM_400000_NS6detail17trampoline_kernelINS0_14default_configENS1_35adjacent_difference_config_selectorILb1EiEEZNS1_24adjacent_difference_implIS3_Lb1ELb0EPiS7_N6thrust23THRUST_200600_302600_NS5minusIiEEEE10hipError_tPvRmT2_T3_mT4_P12ihipStream_tbEUlT_E_NS1_11comp_targetILNS1_3genE0ELNS1_11target_archE4294967295ELNS1_3gpuE0ELNS1_3repE0EEENS1_30default_config_static_selectorELNS0_4arch9wavefront6targetE1EEEvT1_
                                        ; -- End function
	.section	.AMDGPU.csdata,"",@progbits
; Kernel info:
; codeLenInByte = 0
; NumSgprs: 6
; NumVgprs: 0
; NumAgprs: 0
; TotalNumVgprs: 0
; ScratchSize: 0
; MemoryBound: 0
; FloatMode: 240
; IeeeMode: 1
; LDSByteSize: 0 bytes/workgroup (compile time only)
; SGPRBlocks: 0
; VGPRBlocks: 0
; NumSGPRsForWavesPerEU: 6
; NumVGPRsForWavesPerEU: 1
; AccumOffset: 4
; Occupancy: 8
; WaveLimiterHint : 0
; COMPUTE_PGM_RSRC2:SCRATCH_EN: 0
; COMPUTE_PGM_RSRC2:USER_SGPR: 2
; COMPUTE_PGM_RSRC2:TRAP_HANDLER: 0
; COMPUTE_PGM_RSRC2:TGID_X_EN: 1
; COMPUTE_PGM_RSRC2:TGID_Y_EN: 0
; COMPUTE_PGM_RSRC2:TGID_Z_EN: 0
; COMPUTE_PGM_RSRC2:TIDIG_COMP_CNT: 0
; COMPUTE_PGM_RSRC3_GFX90A:ACCUM_OFFSET: 0
; COMPUTE_PGM_RSRC3_GFX90A:TG_SPLIT: 0
	.section	.text._ZN7rocprim17ROCPRIM_400000_NS6detail17trampoline_kernelINS0_14default_configENS1_35adjacent_difference_config_selectorILb1EiEEZNS1_24adjacent_difference_implIS3_Lb1ELb0EPiS7_N6thrust23THRUST_200600_302600_NS5minusIiEEEE10hipError_tPvRmT2_T3_mT4_P12ihipStream_tbEUlT_E_NS1_11comp_targetILNS1_3genE10ELNS1_11target_archE1201ELNS1_3gpuE5ELNS1_3repE0EEENS1_30default_config_static_selectorELNS0_4arch9wavefront6targetE1EEEvT1_,"axG",@progbits,_ZN7rocprim17ROCPRIM_400000_NS6detail17trampoline_kernelINS0_14default_configENS1_35adjacent_difference_config_selectorILb1EiEEZNS1_24adjacent_difference_implIS3_Lb1ELb0EPiS7_N6thrust23THRUST_200600_302600_NS5minusIiEEEE10hipError_tPvRmT2_T3_mT4_P12ihipStream_tbEUlT_E_NS1_11comp_targetILNS1_3genE10ELNS1_11target_archE1201ELNS1_3gpuE5ELNS1_3repE0EEENS1_30default_config_static_selectorELNS0_4arch9wavefront6targetE1EEEvT1_,comdat
	.protected	_ZN7rocprim17ROCPRIM_400000_NS6detail17trampoline_kernelINS0_14default_configENS1_35adjacent_difference_config_selectorILb1EiEEZNS1_24adjacent_difference_implIS3_Lb1ELb0EPiS7_N6thrust23THRUST_200600_302600_NS5minusIiEEEE10hipError_tPvRmT2_T3_mT4_P12ihipStream_tbEUlT_E_NS1_11comp_targetILNS1_3genE10ELNS1_11target_archE1201ELNS1_3gpuE5ELNS1_3repE0EEENS1_30default_config_static_selectorELNS0_4arch9wavefront6targetE1EEEvT1_ ; -- Begin function _ZN7rocprim17ROCPRIM_400000_NS6detail17trampoline_kernelINS0_14default_configENS1_35adjacent_difference_config_selectorILb1EiEEZNS1_24adjacent_difference_implIS3_Lb1ELb0EPiS7_N6thrust23THRUST_200600_302600_NS5minusIiEEEE10hipError_tPvRmT2_T3_mT4_P12ihipStream_tbEUlT_E_NS1_11comp_targetILNS1_3genE10ELNS1_11target_archE1201ELNS1_3gpuE5ELNS1_3repE0EEENS1_30default_config_static_selectorELNS0_4arch9wavefront6targetE1EEEvT1_
	.globl	_ZN7rocprim17ROCPRIM_400000_NS6detail17trampoline_kernelINS0_14default_configENS1_35adjacent_difference_config_selectorILb1EiEEZNS1_24adjacent_difference_implIS3_Lb1ELb0EPiS7_N6thrust23THRUST_200600_302600_NS5minusIiEEEE10hipError_tPvRmT2_T3_mT4_P12ihipStream_tbEUlT_E_NS1_11comp_targetILNS1_3genE10ELNS1_11target_archE1201ELNS1_3gpuE5ELNS1_3repE0EEENS1_30default_config_static_selectorELNS0_4arch9wavefront6targetE1EEEvT1_
	.p2align	8
	.type	_ZN7rocprim17ROCPRIM_400000_NS6detail17trampoline_kernelINS0_14default_configENS1_35adjacent_difference_config_selectorILb1EiEEZNS1_24adjacent_difference_implIS3_Lb1ELb0EPiS7_N6thrust23THRUST_200600_302600_NS5minusIiEEEE10hipError_tPvRmT2_T3_mT4_P12ihipStream_tbEUlT_E_NS1_11comp_targetILNS1_3genE10ELNS1_11target_archE1201ELNS1_3gpuE5ELNS1_3repE0EEENS1_30default_config_static_selectorELNS0_4arch9wavefront6targetE1EEEvT1_,@function
_ZN7rocprim17ROCPRIM_400000_NS6detail17trampoline_kernelINS0_14default_configENS1_35adjacent_difference_config_selectorILb1EiEEZNS1_24adjacent_difference_implIS3_Lb1ELb0EPiS7_N6thrust23THRUST_200600_302600_NS5minusIiEEEE10hipError_tPvRmT2_T3_mT4_P12ihipStream_tbEUlT_E_NS1_11comp_targetILNS1_3genE10ELNS1_11target_archE1201ELNS1_3gpuE5ELNS1_3repE0EEENS1_30default_config_static_selectorELNS0_4arch9wavefront6targetE1EEEvT1_: ; @_ZN7rocprim17ROCPRIM_400000_NS6detail17trampoline_kernelINS0_14default_configENS1_35adjacent_difference_config_selectorILb1EiEEZNS1_24adjacent_difference_implIS3_Lb1ELb0EPiS7_N6thrust23THRUST_200600_302600_NS5minusIiEEEE10hipError_tPvRmT2_T3_mT4_P12ihipStream_tbEUlT_E_NS1_11comp_targetILNS1_3genE10ELNS1_11target_archE1201ELNS1_3gpuE5ELNS1_3repE0EEENS1_30default_config_static_selectorELNS0_4arch9wavefront6targetE1EEEvT1_
; %bb.0:
	.section	.rodata,"a",@progbits
	.p2align	6, 0x0
	.amdhsa_kernel _ZN7rocprim17ROCPRIM_400000_NS6detail17trampoline_kernelINS0_14default_configENS1_35adjacent_difference_config_selectorILb1EiEEZNS1_24adjacent_difference_implIS3_Lb1ELb0EPiS7_N6thrust23THRUST_200600_302600_NS5minusIiEEEE10hipError_tPvRmT2_T3_mT4_P12ihipStream_tbEUlT_E_NS1_11comp_targetILNS1_3genE10ELNS1_11target_archE1201ELNS1_3gpuE5ELNS1_3repE0EEENS1_30default_config_static_selectorELNS0_4arch9wavefront6targetE1EEEvT1_
		.amdhsa_group_segment_fixed_size 0
		.amdhsa_private_segment_fixed_size 0
		.amdhsa_kernarg_size 56
		.amdhsa_user_sgpr_count 2
		.amdhsa_user_sgpr_dispatch_ptr 0
		.amdhsa_user_sgpr_queue_ptr 0
		.amdhsa_user_sgpr_kernarg_segment_ptr 1
		.amdhsa_user_sgpr_dispatch_id 0
		.amdhsa_user_sgpr_kernarg_preload_length 0
		.amdhsa_user_sgpr_kernarg_preload_offset 0
		.amdhsa_user_sgpr_private_segment_size 0
		.amdhsa_uses_dynamic_stack 0
		.amdhsa_enable_private_segment 0
		.amdhsa_system_sgpr_workgroup_id_x 1
		.amdhsa_system_sgpr_workgroup_id_y 0
		.amdhsa_system_sgpr_workgroup_id_z 0
		.amdhsa_system_sgpr_workgroup_info 0
		.amdhsa_system_vgpr_workitem_id 0
		.amdhsa_next_free_vgpr 1
		.amdhsa_next_free_sgpr 0
		.amdhsa_accum_offset 4
		.amdhsa_reserve_vcc 0
		.amdhsa_float_round_mode_32 0
		.amdhsa_float_round_mode_16_64 0
		.amdhsa_float_denorm_mode_32 3
		.amdhsa_float_denorm_mode_16_64 3
		.amdhsa_dx10_clamp 1
		.amdhsa_ieee_mode 1
		.amdhsa_fp16_overflow 0
		.amdhsa_tg_split 0
		.amdhsa_exception_fp_ieee_invalid_op 0
		.amdhsa_exception_fp_denorm_src 0
		.amdhsa_exception_fp_ieee_div_zero 0
		.amdhsa_exception_fp_ieee_overflow 0
		.amdhsa_exception_fp_ieee_underflow 0
		.amdhsa_exception_fp_ieee_inexact 0
		.amdhsa_exception_int_div_zero 0
	.end_amdhsa_kernel
	.section	.text._ZN7rocprim17ROCPRIM_400000_NS6detail17trampoline_kernelINS0_14default_configENS1_35adjacent_difference_config_selectorILb1EiEEZNS1_24adjacent_difference_implIS3_Lb1ELb0EPiS7_N6thrust23THRUST_200600_302600_NS5minusIiEEEE10hipError_tPvRmT2_T3_mT4_P12ihipStream_tbEUlT_E_NS1_11comp_targetILNS1_3genE10ELNS1_11target_archE1201ELNS1_3gpuE5ELNS1_3repE0EEENS1_30default_config_static_selectorELNS0_4arch9wavefront6targetE1EEEvT1_,"axG",@progbits,_ZN7rocprim17ROCPRIM_400000_NS6detail17trampoline_kernelINS0_14default_configENS1_35adjacent_difference_config_selectorILb1EiEEZNS1_24adjacent_difference_implIS3_Lb1ELb0EPiS7_N6thrust23THRUST_200600_302600_NS5minusIiEEEE10hipError_tPvRmT2_T3_mT4_P12ihipStream_tbEUlT_E_NS1_11comp_targetILNS1_3genE10ELNS1_11target_archE1201ELNS1_3gpuE5ELNS1_3repE0EEENS1_30default_config_static_selectorELNS0_4arch9wavefront6targetE1EEEvT1_,comdat
.Lfunc_end120:
	.size	_ZN7rocprim17ROCPRIM_400000_NS6detail17trampoline_kernelINS0_14default_configENS1_35adjacent_difference_config_selectorILb1EiEEZNS1_24adjacent_difference_implIS3_Lb1ELb0EPiS7_N6thrust23THRUST_200600_302600_NS5minusIiEEEE10hipError_tPvRmT2_T3_mT4_P12ihipStream_tbEUlT_E_NS1_11comp_targetILNS1_3genE10ELNS1_11target_archE1201ELNS1_3gpuE5ELNS1_3repE0EEENS1_30default_config_static_selectorELNS0_4arch9wavefront6targetE1EEEvT1_, .Lfunc_end120-_ZN7rocprim17ROCPRIM_400000_NS6detail17trampoline_kernelINS0_14default_configENS1_35adjacent_difference_config_selectorILb1EiEEZNS1_24adjacent_difference_implIS3_Lb1ELb0EPiS7_N6thrust23THRUST_200600_302600_NS5minusIiEEEE10hipError_tPvRmT2_T3_mT4_P12ihipStream_tbEUlT_E_NS1_11comp_targetILNS1_3genE10ELNS1_11target_archE1201ELNS1_3gpuE5ELNS1_3repE0EEENS1_30default_config_static_selectorELNS0_4arch9wavefront6targetE1EEEvT1_
                                        ; -- End function
	.section	.AMDGPU.csdata,"",@progbits
; Kernel info:
; codeLenInByte = 0
; NumSgprs: 6
; NumVgprs: 0
; NumAgprs: 0
; TotalNumVgprs: 0
; ScratchSize: 0
; MemoryBound: 0
; FloatMode: 240
; IeeeMode: 1
; LDSByteSize: 0 bytes/workgroup (compile time only)
; SGPRBlocks: 0
; VGPRBlocks: 0
; NumSGPRsForWavesPerEU: 6
; NumVGPRsForWavesPerEU: 1
; AccumOffset: 4
; Occupancy: 8
; WaveLimiterHint : 0
; COMPUTE_PGM_RSRC2:SCRATCH_EN: 0
; COMPUTE_PGM_RSRC2:USER_SGPR: 2
; COMPUTE_PGM_RSRC2:TRAP_HANDLER: 0
; COMPUTE_PGM_RSRC2:TGID_X_EN: 1
; COMPUTE_PGM_RSRC2:TGID_Y_EN: 0
; COMPUTE_PGM_RSRC2:TGID_Z_EN: 0
; COMPUTE_PGM_RSRC2:TIDIG_COMP_CNT: 0
; COMPUTE_PGM_RSRC3_GFX90A:ACCUM_OFFSET: 0
; COMPUTE_PGM_RSRC3_GFX90A:TG_SPLIT: 0
	.section	.text._ZN7rocprim17ROCPRIM_400000_NS6detail17trampoline_kernelINS0_14default_configENS1_35adjacent_difference_config_selectorILb1EiEEZNS1_24adjacent_difference_implIS3_Lb1ELb0EPiS7_N6thrust23THRUST_200600_302600_NS5minusIiEEEE10hipError_tPvRmT2_T3_mT4_P12ihipStream_tbEUlT_E_NS1_11comp_targetILNS1_3genE5ELNS1_11target_archE942ELNS1_3gpuE9ELNS1_3repE0EEENS1_30default_config_static_selectorELNS0_4arch9wavefront6targetE1EEEvT1_,"axG",@progbits,_ZN7rocprim17ROCPRIM_400000_NS6detail17trampoline_kernelINS0_14default_configENS1_35adjacent_difference_config_selectorILb1EiEEZNS1_24adjacent_difference_implIS3_Lb1ELb0EPiS7_N6thrust23THRUST_200600_302600_NS5minusIiEEEE10hipError_tPvRmT2_T3_mT4_P12ihipStream_tbEUlT_E_NS1_11comp_targetILNS1_3genE5ELNS1_11target_archE942ELNS1_3gpuE9ELNS1_3repE0EEENS1_30default_config_static_selectorELNS0_4arch9wavefront6targetE1EEEvT1_,comdat
	.protected	_ZN7rocprim17ROCPRIM_400000_NS6detail17trampoline_kernelINS0_14default_configENS1_35adjacent_difference_config_selectorILb1EiEEZNS1_24adjacent_difference_implIS3_Lb1ELb0EPiS7_N6thrust23THRUST_200600_302600_NS5minusIiEEEE10hipError_tPvRmT2_T3_mT4_P12ihipStream_tbEUlT_E_NS1_11comp_targetILNS1_3genE5ELNS1_11target_archE942ELNS1_3gpuE9ELNS1_3repE0EEENS1_30default_config_static_selectorELNS0_4arch9wavefront6targetE1EEEvT1_ ; -- Begin function _ZN7rocprim17ROCPRIM_400000_NS6detail17trampoline_kernelINS0_14default_configENS1_35adjacent_difference_config_selectorILb1EiEEZNS1_24adjacent_difference_implIS3_Lb1ELb0EPiS7_N6thrust23THRUST_200600_302600_NS5minusIiEEEE10hipError_tPvRmT2_T3_mT4_P12ihipStream_tbEUlT_E_NS1_11comp_targetILNS1_3genE5ELNS1_11target_archE942ELNS1_3gpuE9ELNS1_3repE0EEENS1_30default_config_static_selectorELNS0_4arch9wavefront6targetE1EEEvT1_
	.globl	_ZN7rocprim17ROCPRIM_400000_NS6detail17trampoline_kernelINS0_14default_configENS1_35adjacent_difference_config_selectorILb1EiEEZNS1_24adjacent_difference_implIS3_Lb1ELb0EPiS7_N6thrust23THRUST_200600_302600_NS5minusIiEEEE10hipError_tPvRmT2_T3_mT4_P12ihipStream_tbEUlT_E_NS1_11comp_targetILNS1_3genE5ELNS1_11target_archE942ELNS1_3gpuE9ELNS1_3repE0EEENS1_30default_config_static_selectorELNS0_4arch9wavefront6targetE1EEEvT1_
	.p2align	8
	.type	_ZN7rocprim17ROCPRIM_400000_NS6detail17trampoline_kernelINS0_14default_configENS1_35adjacent_difference_config_selectorILb1EiEEZNS1_24adjacent_difference_implIS3_Lb1ELb0EPiS7_N6thrust23THRUST_200600_302600_NS5minusIiEEEE10hipError_tPvRmT2_T3_mT4_P12ihipStream_tbEUlT_E_NS1_11comp_targetILNS1_3genE5ELNS1_11target_archE942ELNS1_3gpuE9ELNS1_3repE0EEENS1_30default_config_static_selectorELNS0_4arch9wavefront6targetE1EEEvT1_,@function
_ZN7rocprim17ROCPRIM_400000_NS6detail17trampoline_kernelINS0_14default_configENS1_35adjacent_difference_config_selectorILb1EiEEZNS1_24adjacent_difference_implIS3_Lb1ELb0EPiS7_N6thrust23THRUST_200600_302600_NS5minusIiEEEE10hipError_tPvRmT2_T3_mT4_P12ihipStream_tbEUlT_E_NS1_11comp_targetILNS1_3genE5ELNS1_11target_archE942ELNS1_3gpuE9ELNS1_3repE0EEENS1_30default_config_static_selectorELNS0_4arch9wavefront6targetE1EEEvT1_: ; @_ZN7rocprim17ROCPRIM_400000_NS6detail17trampoline_kernelINS0_14default_configENS1_35adjacent_difference_config_selectorILb1EiEEZNS1_24adjacent_difference_implIS3_Lb1ELb0EPiS7_N6thrust23THRUST_200600_302600_NS5minusIiEEEE10hipError_tPvRmT2_T3_mT4_P12ihipStream_tbEUlT_E_NS1_11comp_targetILNS1_3genE5ELNS1_11target_archE942ELNS1_3gpuE9ELNS1_3repE0EEENS1_30default_config_static_selectorELNS0_4arch9wavefront6targetE1EEEvT1_
; %bb.0:
	s_load_dwordx8 s[4:11], s[0:1], 0x0
	s_load_dwordx4 s[12:15], s[0:1], 0x28
	s_mov_b32 s0, 0x59999780
	s_movk_i32 s16, 0xa00
	s_mov_b32 s3, 0
	s_waitcnt lgkmcnt(0)
	s_lshl_b64 s[6:7], s[6:7], 2
	s_add_u32 s26, s4, s6
	s_addc_u32 s27, s5, s7
	s_add_u32 s0, 0xe0, s0
	s_addc_u32 s5, 0, 0
	v_add_co_u32_e64 v1, s[0:1], s0, 2.0
	s_cmp_lg_u64 s[0:1], 0
	s_addc_u32 s0, s5, 0x199999
	v_readfirstlane_b32 s5, v1
	s_mul_hi_u32 s17, s5, 0xfffff600
	s_mul_i32 s1, s0, 0xfffff600
	s_sub_i32 s17, s17, s5
	s_add_i32 s17, s17, s1
	s_mul_i32 s19, s5, 0xfffff600
	s_mul_hi_u32 s1, s5, s17
	s_mul_i32 s18, s5, s17
	s_mul_hi_u32 s5, s5, s19
	s_add_u32 s5, s5, s18
	s_addc_u32 s1, 0, s1
	s_mul_hi_u32 s20, s0, s19
	s_mul_i32 s19, s0, s19
	s_add_u32 s5, s5, s19
	s_mul_hi_u32 s18, s0, s17
	s_addc_u32 s1, s1, s20
	s_addc_u32 s5, s18, 0
	s_mul_i32 s17, s0, s17
	s_add_u32 s1, s1, s17
	s_addc_u32 s5, 0, s5
	v_add_co_u32_e32 v1, vcc, s1, v1
	s_cmp_lg_u64 vcc, 0
	s_addc_u32 s0, s0, s5
	v_readfirstlane_b32 s17, v1
	s_mul_i32 s5, s10, s0
	s_mul_hi_u32 s18, s10, s17
	s_mul_hi_u32 s1, s10, s0
	s_add_u32 s5, s18, s5
	s_addc_u32 s1, 0, s1
	s_mul_hi_u32 s19, s11, s17
	s_mul_i32 s17, s11, s17
	s_add_u32 s5, s5, s17
	s_mul_hi_u32 s18, s11, s0
	s_addc_u32 s1, s1, s19
	s_addc_u32 s5, s18, 0
	s_mul_i32 s0, s11, s0
	s_add_u32 s0, s1, s0
	s_addc_u32 s1, 0, s5
	s_add_u32 s5, s0, 1
	s_addc_u32 s17, s1, 0
	s_add_u32 s18, s0, 2
	s_mul_i32 s20, s1, 0xa00
	s_mul_hi_u32 s21, s0, 0xa00
	s_addc_u32 s19, s1, 0
	s_add_i32 s21, s21, s20
	s_mul_i32 s20, s0, 0xa00
	v_mov_b32_e32 v1, s20
	v_sub_co_u32_e32 v1, vcc, s10, v1
	s_cmp_lg_u64 vcc, 0
	s_subb_u32 s20, s11, s21
	v_subrev_co_u32_e32 v2, vcc, s16, v1
	s_cmp_lg_u64 vcc, 0
	s_subb_u32 s16, s20, 0
	v_readfirstlane_b32 s21, v2
	s_cmpk_gt_u32 s21, 0x9ff
	s_cselect_b32 s21, -1, 0
	s_cmp_eq_u32 s16, 0
	s_cselect_b32 s16, s21, -1
	s_cmp_lg_u32 s16, 0
	s_cselect_b32 s16, s19, s17
	v_readfirstlane_b32 s17, v1
	s_cselect_b32 s5, s18, s5
	s_cmpk_gt_u32 s17, 0x9ff
	s_cselect_b32 s17, -1, 0
	s_cmp_eq_u32 s20, 0
	s_cselect_b32 s17, s17, -1
	s_cmp_lg_u32 s17, 0
	s_cselect_b32 s17, s16, s1
	s_cselect_b32 s5, s5, s0
	s_mul_i32 s0, s17, 0xa00
	s_mul_hi_u32 s1, s5, 0xa00
	s_add_i32 s1, s1, s0
	s_mul_i32 s0, s5, 0xa00
	s_sub_u32 s0, s10, s0
	s_subb_u32 s1, s11, s1
	s_cmp_lg_u64 s[0:1], 0
	s_cselect_b64 s[0:1], -1, 0
	v_cndmask_b32_e64 v1, 0, 1, s[0:1]
	s_mul_i32 s4, s2, 0xa00
	v_readfirstlane_b32 s0, v1
	s_add_u32 s16, s5, s0
	s_addc_u32 s17, s17, 0
	s_add_u32 s18, s14, s2
	s_addc_u32 s19, s15, 0
	s_add_u32 s20, s16, -1
	s_addc_u32 s21, s17, -1
	v_mov_b64_e32 v[2:3], s[20:21]
	v_cmp_ge_u64_e64 s[0:1], s[18:19], v[2:3]
	s_mov_b64 s[22:23], -1
	s_and_b64 vcc, exec, s[0:1]
	s_mul_i32 s11, s20, 0xfffff600
	s_cbranch_vccz .LBB121_12
; %bb.1:
	s_mov_b32 s5, s3
	s_add_i32 s28, s11, s10
	s_lshl_b64 s[22:23], s[4:5], 2
	s_add_u32 s22, s26, s22
	s_addc_u32 s23, s27, s23
	v_cmp_gt_u32_e32 vcc, s28, v0
                                        ; implicit-def: $vgpr2_vgpr3_vgpr4_vgpr5_vgpr6
	s_and_saveexec_b64 s[24:25], vcc
	s_cbranch_execz .LBB121_3
; %bb.2:
	v_lshlrev_b32_e32 v1, 2, v0
	global_load_dword v2, v1, s[22:23]
.LBB121_3:
	s_or_b64 exec, exec, s[24:25]
	v_or_b32_e32 v1, 0x200, v0
	v_cmp_gt_u32_e32 vcc, s28, v1
	s_and_saveexec_b64 s[24:25], vcc
	s_cbranch_execz .LBB121_5
; %bb.4:
	v_lshlrev_b32_e32 v1, 2, v0
	global_load_dword v3, v1, s[22:23] offset:2048
.LBB121_5:
	s_or_b64 exec, exec, s[24:25]
	v_or_b32_e32 v1, 0x400, v0
	v_cmp_gt_u32_e32 vcc, s28, v1
	s_and_saveexec_b64 s[24:25], vcc
	s_cbranch_execz .LBB121_7
; %bb.6:
	v_lshlrev_b32_e32 v1, 2, v1
	global_load_dword v4, v1, s[22:23]
.LBB121_7:
	s_or_b64 exec, exec, s[24:25]
	v_or_b32_e32 v1, 0x600, v0
	v_cmp_gt_u32_e32 vcc, s28, v1
	s_and_saveexec_b64 s[24:25], vcc
	s_cbranch_execz .LBB121_9
; %bb.8:
	v_lshlrev_b32_e32 v1, 2, v1
	global_load_dword v5, v1, s[22:23]
.LBB121_9:
	s_or_b64 exec, exec, s[24:25]
	v_or_b32_e32 v1, 0x800, v0
	v_cmp_gt_u32_e32 vcc, s28, v1
	s_and_saveexec_b64 s[24:25], vcc
	s_cbranch_execz .LBB121_11
; %bb.10:
	v_lshlrev_b32_e32 v1, 2, v1
	global_load_dword v6, v1, s[22:23]
.LBB121_11:
	s_or_b64 exec, exec, s[24:25]
	v_lshlrev_b32_e32 v1, 2, v0
	s_mov_b64 s[22:23], 0
	s_waitcnt vmcnt(0)
	ds_write2st64_b32 v1, v2, v3 offset1:8
	ds_write2st64_b32 v1, v4, v5 offset0:16 offset1:24
	ds_write_b32 v1, v6 offset:8192
	s_waitcnt lgkmcnt(0)
	s_barrier
.LBB121_12:
	s_and_b64 vcc, exec, s[22:23]
	v_lshlrev_b32_e32 v20, 2, v0
	s_cbranch_vccz .LBB121_14
; %bb.13:
	s_mov_b32 s5, 0
	s_lshl_b64 s[22:23], s[4:5], 2
	s_add_u32 s22, s26, s22
	s_addc_u32 s23, s27, s23
	v_mov_b32_e32 v21, 0
	v_lshl_add_u64 v[2:3], s[22:23], 0, v[20:21]
	v_add_co_u32_e32 v4, vcc, 0x1000, v2
	global_load_dword v1, v20, s[22:23]
	global_load_dword v6, v20, s[22:23] offset:2048
	v_addc_co_u32_e32 v5, vcc, 0, v3, vcc
	global_load_dword v7, v[4:5], off
	global_load_dword v8, v[4:5], off offset:2048
	v_add_co_u32_e32 v2, vcc, 0x2000, v2
	s_nop 1
	v_addc_co_u32_e32 v3, vcc, 0, v3, vcc
	global_load_dword v2, v[2:3], off
	s_waitcnt vmcnt(3)
	ds_write2st64_b32 v20, v1, v6 offset1:8
	s_waitcnt vmcnt(1)
	ds_write2st64_b32 v20, v7, v8 offset0:16 offset1:24
	s_waitcnt vmcnt(0)
	ds_write_b32 v20, v2 offset:8192
	s_waitcnt lgkmcnt(0)
	s_barrier
.LBB121_14:
	v_mul_u32_u24_e32 v1, 5, v0
	v_lshlrev_b32_e32 v1, 2, v1
	ds_read_b32 v2, v1
	ds_read2_b32 v[22:23], v1 offset0:1 offset1:2
	ds_read2_b32 v[24:25], v1 offset0:3 offset1:4
	s_cmp_eq_u64 s[18:19], 0
	s_waitcnt lgkmcnt(0)
	s_barrier
	s_cbranch_scc1 .LBB121_19
; %bb.15:
	s_lshl_b64 s[14:15], s[14:15], 2
	s_add_u32 s5, s12, s14
	s_addc_u32 s12, s13, s15
	s_lshl_b64 s[2:3], s[2:3], 2
	s_add_u32 s2, s5, s2
	s_addc_u32 s3, s12, s3
	s_add_u32 s2, s2, -4
	s_addc_u32 s3, s3, -1
	s_load_dword s5, s[2:3], 0x0
	s_cmp_eq_u64 s[18:19], s[20:21]
	s_cbranch_scc1 .LBB121_20
; %bb.16:
	v_cmp_ne_u32_e32 vcc, 0, v0
	s_waitcnt lgkmcnt(0)
	v_mov_b32_e32 v1, s5
	ds_write_b32 v20, v25
	s_waitcnt lgkmcnt(0)
	s_barrier
	s_and_saveexec_b64 s[2:3], vcc
	s_cbranch_execz .LBB121_18
; %bb.17:
	v_add_u32_e32 v1, -4, v20
	ds_read_b32 v1, v1
.LBB121_18:
	s_or_b64 exec, exec, s[2:3]
	v_sub_u32_e32 v8, v25, v24
	v_sub_u32_e32 v9, v24, v23
	;; [unrolled: 1-line block ×4, first 2 shown]
	s_cbranch_execz .LBB121_21
	s_branch .LBB121_24
.LBB121_19:
                                        ; implicit-def: $vgpr14_vgpr15_vgpr16_vgpr17_vgpr18
                                        ; implicit-def: $vgpr10_vgpr11_vgpr12_vgpr13_vgpr14
	s_mov_b64 s[12:13], 0
                                        ; implicit-def: $vgpr6_vgpr7_vgpr8_vgpr9_vgpr10
                                        ; implicit-def: $vgpr1
                                        ; implicit-def: $vgpr4_vgpr5_vgpr6_vgpr7_vgpr8
	s_branch .LBB121_25
.LBB121_20:
                                        ; implicit-def: $vgpr14_vgpr15_vgpr16_vgpr17_vgpr18
                                        ; implicit-def: $vgpr10_vgpr11_vgpr12_vgpr13_vgpr14
                                        ; implicit-def: $vgpr1
                                        ; implicit-def: $vgpr6_vgpr7_vgpr8_vgpr9_vgpr10
                                        ; implicit-def: $vgpr4_vgpr5_vgpr6_vgpr7_vgpr8
.LBB121_21:
	s_waitcnt lgkmcnt(0)
	v_mul_u32_u24_e32 v1, 5, v0
	v_cmp_ne_u32_e32 vcc, 0, v0
	v_mov_b32_e32 v3, s5
	ds_write_b32 v20, v25
	s_waitcnt lgkmcnt(0)
	s_barrier
	s_and_saveexec_b64 s[2:3], vcc
	s_cbranch_execz .LBB121_23
; %bb.22:
	v_add_u32_e32 v3, -4, v20
	ds_read_b32 v3, v3
.LBB121_23:
	s_or_b64 exec, exec, s[2:3]
	s_mul_i32 s2, s18, 0xfffff600
	s_add_i32 s2, s2, s10
	v_add_u32_e32 v4, 4, v1
	v_sub_u32_e32 v5, v25, v24
	v_cmp_gt_u32_e32 vcc, s2, v4
	v_add_u32_e32 v4, 3, v1
	s_nop 0
	v_cndmask_b32_e32 v8, v25, v5, vcc
	v_sub_u32_e32 v5, v24, v23
	v_cmp_gt_u32_e32 vcc, s2, v4
	v_add_u32_e32 v4, 2, v1
	s_nop 0
	v_cndmask_b32_e32 v9, v24, v5, vcc
	;; [unrolled: 5-line block ×3, first 2 shown]
	v_sub_u32_e32 v5, v22, v2
	v_cmp_gt_u32_e32 vcc, s2, v4
	s_nop 1
	v_cndmask_b32_e32 v15, v22, v5, vcc
	v_cmp_gt_u32_e32 vcc, s2, v1
	s_waitcnt lgkmcnt(0)
	s_nop 0
	v_cndmask_b32_e32 v1, 0, v3, vcc
.LBB121_24:
	s_mov_b64 s[12:13], -1
	s_cbranch_execnz .LBB121_33
.LBB121_25:
	s_cmp_lg_u64 s[16:17], 1
	v_sub_u32_e32 v9, v24, v23
	v_sub_u32_e32 v8, v25, v24
	;; [unrolled: 1-line block ×4, first 2 shown]
	v_cmp_ne_u32_e32 vcc, 0, v0
	s_cbranch_scc0 .LBB121_29
; %bb.26:
	ds_write_b32 v20, v25
	s_waitcnt lgkmcnt(0)
	s_barrier
	s_waitcnt lgkmcnt(0)
                                        ; implicit-def: $vgpr1
	s_and_saveexec_b64 s[2:3], vcc
	s_cbranch_execz .LBB121_28
; %bb.27:
	v_add_u32_e32 v1, -4, v20
	ds_read_b32 v1, v1
	s_or_b64 s[12:13], s[12:13], exec
.LBB121_28:
	s_or_b64 exec, exec, s[2:3]
	s_branch .LBB121_33
.LBB121_29:
                                        ; implicit-def: $vgpr1
	s_cbranch_execz .LBB121_33
; %bb.30:
	v_mad_u32_u24 v3, v0, 5, 4
	v_cmp_gt_u32_e32 vcc, s10, v3
	v_mad_u32_u24 v3, v0, 5, 3
	s_waitcnt lgkmcnt(0)
	v_mul_u32_u24_e32 v1, 5, v0
	v_cndmask_b32_e32 v8, v25, v8, vcc
	v_cmp_gt_u32_e32 vcc, s10, v3
	v_mad_u32_u24 v3, v0, 5, 2
	v_cmp_gt_u32_e64 s[2:3], s10, v1
	v_cndmask_b32_e32 v9, v24, v9, vcc
	v_cmp_gt_u32_e32 vcc, s10, v3
	v_mad_u32_u24 v3, v0, 5, 1
	ds_write_b32 v20, v25
	v_cndmask_b32_e32 v12, v23, v12, vcc
	v_cmp_gt_u32_e32 vcc, s10, v3
	s_waitcnt lgkmcnt(0)
	s_barrier
	v_cndmask_b32_e32 v15, v22, v15, vcc
	v_cmp_ne_u32_e32 vcc, 0, v0
	s_and_b64 s[14:15], vcc, s[2:3]
	s_waitcnt lgkmcnt(0)
                                        ; implicit-def: $vgpr1
	s_and_saveexec_b64 s[2:3], s[14:15]
	s_cbranch_execz .LBB121_32
; %bb.31:
	v_add_u32_e32 v1, -4, v20
	ds_read_b32 v1, v1
	s_or_b64 s[12:13], s[12:13], exec
.LBB121_32:
	s_or_b64 exec, exec, s[2:3]
.LBB121_33:
	s_and_saveexec_b64 s[2:3], s[12:13]
	s_cbranch_execz .LBB121_35
; %bb.34:
	s_waitcnt lgkmcnt(0)
	v_sub_u32_e32 v2, v2, v1
.LBB121_35:
	s_or_b64 exec, exec, s[2:3]
	s_add_u32 s6, s8, s6
	s_addc_u32 s7, s9, s7
	s_and_b64 vcc, exec, s[0:1]
	s_waitcnt lgkmcnt(0)
	v_mul_u32_u24_e32 v1, 20, v0
	v_lshlrev_b32_e32 v3, 4, v0
	s_barrier
	s_cbranch_vccz .LBB121_45
; %bb.36:
	v_sub_u32_e32 v4, v1, v3
	s_mov_b32 s5, 0
	ds_write2_b32 v1, v2, v15 offset1:1
	ds_write2_b32 v1, v12, v9 offset0:2 offset1:3
	ds_write_b32 v1, v8 offset:16
	s_waitcnt lgkmcnt(0)
	s_barrier
	ds_read2st64_b32 v[10:11], v4 offset0:8 offset1:16
	ds_read2st64_b32 v[4:5], v4 offset0:24 offset1:32
	s_add_i32 s11, s11, s10
	s_lshl_b64 s[0:1], s[4:5], 2
	s_add_u32 s0, s6, s0
	s_addc_u32 s1, s7, s1
	v_mov_b32_e32 v21, 0
	v_lshl_add_u64 v[6:7], s[0:1], 0, v[20:21]
	v_cmp_gt_u32_e32 vcc, s11, v0
	s_and_saveexec_b64 s[0:1], vcc
	s_cbranch_execz .LBB121_38
; %bb.37:
	v_sub_u32_e32 v13, 0, v3
	v_add_u32_e32 v13, v1, v13
	ds_read_b32 v13, v13
	s_waitcnt lgkmcnt(0)
	global_store_dword v[6:7], v13, off
.LBB121_38:
	s_or_b64 exec, exec, s[0:1]
	v_or_b32_e32 v13, 0x200, v0
	v_cmp_gt_u32_e32 vcc, s11, v13
	s_and_saveexec_b64 s[0:1], vcc
	s_cbranch_execz .LBB121_40
; %bb.39:
	s_waitcnt lgkmcnt(1)
	global_store_dword v[6:7], v10, off offset:2048
.LBB121_40:
	s_or_b64 exec, exec, s[0:1]
	s_waitcnt lgkmcnt(1)
	v_or_b32_e32 v10, 0x400, v0
	v_cmp_gt_u32_e32 vcc, s11, v10
	s_and_saveexec_b64 s[0:1], vcc
	s_cbranch_execz .LBB121_42
; %bb.41:
	v_add_co_u32_e32 v16, vcc, 0x1000, v6
	s_nop 1
	v_addc_co_u32_e32 v17, vcc, 0, v7, vcc
	global_store_dword v[16:17], v11, off
.LBB121_42:
	s_or_b64 exec, exec, s[0:1]
	v_or_b32_e32 v10, 0x600, v0
	v_cmp_gt_u32_e32 vcc, s11, v10
	s_and_saveexec_b64 s[0:1], vcc
	s_cbranch_execz .LBB121_44
; %bb.43:
	v_add_co_u32_e32 v10, vcc, 0x1000, v6
	s_nop 1
	v_addc_co_u32_e32 v11, vcc, 0, v7, vcc
	s_waitcnt lgkmcnt(0)
	global_store_dword v[10:11], v4, off offset:2048
.LBB121_44:
	s_or_b64 exec, exec, s[0:1]
	v_or_b32_e32 v0, 0x800, v0
	v_cmp_gt_u32_e64 s[0:1], s11, v0
	s_branch .LBB121_47
.LBB121_45:
	s_mov_b64 s[0:1], 0
                                        ; implicit-def: $vgpr5
                                        ; implicit-def: $vgpr6_vgpr7
	s_cbranch_execz .LBB121_47
; %bb.46:
	s_mov_b32 s5, 0
	s_lshl_b64 s[2:3], s[4:5], 2
	s_waitcnt lgkmcnt(0)
	v_sub_u32_e32 v4, v1, v3
	s_add_u32 s2, s6, s2
	ds_write2_b32 v1, v2, v15 offset1:1
	ds_write2_b32 v1, v12, v9 offset0:2 offset1:3
	ds_write_b32 v1, v8 offset:16
	s_waitcnt lgkmcnt(0)
	s_barrier
	ds_read2st64_b32 v[0:1], v4 offset1:8
	ds_read2st64_b32 v[2:3], v4 offset0:16 offset1:24
	ds_read_b32 v5, v4 offset:8192
	s_addc_u32 s3, s7, s3
	v_mov_b32_e32 v21, 0
	v_lshl_add_u64 v[6:7], s[2:3], 0, v[20:21]
	s_waitcnt lgkmcnt(2)
	global_store_dword v20, v0, s[2:3]
	global_store_dword v20, v1, s[2:3] offset:2048
	v_add_co_u32_e32 v0, vcc, 0x1000, v6
	s_or_b64 s[0:1], s[0:1], exec
	s_nop 0
	v_addc_co_u32_e32 v1, vcc, 0, v7, vcc
	s_waitcnt lgkmcnt(1)
	global_store_dword v[0:1], v2, off
	global_store_dword v[0:1], v3, off offset:2048
.LBB121_47:
	s_and_saveexec_b64 s[2:3], s[0:1]
	s_cbranch_execnz .LBB121_49
; %bb.48:
	s_endpgm
.LBB121_49:
	v_add_co_u32_e32 v0, vcc, 0x2000, v6
	s_nop 1
	v_addc_co_u32_e32 v1, vcc, 0, v7, vcc
	s_waitcnt lgkmcnt(0)
	global_store_dword v[0:1], v5, off
	s_endpgm
	.section	.rodata,"a",@progbits
	.p2align	6, 0x0
	.amdhsa_kernel _ZN7rocprim17ROCPRIM_400000_NS6detail17trampoline_kernelINS0_14default_configENS1_35adjacent_difference_config_selectorILb1EiEEZNS1_24adjacent_difference_implIS3_Lb1ELb0EPiS7_N6thrust23THRUST_200600_302600_NS5minusIiEEEE10hipError_tPvRmT2_T3_mT4_P12ihipStream_tbEUlT_E_NS1_11comp_targetILNS1_3genE5ELNS1_11target_archE942ELNS1_3gpuE9ELNS1_3repE0EEENS1_30default_config_static_selectorELNS0_4arch9wavefront6targetE1EEEvT1_
		.amdhsa_group_segment_fixed_size 10240
		.amdhsa_private_segment_fixed_size 0
		.amdhsa_kernarg_size 56
		.amdhsa_user_sgpr_count 2
		.amdhsa_user_sgpr_dispatch_ptr 0
		.amdhsa_user_sgpr_queue_ptr 0
		.amdhsa_user_sgpr_kernarg_segment_ptr 1
		.amdhsa_user_sgpr_dispatch_id 0
		.amdhsa_user_sgpr_kernarg_preload_length 0
		.amdhsa_user_sgpr_kernarg_preload_offset 0
		.amdhsa_user_sgpr_private_segment_size 0
		.amdhsa_uses_dynamic_stack 0
		.amdhsa_enable_private_segment 0
		.amdhsa_system_sgpr_workgroup_id_x 1
		.amdhsa_system_sgpr_workgroup_id_y 0
		.amdhsa_system_sgpr_workgroup_id_z 0
		.amdhsa_system_sgpr_workgroup_info 0
		.amdhsa_system_vgpr_workitem_id 0
		.amdhsa_next_free_vgpr 26
		.amdhsa_next_free_sgpr 29
		.amdhsa_accum_offset 28
		.amdhsa_reserve_vcc 1
		.amdhsa_float_round_mode_32 0
		.amdhsa_float_round_mode_16_64 0
		.amdhsa_float_denorm_mode_32 3
		.amdhsa_float_denorm_mode_16_64 3
		.amdhsa_dx10_clamp 1
		.amdhsa_ieee_mode 1
		.amdhsa_fp16_overflow 0
		.amdhsa_tg_split 0
		.amdhsa_exception_fp_ieee_invalid_op 0
		.amdhsa_exception_fp_denorm_src 0
		.amdhsa_exception_fp_ieee_div_zero 0
		.amdhsa_exception_fp_ieee_overflow 0
		.amdhsa_exception_fp_ieee_underflow 0
		.amdhsa_exception_fp_ieee_inexact 0
		.amdhsa_exception_int_div_zero 0
	.end_amdhsa_kernel
	.section	.text._ZN7rocprim17ROCPRIM_400000_NS6detail17trampoline_kernelINS0_14default_configENS1_35adjacent_difference_config_selectorILb1EiEEZNS1_24adjacent_difference_implIS3_Lb1ELb0EPiS7_N6thrust23THRUST_200600_302600_NS5minusIiEEEE10hipError_tPvRmT2_T3_mT4_P12ihipStream_tbEUlT_E_NS1_11comp_targetILNS1_3genE5ELNS1_11target_archE942ELNS1_3gpuE9ELNS1_3repE0EEENS1_30default_config_static_selectorELNS0_4arch9wavefront6targetE1EEEvT1_,"axG",@progbits,_ZN7rocprim17ROCPRIM_400000_NS6detail17trampoline_kernelINS0_14default_configENS1_35adjacent_difference_config_selectorILb1EiEEZNS1_24adjacent_difference_implIS3_Lb1ELb0EPiS7_N6thrust23THRUST_200600_302600_NS5minusIiEEEE10hipError_tPvRmT2_T3_mT4_P12ihipStream_tbEUlT_E_NS1_11comp_targetILNS1_3genE5ELNS1_11target_archE942ELNS1_3gpuE9ELNS1_3repE0EEENS1_30default_config_static_selectorELNS0_4arch9wavefront6targetE1EEEvT1_,comdat
.Lfunc_end121:
	.size	_ZN7rocprim17ROCPRIM_400000_NS6detail17trampoline_kernelINS0_14default_configENS1_35adjacent_difference_config_selectorILb1EiEEZNS1_24adjacent_difference_implIS3_Lb1ELb0EPiS7_N6thrust23THRUST_200600_302600_NS5minusIiEEEE10hipError_tPvRmT2_T3_mT4_P12ihipStream_tbEUlT_E_NS1_11comp_targetILNS1_3genE5ELNS1_11target_archE942ELNS1_3gpuE9ELNS1_3repE0EEENS1_30default_config_static_selectorELNS0_4arch9wavefront6targetE1EEEvT1_, .Lfunc_end121-_ZN7rocprim17ROCPRIM_400000_NS6detail17trampoline_kernelINS0_14default_configENS1_35adjacent_difference_config_selectorILb1EiEEZNS1_24adjacent_difference_implIS3_Lb1ELb0EPiS7_N6thrust23THRUST_200600_302600_NS5minusIiEEEE10hipError_tPvRmT2_T3_mT4_P12ihipStream_tbEUlT_E_NS1_11comp_targetILNS1_3genE5ELNS1_11target_archE942ELNS1_3gpuE9ELNS1_3repE0EEENS1_30default_config_static_selectorELNS0_4arch9wavefront6targetE1EEEvT1_
                                        ; -- End function
	.section	.AMDGPU.csdata,"",@progbits
; Kernel info:
; codeLenInByte = 2004
; NumSgprs: 35
; NumVgprs: 26
; NumAgprs: 0
; TotalNumVgprs: 26
; ScratchSize: 0
; MemoryBound: 0
; FloatMode: 240
; IeeeMode: 1
; LDSByteSize: 10240 bytes/workgroup (compile time only)
; SGPRBlocks: 4
; VGPRBlocks: 3
; NumSGPRsForWavesPerEU: 35
; NumVGPRsForWavesPerEU: 26
; AccumOffset: 28
; Occupancy: 8
; WaveLimiterHint : 1
; COMPUTE_PGM_RSRC2:SCRATCH_EN: 0
; COMPUTE_PGM_RSRC2:USER_SGPR: 2
; COMPUTE_PGM_RSRC2:TRAP_HANDLER: 0
; COMPUTE_PGM_RSRC2:TGID_X_EN: 1
; COMPUTE_PGM_RSRC2:TGID_Y_EN: 0
; COMPUTE_PGM_RSRC2:TGID_Z_EN: 0
; COMPUTE_PGM_RSRC2:TIDIG_COMP_CNT: 0
; COMPUTE_PGM_RSRC3_GFX90A:ACCUM_OFFSET: 6
; COMPUTE_PGM_RSRC3_GFX90A:TG_SPLIT: 0
	.section	.text._ZN7rocprim17ROCPRIM_400000_NS6detail17trampoline_kernelINS0_14default_configENS1_35adjacent_difference_config_selectorILb1EiEEZNS1_24adjacent_difference_implIS3_Lb1ELb0EPiS7_N6thrust23THRUST_200600_302600_NS5minusIiEEEE10hipError_tPvRmT2_T3_mT4_P12ihipStream_tbEUlT_E_NS1_11comp_targetILNS1_3genE4ELNS1_11target_archE910ELNS1_3gpuE8ELNS1_3repE0EEENS1_30default_config_static_selectorELNS0_4arch9wavefront6targetE1EEEvT1_,"axG",@progbits,_ZN7rocprim17ROCPRIM_400000_NS6detail17trampoline_kernelINS0_14default_configENS1_35adjacent_difference_config_selectorILb1EiEEZNS1_24adjacent_difference_implIS3_Lb1ELb0EPiS7_N6thrust23THRUST_200600_302600_NS5minusIiEEEE10hipError_tPvRmT2_T3_mT4_P12ihipStream_tbEUlT_E_NS1_11comp_targetILNS1_3genE4ELNS1_11target_archE910ELNS1_3gpuE8ELNS1_3repE0EEENS1_30default_config_static_selectorELNS0_4arch9wavefront6targetE1EEEvT1_,comdat
	.protected	_ZN7rocprim17ROCPRIM_400000_NS6detail17trampoline_kernelINS0_14default_configENS1_35adjacent_difference_config_selectorILb1EiEEZNS1_24adjacent_difference_implIS3_Lb1ELb0EPiS7_N6thrust23THRUST_200600_302600_NS5minusIiEEEE10hipError_tPvRmT2_T3_mT4_P12ihipStream_tbEUlT_E_NS1_11comp_targetILNS1_3genE4ELNS1_11target_archE910ELNS1_3gpuE8ELNS1_3repE0EEENS1_30default_config_static_selectorELNS0_4arch9wavefront6targetE1EEEvT1_ ; -- Begin function _ZN7rocprim17ROCPRIM_400000_NS6detail17trampoline_kernelINS0_14default_configENS1_35adjacent_difference_config_selectorILb1EiEEZNS1_24adjacent_difference_implIS3_Lb1ELb0EPiS7_N6thrust23THRUST_200600_302600_NS5minusIiEEEE10hipError_tPvRmT2_T3_mT4_P12ihipStream_tbEUlT_E_NS1_11comp_targetILNS1_3genE4ELNS1_11target_archE910ELNS1_3gpuE8ELNS1_3repE0EEENS1_30default_config_static_selectorELNS0_4arch9wavefront6targetE1EEEvT1_
	.globl	_ZN7rocprim17ROCPRIM_400000_NS6detail17trampoline_kernelINS0_14default_configENS1_35adjacent_difference_config_selectorILb1EiEEZNS1_24adjacent_difference_implIS3_Lb1ELb0EPiS7_N6thrust23THRUST_200600_302600_NS5minusIiEEEE10hipError_tPvRmT2_T3_mT4_P12ihipStream_tbEUlT_E_NS1_11comp_targetILNS1_3genE4ELNS1_11target_archE910ELNS1_3gpuE8ELNS1_3repE0EEENS1_30default_config_static_selectorELNS0_4arch9wavefront6targetE1EEEvT1_
	.p2align	8
	.type	_ZN7rocprim17ROCPRIM_400000_NS6detail17trampoline_kernelINS0_14default_configENS1_35adjacent_difference_config_selectorILb1EiEEZNS1_24adjacent_difference_implIS3_Lb1ELb0EPiS7_N6thrust23THRUST_200600_302600_NS5minusIiEEEE10hipError_tPvRmT2_T3_mT4_P12ihipStream_tbEUlT_E_NS1_11comp_targetILNS1_3genE4ELNS1_11target_archE910ELNS1_3gpuE8ELNS1_3repE0EEENS1_30default_config_static_selectorELNS0_4arch9wavefront6targetE1EEEvT1_,@function
_ZN7rocprim17ROCPRIM_400000_NS6detail17trampoline_kernelINS0_14default_configENS1_35adjacent_difference_config_selectorILb1EiEEZNS1_24adjacent_difference_implIS3_Lb1ELb0EPiS7_N6thrust23THRUST_200600_302600_NS5minusIiEEEE10hipError_tPvRmT2_T3_mT4_P12ihipStream_tbEUlT_E_NS1_11comp_targetILNS1_3genE4ELNS1_11target_archE910ELNS1_3gpuE8ELNS1_3repE0EEENS1_30default_config_static_selectorELNS0_4arch9wavefront6targetE1EEEvT1_: ; @_ZN7rocprim17ROCPRIM_400000_NS6detail17trampoline_kernelINS0_14default_configENS1_35adjacent_difference_config_selectorILb1EiEEZNS1_24adjacent_difference_implIS3_Lb1ELb0EPiS7_N6thrust23THRUST_200600_302600_NS5minusIiEEEE10hipError_tPvRmT2_T3_mT4_P12ihipStream_tbEUlT_E_NS1_11comp_targetILNS1_3genE4ELNS1_11target_archE910ELNS1_3gpuE8ELNS1_3repE0EEENS1_30default_config_static_selectorELNS0_4arch9wavefront6targetE1EEEvT1_
; %bb.0:
	.section	.rodata,"a",@progbits
	.p2align	6, 0x0
	.amdhsa_kernel _ZN7rocprim17ROCPRIM_400000_NS6detail17trampoline_kernelINS0_14default_configENS1_35adjacent_difference_config_selectorILb1EiEEZNS1_24adjacent_difference_implIS3_Lb1ELb0EPiS7_N6thrust23THRUST_200600_302600_NS5minusIiEEEE10hipError_tPvRmT2_T3_mT4_P12ihipStream_tbEUlT_E_NS1_11comp_targetILNS1_3genE4ELNS1_11target_archE910ELNS1_3gpuE8ELNS1_3repE0EEENS1_30default_config_static_selectorELNS0_4arch9wavefront6targetE1EEEvT1_
		.amdhsa_group_segment_fixed_size 0
		.amdhsa_private_segment_fixed_size 0
		.amdhsa_kernarg_size 56
		.amdhsa_user_sgpr_count 2
		.amdhsa_user_sgpr_dispatch_ptr 0
		.amdhsa_user_sgpr_queue_ptr 0
		.amdhsa_user_sgpr_kernarg_segment_ptr 1
		.amdhsa_user_sgpr_dispatch_id 0
		.amdhsa_user_sgpr_kernarg_preload_length 0
		.amdhsa_user_sgpr_kernarg_preload_offset 0
		.amdhsa_user_sgpr_private_segment_size 0
		.amdhsa_uses_dynamic_stack 0
		.amdhsa_enable_private_segment 0
		.amdhsa_system_sgpr_workgroup_id_x 1
		.amdhsa_system_sgpr_workgroup_id_y 0
		.amdhsa_system_sgpr_workgroup_id_z 0
		.amdhsa_system_sgpr_workgroup_info 0
		.amdhsa_system_vgpr_workitem_id 0
		.amdhsa_next_free_vgpr 1
		.amdhsa_next_free_sgpr 0
		.amdhsa_accum_offset 4
		.amdhsa_reserve_vcc 0
		.amdhsa_float_round_mode_32 0
		.amdhsa_float_round_mode_16_64 0
		.amdhsa_float_denorm_mode_32 3
		.amdhsa_float_denorm_mode_16_64 3
		.amdhsa_dx10_clamp 1
		.amdhsa_ieee_mode 1
		.amdhsa_fp16_overflow 0
		.amdhsa_tg_split 0
		.amdhsa_exception_fp_ieee_invalid_op 0
		.amdhsa_exception_fp_denorm_src 0
		.amdhsa_exception_fp_ieee_div_zero 0
		.amdhsa_exception_fp_ieee_overflow 0
		.amdhsa_exception_fp_ieee_underflow 0
		.amdhsa_exception_fp_ieee_inexact 0
		.amdhsa_exception_int_div_zero 0
	.end_amdhsa_kernel
	.section	.text._ZN7rocprim17ROCPRIM_400000_NS6detail17trampoline_kernelINS0_14default_configENS1_35adjacent_difference_config_selectorILb1EiEEZNS1_24adjacent_difference_implIS3_Lb1ELb0EPiS7_N6thrust23THRUST_200600_302600_NS5minusIiEEEE10hipError_tPvRmT2_T3_mT4_P12ihipStream_tbEUlT_E_NS1_11comp_targetILNS1_3genE4ELNS1_11target_archE910ELNS1_3gpuE8ELNS1_3repE0EEENS1_30default_config_static_selectorELNS0_4arch9wavefront6targetE1EEEvT1_,"axG",@progbits,_ZN7rocprim17ROCPRIM_400000_NS6detail17trampoline_kernelINS0_14default_configENS1_35adjacent_difference_config_selectorILb1EiEEZNS1_24adjacent_difference_implIS3_Lb1ELb0EPiS7_N6thrust23THRUST_200600_302600_NS5minusIiEEEE10hipError_tPvRmT2_T3_mT4_P12ihipStream_tbEUlT_E_NS1_11comp_targetILNS1_3genE4ELNS1_11target_archE910ELNS1_3gpuE8ELNS1_3repE0EEENS1_30default_config_static_selectorELNS0_4arch9wavefront6targetE1EEEvT1_,comdat
.Lfunc_end122:
	.size	_ZN7rocprim17ROCPRIM_400000_NS6detail17trampoline_kernelINS0_14default_configENS1_35adjacent_difference_config_selectorILb1EiEEZNS1_24adjacent_difference_implIS3_Lb1ELb0EPiS7_N6thrust23THRUST_200600_302600_NS5minusIiEEEE10hipError_tPvRmT2_T3_mT4_P12ihipStream_tbEUlT_E_NS1_11comp_targetILNS1_3genE4ELNS1_11target_archE910ELNS1_3gpuE8ELNS1_3repE0EEENS1_30default_config_static_selectorELNS0_4arch9wavefront6targetE1EEEvT1_, .Lfunc_end122-_ZN7rocprim17ROCPRIM_400000_NS6detail17trampoline_kernelINS0_14default_configENS1_35adjacent_difference_config_selectorILb1EiEEZNS1_24adjacent_difference_implIS3_Lb1ELb0EPiS7_N6thrust23THRUST_200600_302600_NS5minusIiEEEE10hipError_tPvRmT2_T3_mT4_P12ihipStream_tbEUlT_E_NS1_11comp_targetILNS1_3genE4ELNS1_11target_archE910ELNS1_3gpuE8ELNS1_3repE0EEENS1_30default_config_static_selectorELNS0_4arch9wavefront6targetE1EEEvT1_
                                        ; -- End function
	.section	.AMDGPU.csdata,"",@progbits
; Kernel info:
; codeLenInByte = 0
; NumSgprs: 6
; NumVgprs: 0
; NumAgprs: 0
; TotalNumVgprs: 0
; ScratchSize: 0
; MemoryBound: 0
; FloatMode: 240
; IeeeMode: 1
; LDSByteSize: 0 bytes/workgroup (compile time only)
; SGPRBlocks: 0
; VGPRBlocks: 0
; NumSGPRsForWavesPerEU: 6
; NumVGPRsForWavesPerEU: 1
; AccumOffset: 4
; Occupancy: 8
; WaveLimiterHint : 0
; COMPUTE_PGM_RSRC2:SCRATCH_EN: 0
; COMPUTE_PGM_RSRC2:USER_SGPR: 2
; COMPUTE_PGM_RSRC2:TRAP_HANDLER: 0
; COMPUTE_PGM_RSRC2:TGID_X_EN: 1
; COMPUTE_PGM_RSRC2:TGID_Y_EN: 0
; COMPUTE_PGM_RSRC2:TGID_Z_EN: 0
; COMPUTE_PGM_RSRC2:TIDIG_COMP_CNT: 0
; COMPUTE_PGM_RSRC3_GFX90A:ACCUM_OFFSET: 0
; COMPUTE_PGM_RSRC3_GFX90A:TG_SPLIT: 0
	.section	.text._ZN7rocprim17ROCPRIM_400000_NS6detail17trampoline_kernelINS0_14default_configENS1_35adjacent_difference_config_selectorILb1EiEEZNS1_24adjacent_difference_implIS3_Lb1ELb0EPiS7_N6thrust23THRUST_200600_302600_NS5minusIiEEEE10hipError_tPvRmT2_T3_mT4_P12ihipStream_tbEUlT_E_NS1_11comp_targetILNS1_3genE3ELNS1_11target_archE908ELNS1_3gpuE7ELNS1_3repE0EEENS1_30default_config_static_selectorELNS0_4arch9wavefront6targetE1EEEvT1_,"axG",@progbits,_ZN7rocprim17ROCPRIM_400000_NS6detail17trampoline_kernelINS0_14default_configENS1_35adjacent_difference_config_selectorILb1EiEEZNS1_24adjacent_difference_implIS3_Lb1ELb0EPiS7_N6thrust23THRUST_200600_302600_NS5minusIiEEEE10hipError_tPvRmT2_T3_mT4_P12ihipStream_tbEUlT_E_NS1_11comp_targetILNS1_3genE3ELNS1_11target_archE908ELNS1_3gpuE7ELNS1_3repE0EEENS1_30default_config_static_selectorELNS0_4arch9wavefront6targetE1EEEvT1_,comdat
	.protected	_ZN7rocprim17ROCPRIM_400000_NS6detail17trampoline_kernelINS0_14default_configENS1_35adjacent_difference_config_selectorILb1EiEEZNS1_24adjacent_difference_implIS3_Lb1ELb0EPiS7_N6thrust23THRUST_200600_302600_NS5minusIiEEEE10hipError_tPvRmT2_T3_mT4_P12ihipStream_tbEUlT_E_NS1_11comp_targetILNS1_3genE3ELNS1_11target_archE908ELNS1_3gpuE7ELNS1_3repE0EEENS1_30default_config_static_selectorELNS0_4arch9wavefront6targetE1EEEvT1_ ; -- Begin function _ZN7rocprim17ROCPRIM_400000_NS6detail17trampoline_kernelINS0_14default_configENS1_35adjacent_difference_config_selectorILb1EiEEZNS1_24adjacent_difference_implIS3_Lb1ELb0EPiS7_N6thrust23THRUST_200600_302600_NS5minusIiEEEE10hipError_tPvRmT2_T3_mT4_P12ihipStream_tbEUlT_E_NS1_11comp_targetILNS1_3genE3ELNS1_11target_archE908ELNS1_3gpuE7ELNS1_3repE0EEENS1_30default_config_static_selectorELNS0_4arch9wavefront6targetE1EEEvT1_
	.globl	_ZN7rocprim17ROCPRIM_400000_NS6detail17trampoline_kernelINS0_14default_configENS1_35adjacent_difference_config_selectorILb1EiEEZNS1_24adjacent_difference_implIS3_Lb1ELb0EPiS7_N6thrust23THRUST_200600_302600_NS5minusIiEEEE10hipError_tPvRmT2_T3_mT4_P12ihipStream_tbEUlT_E_NS1_11comp_targetILNS1_3genE3ELNS1_11target_archE908ELNS1_3gpuE7ELNS1_3repE0EEENS1_30default_config_static_selectorELNS0_4arch9wavefront6targetE1EEEvT1_
	.p2align	8
	.type	_ZN7rocprim17ROCPRIM_400000_NS6detail17trampoline_kernelINS0_14default_configENS1_35adjacent_difference_config_selectorILb1EiEEZNS1_24adjacent_difference_implIS3_Lb1ELb0EPiS7_N6thrust23THRUST_200600_302600_NS5minusIiEEEE10hipError_tPvRmT2_T3_mT4_P12ihipStream_tbEUlT_E_NS1_11comp_targetILNS1_3genE3ELNS1_11target_archE908ELNS1_3gpuE7ELNS1_3repE0EEENS1_30default_config_static_selectorELNS0_4arch9wavefront6targetE1EEEvT1_,@function
_ZN7rocprim17ROCPRIM_400000_NS6detail17trampoline_kernelINS0_14default_configENS1_35adjacent_difference_config_selectorILb1EiEEZNS1_24adjacent_difference_implIS3_Lb1ELb0EPiS7_N6thrust23THRUST_200600_302600_NS5minusIiEEEE10hipError_tPvRmT2_T3_mT4_P12ihipStream_tbEUlT_E_NS1_11comp_targetILNS1_3genE3ELNS1_11target_archE908ELNS1_3gpuE7ELNS1_3repE0EEENS1_30default_config_static_selectorELNS0_4arch9wavefront6targetE1EEEvT1_: ; @_ZN7rocprim17ROCPRIM_400000_NS6detail17trampoline_kernelINS0_14default_configENS1_35adjacent_difference_config_selectorILb1EiEEZNS1_24adjacent_difference_implIS3_Lb1ELb0EPiS7_N6thrust23THRUST_200600_302600_NS5minusIiEEEE10hipError_tPvRmT2_T3_mT4_P12ihipStream_tbEUlT_E_NS1_11comp_targetILNS1_3genE3ELNS1_11target_archE908ELNS1_3gpuE7ELNS1_3repE0EEENS1_30default_config_static_selectorELNS0_4arch9wavefront6targetE1EEEvT1_
; %bb.0:
	.section	.rodata,"a",@progbits
	.p2align	6, 0x0
	.amdhsa_kernel _ZN7rocprim17ROCPRIM_400000_NS6detail17trampoline_kernelINS0_14default_configENS1_35adjacent_difference_config_selectorILb1EiEEZNS1_24adjacent_difference_implIS3_Lb1ELb0EPiS7_N6thrust23THRUST_200600_302600_NS5minusIiEEEE10hipError_tPvRmT2_T3_mT4_P12ihipStream_tbEUlT_E_NS1_11comp_targetILNS1_3genE3ELNS1_11target_archE908ELNS1_3gpuE7ELNS1_3repE0EEENS1_30default_config_static_selectorELNS0_4arch9wavefront6targetE1EEEvT1_
		.amdhsa_group_segment_fixed_size 0
		.amdhsa_private_segment_fixed_size 0
		.amdhsa_kernarg_size 56
		.amdhsa_user_sgpr_count 2
		.amdhsa_user_sgpr_dispatch_ptr 0
		.amdhsa_user_sgpr_queue_ptr 0
		.amdhsa_user_sgpr_kernarg_segment_ptr 1
		.amdhsa_user_sgpr_dispatch_id 0
		.amdhsa_user_sgpr_kernarg_preload_length 0
		.amdhsa_user_sgpr_kernarg_preload_offset 0
		.amdhsa_user_sgpr_private_segment_size 0
		.amdhsa_uses_dynamic_stack 0
		.amdhsa_enable_private_segment 0
		.amdhsa_system_sgpr_workgroup_id_x 1
		.amdhsa_system_sgpr_workgroup_id_y 0
		.amdhsa_system_sgpr_workgroup_id_z 0
		.amdhsa_system_sgpr_workgroup_info 0
		.amdhsa_system_vgpr_workitem_id 0
		.amdhsa_next_free_vgpr 1
		.amdhsa_next_free_sgpr 0
		.amdhsa_accum_offset 4
		.amdhsa_reserve_vcc 0
		.amdhsa_float_round_mode_32 0
		.amdhsa_float_round_mode_16_64 0
		.amdhsa_float_denorm_mode_32 3
		.amdhsa_float_denorm_mode_16_64 3
		.amdhsa_dx10_clamp 1
		.amdhsa_ieee_mode 1
		.amdhsa_fp16_overflow 0
		.amdhsa_tg_split 0
		.amdhsa_exception_fp_ieee_invalid_op 0
		.amdhsa_exception_fp_denorm_src 0
		.amdhsa_exception_fp_ieee_div_zero 0
		.amdhsa_exception_fp_ieee_overflow 0
		.amdhsa_exception_fp_ieee_underflow 0
		.amdhsa_exception_fp_ieee_inexact 0
		.amdhsa_exception_int_div_zero 0
	.end_amdhsa_kernel
	.section	.text._ZN7rocprim17ROCPRIM_400000_NS6detail17trampoline_kernelINS0_14default_configENS1_35adjacent_difference_config_selectorILb1EiEEZNS1_24adjacent_difference_implIS3_Lb1ELb0EPiS7_N6thrust23THRUST_200600_302600_NS5minusIiEEEE10hipError_tPvRmT2_T3_mT4_P12ihipStream_tbEUlT_E_NS1_11comp_targetILNS1_3genE3ELNS1_11target_archE908ELNS1_3gpuE7ELNS1_3repE0EEENS1_30default_config_static_selectorELNS0_4arch9wavefront6targetE1EEEvT1_,"axG",@progbits,_ZN7rocprim17ROCPRIM_400000_NS6detail17trampoline_kernelINS0_14default_configENS1_35adjacent_difference_config_selectorILb1EiEEZNS1_24adjacent_difference_implIS3_Lb1ELb0EPiS7_N6thrust23THRUST_200600_302600_NS5minusIiEEEE10hipError_tPvRmT2_T3_mT4_P12ihipStream_tbEUlT_E_NS1_11comp_targetILNS1_3genE3ELNS1_11target_archE908ELNS1_3gpuE7ELNS1_3repE0EEENS1_30default_config_static_selectorELNS0_4arch9wavefront6targetE1EEEvT1_,comdat
.Lfunc_end123:
	.size	_ZN7rocprim17ROCPRIM_400000_NS6detail17trampoline_kernelINS0_14default_configENS1_35adjacent_difference_config_selectorILb1EiEEZNS1_24adjacent_difference_implIS3_Lb1ELb0EPiS7_N6thrust23THRUST_200600_302600_NS5minusIiEEEE10hipError_tPvRmT2_T3_mT4_P12ihipStream_tbEUlT_E_NS1_11comp_targetILNS1_3genE3ELNS1_11target_archE908ELNS1_3gpuE7ELNS1_3repE0EEENS1_30default_config_static_selectorELNS0_4arch9wavefront6targetE1EEEvT1_, .Lfunc_end123-_ZN7rocprim17ROCPRIM_400000_NS6detail17trampoline_kernelINS0_14default_configENS1_35adjacent_difference_config_selectorILb1EiEEZNS1_24adjacent_difference_implIS3_Lb1ELb0EPiS7_N6thrust23THRUST_200600_302600_NS5minusIiEEEE10hipError_tPvRmT2_T3_mT4_P12ihipStream_tbEUlT_E_NS1_11comp_targetILNS1_3genE3ELNS1_11target_archE908ELNS1_3gpuE7ELNS1_3repE0EEENS1_30default_config_static_selectorELNS0_4arch9wavefront6targetE1EEEvT1_
                                        ; -- End function
	.section	.AMDGPU.csdata,"",@progbits
; Kernel info:
; codeLenInByte = 0
; NumSgprs: 6
; NumVgprs: 0
; NumAgprs: 0
; TotalNumVgprs: 0
; ScratchSize: 0
; MemoryBound: 0
; FloatMode: 240
; IeeeMode: 1
; LDSByteSize: 0 bytes/workgroup (compile time only)
; SGPRBlocks: 0
; VGPRBlocks: 0
; NumSGPRsForWavesPerEU: 6
; NumVGPRsForWavesPerEU: 1
; AccumOffset: 4
; Occupancy: 8
; WaveLimiterHint : 0
; COMPUTE_PGM_RSRC2:SCRATCH_EN: 0
; COMPUTE_PGM_RSRC2:USER_SGPR: 2
; COMPUTE_PGM_RSRC2:TRAP_HANDLER: 0
; COMPUTE_PGM_RSRC2:TGID_X_EN: 1
; COMPUTE_PGM_RSRC2:TGID_Y_EN: 0
; COMPUTE_PGM_RSRC2:TGID_Z_EN: 0
; COMPUTE_PGM_RSRC2:TIDIG_COMP_CNT: 0
; COMPUTE_PGM_RSRC3_GFX90A:ACCUM_OFFSET: 0
; COMPUTE_PGM_RSRC3_GFX90A:TG_SPLIT: 0
	.section	.text._ZN7rocprim17ROCPRIM_400000_NS6detail17trampoline_kernelINS0_14default_configENS1_35adjacent_difference_config_selectorILb1EiEEZNS1_24adjacent_difference_implIS3_Lb1ELb0EPiS7_N6thrust23THRUST_200600_302600_NS5minusIiEEEE10hipError_tPvRmT2_T3_mT4_P12ihipStream_tbEUlT_E_NS1_11comp_targetILNS1_3genE2ELNS1_11target_archE906ELNS1_3gpuE6ELNS1_3repE0EEENS1_30default_config_static_selectorELNS0_4arch9wavefront6targetE1EEEvT1_,"axG",@progbits,_ZN7rocprim17ROCPRIM_400000_NS6detail17trampoline_kernelINS0_14default_configENS1_35adjacent_difference_config_selectorILb1EiEEZNS1_24adjacent_difference_implIS3_Lb1ELb0EPiS7_N6thrust23THRUST_200600_302600_NS5minusIiEEEE10hipError_tPvRmT2_T3_mT4_P12ihipStream_tbEUlT_E_NS1_11comp_targetILNS1_3genE2ELNS1_11target_archE906ELNS1_3gpuE6ELNS1_3repE0EEENS1_30default_config_static_selectorELNS0_4arch9wavefront6targetE1EEEvT1_,comdat
	.protected	_ZN7rocprim17ROCPRIM_400000_NS6detail17trampoline_kernelINS0_14default_configENS1_35adjacent_difference_config_selectorILb1EiEEZNS1_24adjacent_difference_implIS3_Lb1ELb0EPiS7_N6thrust23THRUST_200600_302600_NS5minusIiEEEE10hipError_tPvRmT2_T3_mT4_P12ihipStream_tbEUlT_E_NS1_11comp_targetILNS1_3genE2ELNS1_11target_archE906ELNS1_3gpuE6ELNS1_3repE0EEENS1_30default_config_static_selectorELNS0_4arch9wavefront6targetE1EEEvT1_ ; -- Begin function _ZN7rocprim17ROCPRIM_400000_NS6detail17trampoline_kernelINS0_14default_configENS1_35adjacent_difference_config_selectorILb1EiEEZNS1_24adjacent_difference_implIS3_Lb1ELb0EPiS7_N6thrust23THRUST_200600_302600_NS5minusIiEEEE10hipError_tPvRmT2_T3_mT4_P12ihipStream_tbEUlT_E_NS1_11comp_targetILNS1_3genE2ELNS1_11target_archE906ELNS1_3gpuE6ELNS1_3repE0EEENS1_30default_config_static_selectorELNS0_4arch9wavefront6targetE1EEEvT1_
	.globl	_ZN7rocprim17ROCPRIM_400000_NS6detail17trampoline_kernelINS0_14default_configENS1_35adjacent_difference_config_selectorILb1EiEEZNS1_24adjacent_difference_implIS3_Lb1ELb0EPiS7_N6thrust23THRUST_200600_302600_NS5minusIiEEEE10hipError_tPvRmT2_T3_mT4_P12ihipStream_tbEUlT_E_NS1_11comp_targetILNS1_3genE2ELNS1_11target_archE906ELNS1_3gpuE6ELNS1_3repE0EEENS1_30default_config_static_selectorELNS0_4arch9wavefront6targetE1EEEvT1_
	.p2align	8
	.type	_ZN7rocprim17ROCPRIM_400000_NS6detail17trampoline_kernelINS0_14default_configENS1_35adjacent_difference_config_selectorILb1EiEEZNS1_24adjacent_difference_implIS3_Lb1ELb0EPiS7_N6thrust23THRUST_200600_302600_NS5minusIiEEEE10hipError_tPvRmT2_T3_mT4_P12ihipStream_tbEUlT_E_NS1_11comp_targetILNS1_3genE2ELNS1_11target_archE906ELNS1_3gpuE6ELNS1_3repE0EEENS1_30default_config_static_selectorELNS0_4arch9wavefront6targetE1EEEvT1_,@function
_ZN7rocprim17ROCPRIM_400000_NS6detail17trampoline_kernelINS0_14default_configENS1_35adjacent_difference_config_selectorILb1EiEEZNS1_24adjacent_difference_implIS3_Lb1ELb0EPiS7_N6thrust23THRUST_200600_302600_NS5minusIiEEEE10hipError_tPvRmT2_T3_mT4_P12ihipStream_tbEUlT_E_NS1_11comp_targetILNS1_3genE2ELNS1_11target_archE906ELNS1_3gpuE6ELNS1_3repE0EEENS1_30default_config_static_selectorELNS0_4arch9wavefront6targetE1EEEvT1_: ; @_ZN7rocprim17ROCPRIM_400000_NS6detail17trampoline_kernelINS0_14default_configENS1_35adjacent_difference_config_selectorILb1EiEEZNS1_24adjacent_difference_implIS3_Lb1ELb0EPiS7_N6thrust23THRUST_200600_302600_NS5minusIiEEEE10hipError_tPvRmT2_T3_mT4_P12ihipStream_tbEUlT_E_NS1_11comp_targetILNS1_3genE2ELNS1_11target_archE906ELNS1_3gpuE6ELNS1_3repE0EEENS1_30default_config_static_selectorELNS0_4arch9wavefront6targetE1EEEvT1_
; %bb.0:
	.section	.rodata,"a",@progbits
	.p2align	6, 0x0
	.amdhsa_kernel _ZN7rocprim17ROCPRIM_400000_NS6detail17trampoline_kernelINS0_14default_configENS1_35adjacent_difference_config_selectorILb1EiEEZNS1_24adjacent_difference_implIS3_Lb1ELb0EPiS7_N6thrust23THRUST_200600_302600_NS5minusIiEEEE10hipError_tPvRmT2_T3_mT4_P12ihipStream_tbEUlT_E_NS1_11comp_targetILNS1_3genE2ELNS1_11target_archE906ELNS1_3gpuE6ELNS1_3repE0EEENS1_30default_config_static_selectorELNS0_4arch9wavefront6targetE1EEEvT1_
		.amdhsa_group_segment_fixed_size 0
		.amdhsa_private_segment_fixed_size 0
		.amdhsa_kernarg_size 56
		.amdhsa_user_sgpr_count 2
		.amdhsa_user_sgpr_dispatch_ptr 0
		.amdhsa_user_sgpr_queue_ptr 0
		.amdhsa_user_sgpr_kernarg_segment_ptr 1
		.amdhsa_user_sgpr_dispatch_id 0
		.amdhsa_user_sgpr_kernarg_preload_length 0
		.amdhsa_user_sgpr_kernarg_preload_offset 0
		.amdhsa_user_sgpr_private_segment_size 0
		.amdhsa_uses_dynamic_stack 0
		.amdhsa_enable_private_segment 0
		.amdhsa_system_sgpr_workgroup_id_x 1
		.amdhsa_system_sgpr_workgroup_id_y 0
		.amdhsa_system_sgpr_workgroup_id_z 0
		.amdhsa_system_sgpr_workgroup_info 0
		.amdhsa_system_vgpr_workitem_id 0
		.amdhsa_next_free_vgpr 1
		.amdhsa_next_free_sgpr 0
		.amdhsa_accum_offset 4
		.amdhsa_reserve_vcc 0
		.amdhsa_float_round_mode_32 0
		.amdhsa_float_round_mode_16_64 0
		.amdhsa_float_denorm_mode_32 3
		.amdhsa_float_denorm_mode_16_64 3
		.amdhsa_dx10_clamp 1
		.amdhsa_ieee_mode 1
		.amdhsa_fp16_overflow 0
		.amdhsa_tg_split 0
		.amdhsa_exception_fp_ieee_invalid_op 0
		.amdhsa_exception_fp_denorm_src 0
		.amdhsa_exception_fp_ieee_div_zero 0
		.amdhsa_exception_fp_ieee_overflow 0
		.amdhsa_exception_fp_ieee_underflow 0
		.amdhsa_exception_fp_ieee_inexact 0
		.amdhsa_exception_int_div_zero 0
	.end_amdhsa_kernel
	.section	.text._ZN7rocprim17ROCPRIM_400000_NS6detail17trampoline_kernelINS0_14default_configENS1_35adjacent_difference_config_selectorILb1EiEEZNS1_24adjacent_difference_implIS3_Lb1ELb0EPiS7_N6thrust23THRUST_200600_302600_NS5minusIiEEEE10hipError_tPvRmT2_T3_mT4_P12ihipStream_tbEUlT_E_NS1_11comp_targetILNS1_3genE2ELNS1_11target_archE906ELNS1_3gpuE6ELNS1_3repE0EEENS1_30default_config_static_selectorELNS0_4arch9wavefront6targetE1EEEvT1_,"axG",@progbits,_ZN7rocprim17ROCPRIM_400000_NS6detail17trampoline_kernelINS0_14default_configENS1_35adjacent_difference_config_selectorILb1EiEEZNS1_24adjacent_difference_implIS3_Lb1ELb0EPiS7_N6thrust23THRUST_200600_302600_NS5minusIiEEEE10hipError_tPvRmT2_T3_mT4_P12ihipStream_tbEUlT_E_NS1_11comp_targetILNS1_3genE2ELNS1_11target_archE906ELNS1_3gpuE6ELNS1_3repE0EEENS1_30default_config_static_selectorELNS0_4arch9wavefront6targetE1EEEvT1_,comdat
.Lfunc_end124:
	.size	_ZN7rocprim17ROCPRIM_400000_NS6detail17trampoline_kernelINS0_14default_configENS1_35adjacent_difference_config_selectorILb1EiEEZNS1_24adjacent_difference_implIS3_Lb1ELb0EPiS7_N6thrust23THRUST_200600_302600_NS5minusIiEEEE10hipError_tPvRmT2_T3_mT4_P12ihipStream_tbEUlT_E_NS1_11comp_targetILNS1_3genE2ELNS1_11target_archE906ELNS1_3gpuE6ELNS1_3repE0EEENS1_30default_config_static_selectorELNS0_4arch9wavefront6targetE1EEEvT1_, .Lfunc_end124-_ZN7rocprim17ROCPRIM_400000_NS6detail17trampoline_kernelINS0_14default_configENS1_35adjacent_difference_config_selectorILb1EiEEZNS1_24adjacent_difference_implIS3_Lb1ELb0EPiS7_N6thrust23THRUST_200600_302600_NS5minusIiEEEE10hipError_tPvRmT2_T3_mT4_P12ihipStream_tbEUlT_E_NS1_11comp_targetILNS1_3genE2ELNS1_11target_archE906ELNS1_3gpuE6ELNS1_3repE0EEENS1_30default_config_static_selectorELNS0_4arch9wavefront6targetE1EEEvT1_
                                        ; -- End function
	.section	.AMDGPU.csdata,"",@progbits
; Kernel info:
; codeLenInByte = 0
; NumSgprs: 6
; NumVgprs: 0
; NumAgprs: 0
; TotalNumVgprs: 0
; ScratchSize: 0
; MemoryBound: 0
; FloatMode: 240
; IeeeMode: 1
; LDSByteSize: 0 bytes/workgroup (compile time only)
; SGPRBlocks: 0
; VGPRBlocks: 0
; NumSGPRsForWavesPerEU: 6
; NumVGPRsForWavesPerEU: 1
; AccumOffset: 4
; Occupancy: 8
; WaveLimiterHint : 0
; COMPUTE_PGM_RSRC2:SCRATCH_EN: 0
; COMPUTE_PGM_RSRC2:USER_SGPR: 2
; COMPUTE_PGM_RSRC2:TRAP_HANDLER: 0
; COMPUTE_PGM_RSRC2:TGID_X_EN: 1
; COMPUTE_PGM_RSRC2:TGID_Y_EN: 0
; COMPUTE_PGM_RSRC2:TGID_Z_EN: 0
; COMPUTE_PGM_RSRC2:TIDIG_COMP_CNT: 0
; COMPUTE_PGM_RSRC3_GFX90A:ACCUM_OFFSET: 0
; COMPUTE_PGM_RSRC3_GFX90A:TG_SPLIT: 0
	.section	.text._ZN7rocprim17ROCPRIM_400000_NS6detail17trampoline_kernelINS0_14default_configENS1_35adjacent_difference_config_selectorILb1EiEEZNS1_24adjacent_difference_implIS3_Lb1ELb0EPiS7_N6thrust23THRUST_200600_302600_NS5minusIiEEEE10hipError_tPvRmT2_T3_mT4_P12ihipStream_tbEUlT_E_NS1_11comp_targetILNS1_3genE9ELNS1_11target_archE1100ELNS1_3gpuE3ELNS1_3repE0EEENS1_30default_config_static_selectorELNS0_4arch9wavefront6targetE1EEEvT1_,"axG",@progbits,_ZN7rocprim17ROCPRIM_400000_NS6detail17trampoline_kernelINS0_14default_configENS1_35adjacent_difference_config_selectorILb1EiEEZNS1_24adjacent_difference_implIS3_Lb1ELb0EPiS7_N6thrust23THRUST_200600_302600_NS5minusIiEEEE10hipError_tPvRmT2_T3_mT4_P12ihipStream_tbEUlT_E_NS1_11comp_targetILNS1_3genE9ELNS1_11target_archE1100ELNS1_3gpuE3ELNS1_3repE0EEENS1_30default_config_static_selectorELNS0_4arch9wavefront6targetE1EEEvT1_,comdat
	.protected	_ZN7rocprim17ROCPRIM_400000_NS6detail17trampoline_kernelINS0_14default_configENS1_35adjacent_difference_config_selectorILb1EiEEZNS1_24adjacent_difference_implIS3_Lb1ELb0EPiS7_N6thrust23THRUST_200600_302600_NS5minusIiEEEE10hipError_tPvRmT2_T3_mT4_P12ihipStream_tbEUlT_E_NS1_11comp_targetILNS1_3genE9ELNS1_11target_archE1100ELNS1_3gpuE3ELNS1_3repE0EEENS1_30default_config_static_selectorELNS0_4arch9wavefront6targetE1EEEvT1_ ; -- Begin function _ZN7rocprim17ROCPRIM_400000_NS6detail17trampoline_kernelINS0_14default_configENS1_35adjacent_difference_config_selectorILb1EiEEZNS1_24adjacent_difference_implIS3_Lb1ELb0EPiS7_N6thrust23THRUST_200600_302600_NS5minusIiEEEE10hipError_tPvRmT2_T3_mT4_P12ihipStream_tbEUlT_E_NS1_11comp_targetILNS1_3genE9ELNS1_11target_archE1100ELNS1_3gpuE3ELNS1_3repE0EEENS1_30default_config_static_selectorELNS0_4arch9wavefront6targetE1EEEvT1_
	.globl	_ZN7rocprim17ROCPRIM_400000_NS6detail17trampoline_kernelINS0_14default_configENS1_35adjacent_difference_config_selectorILb1EiEEZNS1_24adjacent_difference_implIS3_Lb1ELb0EPiS7_N6thrust23THRUST_200600_302600_NS5minusIiEEEE10hipError_tPvRmT2_T3_mT4_P12ihipStream_tbEUlT_E_NS1_11comp_targetILNS1_3genE9ELNS1_11target_archE1100ELNS1_3gpuE3ELNS1_3repE0EEENS1_30default_config_static_selectorELNS0_4arch9wavefront6targetE1EEEvT1_
	.p2align	8
	.type	_ZN7rocprim17ROCPRIM_400000_NS6detail17trampoline_kernelINS0_14default_configENS1_35adjacent_difference_config_selectorILb1EiEEZNS1_24adjacent_difference_implIS3_Lb1ELb0EPiS7_N6thrust23THRUST_200600_302600_NS5minusIiEEEE10hipError_tPvRmT2_T3_mT4_P12ihipStream_tbEUlT_E_NS1_11comp_targetILNS1_3genE9ELNS1_11target_archE1100ELNS1_3gpuE3ELNS1_3repE0EEENS1_30default_config_static_selectorELNS0_4arch9wavefront6targetE1EEEvT1_,@function
_ZN7rocprim17ROCPRIM_400000_NS6detail17trampoline_kernelINS0_14default_configENS1_35adjacent_difference_config_selectorILb1EiEEZNS1_24adjacent_difference_implIS3_Lb1ELb0EPiS7_N6thrust23THRUST_200600_302600_NS5minusIiEEEE10hipError_tPvRmT2_T3_mT4_P12ihipStream_tbEUlT_E_NS1_11comp_targetILNS1_3genE9ELNS1_11target_archE1100ELNS1_3gpuE3ELNS1_3repE0EEENS1_30default_config_static_selectorELNS0_4arch9wavefront6targetE1EEEvT1_: ; @_ZN7rocprim17ROCPRIM_400000_NS6detail17trampoline_kernelINS0_14default_configENS1_35adjacent_difference_config_selectorILb1EiEEZNS1_24adjacent_difference_implIS3_Lb1ELb0EPiS7_N6thrust23THRUST_200600_302600_NS5minusIiEEEE10hipError_tPvRmT2_T3_mT4_P12ihipStream_tbEUlT_E_NS1_11comp_targetILNS1_3genE9ELNS1_11target_archE1100ELNS1_3gpuE3ELNS1_3repE0EEENS1_30default_config_static_selectorELNS0_4arch9wavefront6targetE1EEEvT1_
; %bb.0:
	.section	.rodata,"a",@progbits
	.p2align	6, 0x0
	.amdhsa_kernel _ZN7rocprim17ROCPRIM_400000_NS6detail17trampoline_kernelINS0_14default_configENS1_35adjacent_difference_config_selectorILb1EiEEZNS1_24adjacent_difference_implIS3_Lb1ELb0EPiS7_N6thrust23THRUST_200600_302600_NS5minusIiEEEE10hipError_tPvRmT2_T3_mT4_P12ihipStream_tbEUlT_E_NS1_11comp_targetILNS1_3genE9ELNS1_11target_archE1100ELNS1_3gpuE3ELNS1_3repE0EEENS1_30default_config_static_selectorELNS0_4arch9wavefront6targetE1EEEvT1_
		.amdhsa_group_segment_fixed_size 0
		.amdhsa_private_segment_fixed_size 0
		.amdhsa_kernarg_size 56
		.amdhsa_user_sgpr_count 2
		.amdhsa_user_sgpr_dispatch_ptr 0
		.amdhsa_user_sgpr_queue_ptr 0
		.amdhsa_user_sgpr_kernarg_segment_ptr 1
		.amdhsa_user_sgpr_dispatch_id 0
		.amdhsa_user_sgpr_kernarg_preload_length 0
		.amdhsa_user_sgpr_kernarg_preload_offset 0
		.amdhsa_user_sgpr_private_segment_size 0
		.amdhsa_uses_dynamic_stack 0
		.amdhsa_enable_private_segment 0
		.amdhsa_system_sgpr_workgroup_id_x 1
		.amdhsa_system_sgpr_workgroup_id_y 0
		.amdhsa_system_sgpr_workgroup_id_z 0
		.amdhsa_system_sgpr_workgroup_info 0
		.amdhsa_system_vgpr_workitem_id 0
		.amdhsa_next_free_vgpr 1
		.amdhsa_next_free_sgpr 0
		.amdhsa_accum_offset 4
		.amdhsa_reserve_vcc 0
		.amdhsa_float_round_mode_32 0
		.amdhsa_float_round_mode_16_64 0
		.amdhsa_float_denorm_mode_32 3
		.amdhsa_float_denorm_mode_16_64 3
		.amdhsa_dx10_clamp 1
		.amdhsa_ieee_mode 1
		.amdhsa_fp16_overflow 0
		.amdhsa_tg_split 0
		.amdhsa_exception_fp_ieee_invalid_op 0
		.amdhsa_exception_fp_denorm_src 0
		.amdhsa_exception_fp_ieee_div_zero 0
		.amdhsa_exception_fp_ieee_overflow 0
		.amdhsa_exception_fp_ieee_underflow 0
		.amdhsa_exception_fp_ieee_inexact 0
		.amdhsa_exception_int_div_zero 0
	.end_amdhsa_kernel
	.section	.text._ZN7rocprim17ROCPRIM_400000_NS6detail17trampoline_kernelINS0_14default_configENS1_35adjacent_difference_config_selectorILb1EiEEZNS1_24adjacent_difference_implIS3_Lb1ELb0EPiS7_N6thrust23THRUST_200600_302600_NS5minusIiEEEE10hipError_tPvRmT2_T3_mT4_P12ihipStream_tbEUlT_E_NS1_11comp_targetILNS1_3genE9ELNS1_11target_archE1100ELNS1_3gpuE3ELNS1_3repE0EEENS1_30default_config_static_selectorELNS0_4arch9wavefront6targetE1EEEvT1_,"axG",@progbits,_ZN7rocprim17ROCPRIM_400000_NS6detail17trampoline_kernelINS0_14default_configENS1_35adjacent_difference_config_selectorILb1EiEEZNS1_24adjacent_difference_implIS3_Lb1ELb0EPiS7_N6thrust23THRUST_200600_302600_NS5minusIiEEEE10hipError_tPvRmT2_T3_mT4_P12ihipStream_tbEUlT_E_NS1_11comp_targetILNS1_3genE9ELNS1_11target_archE1100ELNS1_3gpuE3ELNS1_3repE0EEENS1_30default_config_static_selectorELNS0_4arch9wavefront6targetE1EEEvT1_,comdat
.Lfunc_end125:
	.size	_ZN7rocprim17ROCPRIM_400000_NS6detail17trampoline_kernelINS0_14default_configENS1_35adjacent_difference_config_selectorILb1EiEEZNS1_24adjacent_difference_implIS3_Lb1ELb0EPiS7_N6thrust23THRUST_200600_302600_NS5minusIiEEEE10hipError_tPvRmT2_T3_mT4_P12ihipStream_tbEUlT_E_NS1_11comp_targetILNS1_3genE9ELNS1_11target_archE1100ELNS1_3gpuE3ELNS1_3repE0EEENS1_30default_config_static_selectorELNS0_4arch9wavefront6targetE1EEEvT1_, .Lfunc_end125-_ZN7rocprim17ROCPRIM_400000_NS6detail17trampoline_kernelINS0_14default_configENS1_35adjacent_difference_config_selectorILb1EiEEZNS1_24adjacent_difference_implIS3_Lb1ELb0EPiS7_N6thrust23THRUST_200600_302600_NS5minusIiEEEE10hipError_tPvRmT2_T3_mT4_P12ihipStream_tbEUlT_E_NS1_11comp_targetILNS1_3genE9ELNS1_11target_archE1100ELNS1_3gpuE3ELNS1_3repE0EEENS1_30default_config_static_selectorELNS0_4arch9wavefront6targetE1EEEvT1_
                                        ; -- End function
	.section	.AMDGPU.csdata,"",@progbits
; Kernel info:
; codeLenInByte = 0
; NumSgprs: 6
; NumVgprs: 0
; NumAgprs: 0
; TotalNumVgprs: 0
; ScratchSize: 0
; MemoryBound: 0
; FloatMode: 240
; IeeeMode: 1
; LDSByteSize: 0 bytes/workgroup (compile time only)
; SGPRBlocks: 0
; VGPRBlocks: 0
; NumSGPRsForWavesPerEU: 6
; NumVGPRsForWavesPerEU: 1
; AccumOffset: 4
; Occupancy: 8
; WaveLimiterHint : 0
; COMPUTE_PGM_RSRC2:SCRATCH_EN: 0
; COMPUTE_PGM_RSRC2:USER_SGPR: 2
; COMPUTE_PGM_RSRC2:TRAP_HANDLER: 0
; COMPUTE_PGM_RSRC2:TGID_X_EN: 1
; COMPUTE_PGM_RSRC2:TGID_Y_EN: 0
; COMPUTE_PGM_RSRC2:TGID_Z_EN: 0
; COMPUTE_PGM_RSRC2:TIDIG_COMP_CNT: 0
; COMPUTE_PGM_RSRC3_GFX90A:ACCUM_OFFSET: 0
; COMPUTE_PGM_RSRC3_GFX90A:TG_SPLIT: 0
	.section	.text._ZN7rocprim17ROCPRIM_400000_NS6detail17trampoline_kernelINS0_14default_configENS1_35adjacent_difference_config_selectorILb1EiEEZNS1_24adjacent_difference_implIS3_Lb1ELb0EPiS7_N6thrust23THRUST_200600_302600_NS5minusIiEEEE10hipError_tPvRmT2_T3_mT4_P12ihipStream_tbEUlT_E_NS1_11comp_targetILNS1_3genE8ELNS1_11target_archE1030ELNS1_3gpuE2ELNS1_3repE0EEENS1_30default_config_static_selectorELNS0_4arch9wavefront6targetE1EEEvT1_,"axG",@progbits,_ZN7rocprim17ROCPRIM_400000_NS6detail17trampoline_kernelINS0_14default_configENS1_35adjacent_difference_config_selectorILb1EiEEZNS1_24adjacent_difference_implIS3_Lb1ELb0EPiS7_N6thrust23THRUST_200600_302600_NS5minusIiEEEE10hipError_tPvRmT2_T3_mT4_P12ihipStream_tbEUlT_E_NS1_11comp_targetILNS1_3genE8ELNS1_11target_archE1030ELNS1_3gpuE2ELNS1_3repE0EEENS1_30default_config_static_selectorELNS0_4arch9wavefront6targetE1EEEvT1_,comdat
	.protected	_ZN7rocprim17ROCPRIM_400000_NS6detail17trampoline_kernelINS0_14default_configENS1_35adjacent_difference_config_selectorILb1EiEEZNS1_24adjacent_difference_implIS3_Lb1ELb0EPiS7_N6thrust23THRUST_200600_302600_NS5minusIiEEEE10hipError_tPvRmT2_T3_mT4_P12ihipStream_tbEUlT_E_NS1_11comp_targetILNS1_3genE8ELNS1_11target_archE1030ELNS1_3gpuE2ELNS1_3repE0EEENS1_30default_config_static_selectorELNS0_4arch9wavefront6targetE1EEEvT1_ ; -- Begin function _ZN7rocprim17ROCPRIM_400000_NS6detail17trampoline_kernelINS0_14default_configENS1_35adjacent_difference_config_selectorILb1EiEEZNS1_24adjacent_difference_implIS3_Lb1ELb0EPiS7_N6thrust23THRUST_200600_302600_NS5minusIiEEEE10hipError_tPvRmT2_T3_mT4_P12ihipStream_tbEUlT_E_NS1_11comp_targetILNS1_3genE8ELNS1_11target_archE1030ELNS1_3gpuE2ELNS1_3repE0EEENS1_30default_config_static_selectorELNS0_4arch9wavefront6targetE1EEEvT1_
	.globl	_ZN7rocprim17ROCPRIM_400000_NS6detail17trampoline_kernelINS0_14default_configENS1_35adjacent_difference_config_selectorILb1EiEEZNS1_24adjacent_difference_implIS3_Lb1ELb0EPiS7_N6thrust23THRUST_200600_302600_NS5minusIiEEEE10hipError_tPvRmT2_T3_mT4_P12ihipStream_tbEUlT_E_NS1_11comp_targetILNS1_3genE8ELNS1_11target_archE1030ELNS1_3gpuE2ELNS1_3repE0EEENS1_30default_config_static_selectorELNS0_4arch9wavefront6targetE1EEEvT1_
	.p2align	8
	.type	_ZN7rocprim17ROCPRIM_400000_NS6detail17trampoline_kernelINS0_14default_configENS1_35adjacent_difference_config_selectorILb1EiEEZNS1_24adjacent_difference_implIS3_Lb1ELb0EPiS7_N6thrust23THRUST_200600_302600_NS5minusIiEEEE10hipError_tPvRmT2_T3_mT4_P12ihipStream_tbEUlT_E_NS1_11comp_targetILNS1_3genE8ELNS1_11target_archE1030ELNS1_3gpuE2ELNS1_3repE0EEENS1_30default_config_static_selectorELNS0_4arch9wavefront6targetE1EEEvT1_,@function
_ZN7rocprim17ROCPRIM_400000_NS6detail17trampoline_kernelINS0_14default_configENS1_35adjacent_difference_config_selectorILb1EiEEZNS1_24adjacent_difference_implIS3_Lb1ELb0EPiS7_N6thrust23THRUST_200600_302600_NS5minusIiEEEE10hipError_tPvRmT2_T3_mT4_P12ihipStream_tbEUlT_E_NS1_11comp_targetILNS1_3genE8ELNS1_11target_archE1030ELNS1_3gpuE2ELNS1_3repE0EEENS1_30default_config_static_selectorELNS0_4arch9wavefront6targetE1EEEvT1_: ; @_ZN7rocprim17ROCPRIM_400000_NS6detail17trampoline_kernelINS0_14default_configENS1_35adjacent_difference_config_selectorILb1EiEEZNS1_24adjacent_difference_implIS3_Lb1ELb0EPiS7_N6thrust23THRUST_200600_302600_NS5minusIiEEEE10hipError_tPvRmT2_T3_mT4_P12ihipStream_tbEUlT_E_NS1_11comp_targetILNS1_3genE8ELNS1_11target_archE1030ELNS1_3gpuE2ELNS1_3repE0EEENS1_30default_config_static_selectorELNS0_4arch9wavefront6targetE1EEEvT1_
; %bb.0:
	.section	.rodata,"a",@progbits
	.p2align	6, 0x0
	.amdhsa_kernel _ZN7rocprim17ROCPRIM_400000_NS6detail17trampoline_kernelINS0_14default_configENS1_35adjacent_difference_config_selectorILb1EiEEZNS1_24adjacent_difference_implIS3_Lb1ELb0EPiS7_N6thrust23THRUST_200600_302600_NS5minusIiEEEE10hipError_tPvRmT2_T3_mT4_P12ihipStream_tbEUlT_E_NS1_11comp_targetILNS1_3genE8ELNS1_11target_archE1030ELNS1_3gpuE2ELNS1_3repE0EEENS1_30default_config_static_selectorELNS0_4arch9wavefront6targetE1EEEvT1_
		.amdhsa_group_segment_fixed_size 0
		.amdhsa_private_segment_fixed_size 0
		.amdhsa_kernarg_size 56
		.amdhsa_user_sgpr_count 2
		.amdhsa_user_sgpr_dispatch_ptr 0
		.amdhsa_user_sgpr_queue_ptr 0
		.amdhsa_user_sgpr_kernarg_segment_ptr 1
		.amdhsa_user_sgpr_dispatch_id 0
		.amdhsa_user_sgpr_kernarg_preload_length 0
		.amdhsa_user_sgpr_kernarg_preload_offset 0
		.amdhsa_user_sgpr_private_segment_size 0
		.amdhsa_uses_dynamic_stack 0
		.amdhsa_enable_private_segment 0
		.amdhsa_system_sgpr_workgroup_id_x 1
		.amdhsa_system_sgpr_workgroup_id_y 0
		.amdhsa_system_sgpr_workgroup_id_z 0
		.amdhsa_system_sgpr_workgroup_info 0
		.amdhsa_system_vgpr_workitem_id 0
		.amdhsa_next_free_vgpr 1
		.amdhsa_next_free_sgpr 0
		.amdhsa_accum_offset 4
		.amdhsa_reserve_vcc 0
		.amdhsa_float_round_mode_32 0
		.amdhsa_float_round_mode_16_64 0
		.amdhsa_float_denorm_mode_32 3
		.amdhsa_float_denorm_mode_16_64 3
		.amdhsa_dx10_clamp 1
		.amdhsa_ieee_mode 1
		.amdhsa_fp16_overflow 0
		.amdhsa_tg_split 0
		.amdhsa_exception_fp_ieee_invalid_op 0
		.amdhsa_exception_fp_denorm_src 0
		.amdhsa_exception_fp_ieee_div_zero 0
		.amdhsa_exception_fp_ieee_overflow 0
		.amdhsa_exception_fp_ieee_underflow 0
		.amdhsa_exception_fp_ieee_inexact 0
		.amdhsa_exception_int_div_zero 0
	.end_amdhsa_kernel
	.section	.text._ZN7rocprim17ROCPRIM_400000_NS6detail17trampoline_kernelINS0_14default_configENS1_35adjacent_difference_config_selectorILb1EiEEZNS1_24adjacent_difference_implIS3_Lb1ELb0EPiS7_N6thrust23THRUST_200600_302600_NS5minusIiEEEE10hipError_tPvRmT2_T3_mT4_P12ihipStream_tbEUlT_E_NS1_11comp_targetILNS1_3genE8ELNS1_11target_archE1030ELNS1_3gpuE2ELNS1_3repE0EEENS1_30default_config_static_selectorELNS0_4arch9wavefront6targetE1EEEvT1_,"axG",@progbits,_ZN7rocprim17ROCPRIM_400000_NS6detail17trampoline_kernelINS0_14default_configENS1_35adjacent_difference_config_selectorILb1EiEEZNS1_24adjacent_difference_implIS3_Lb1ELb0EPiS7_N6thrust23THRUST_200600_302600_NS5minusIiEEEE10hipError_tPvRmT2_T3_mT4_P12ihipStream_tbEUlT_E_NS1_11comp_targetILNS1_3genE8ELNS1_11target_archE1030ELNS1_3gpuE2ELNS1_3repE0EEENS1_30default_config_static_selectorELNS0_4arch9wavefront6targetE1EEEvT1_,comdat
.Lfunc_end126:
	.size	_ZN7rocprim17ROCPRIM_400000_NS6detail17trampoline_kernelINS0_14default_configENS1_35adjacent_difference_config_selectorILb1EiEEZNS1_24adjacent_difference_implIS3_Lb1ELb0EPiS7_N6thrust23THRUST_200600_302600_NS5minusIiEEEE10hipError_tPvRmT2_T3_mT4_P12ihipStream_tbEUlT_E_NS1_11comp_targetILNS1_3genE8ELNS1_11target_archE1030ELNS1_3gpuE2ELNS1_3repE0EEENS1_30default_config_static_selectorELNS0_4arch9wavefront6targetE1EEEvT1_, .Lfunc_end126-_ZN7rocprim17ROCPRIM_400000_NS6detail17trampoline_kernelINS0_14default_configENS1_35adjacent_difference_config_selectorILb1EiEEZNS1_24adjacent_difference_implIS3_Lb1ELb0EPiS7_N6thrust23THRUST_200600_302600_NS5minusIiEEEE10hipError_tPvRmT2_T3_mT4_P12ihipStream_tbEUlT_E_NS1_11comp_targetILNS1_3genE8ELNS1_11target_archE1030ELNS1_3gpuE2ELNS1_3repE0EEENS1_30default_config_static_selectorELNS0_4arch9wavefront6targetE1EEEvT1_
                                        ; -- End function
	.section	.AMDGPU.csdata,"",@progbits
; Kernel info:
; codeLenInByte = 0
; NumSgprs: 6
; NumVgprs: 0
; NumAgprs: 0
; TotalNumVgprs: 0
; ScratchSize: 0
; MemoryBound: 0
; FloatMode: 240
; IeeeMode: 1
; LDSByteSize: 0 bytes/workgroup (compile time only)
; SGPRBlocks: 0
; VGPRBlocks: 0
; NumSGPRsForWavesPerEU: 6
; NumVGPRsForWavesPerEU: 1
; AccumOffset: 4
; Occupancy: 8
; WaveLimiterHint : 0
; COMPUTE_PGM_RSRC2:SCRATCH_EN: 0
; COMPUTE_PGM_RSRC2:USER_SGPR: 2
; COMPUTE_PGM_RSRC2:TRAP_HANDLER: 0
; COMPUTE_PGM_RSRC2:TGID_X_EN: 1
; COMPUTE_PGM_RSRC2:TGID_Y_EN: 0
; COMPUTE_PGM_RSRC2:TGID_Z_EN: 0
; COMPUTE_PGM_RSRC2:TIDIG_COMP_CNT: 0
; COMPUTE_PGM_RSRC3_GFX90A:ACCUM_OFFSET: 0
; COMPUTE_PGM_RSRC3_GFX90A:TG_SPLIT: 0
	.section	.text._ZN7rocprim17ROCPRIM_400000_NS6detail17trampoline_kernelINS0_14default_configENS1_35adjacent_difference_config_selectorILb0EiEEZNS1_24adjacent_difference_implIS3_Lb0ELb0EPiS7_N6thrust23THRUST_200600_302600_NS4plusIiEEEE10hipError_tPvRmT2_T3_mT4_P12ihipStream_tbEUlT_E_NS1_11comp_targetILNS1_3genE0ELNS1_11target_archE4294967295ELNS1_3gpuE0ELNS1_3repE0EEENS1_30default_config_static_selectorELNS0_4arch9wavefront6targetE1EEEvT1_,"axG",@progbits,_ZN7rocprim17ROCPRIM_400000_NS6detail17trampoline_kernelINS0_14default_configENS1_35adjacent_difference_config_selectorILb0EiEEZNS1_24adjacent_difference_implIS3_Lb0ELb0EPiS7_N6thrust23THRUST_200600_302600_NS4plusIiEEEE10hipError_tPvRmT2_T3_mT4_P12ihipStream_tbEUlT_E_NS1_11comp_targetILNS1_3genE0ELNS1_11target_archE4294967295ELNS1_3gpuE0ELNS1_3repE0EEENS1_30default_config_static_selectorELNS0_4arch9wavefront6targetE1EEEvT1_,comdat
	.protected	_ZN7rocprim17ROCPRIM_400000_NS6detail17trampoline_kernelINS0_14default_configENS1_35adjacent_difference_config_selectorILb0EiEEZNS1_24adjacent_difference_implIS3_Lb0ELb0EPiS7_N6thrust23THRUST_200600_302600_NS4plusIiEEEE10hipError_tPvRmT2_T3_mT4_P12ihipStream_tbEUlT_E_NS1_11comp_targetILNS1_3genE0ELNS1_11target_archE4294967295ELNS1_3gpuE0ELNS1_3repE0EEENS1_30default_config_static_selectorELNS0_4arch9wavefront6targetE1EEEvT1_ ; -- Begin function _ZN7rocprim17ROCPRIM_400000_NS6detail17trampoline_kernelINS0_14default_configENS1_35adjacent_difference_config_selectorILb0EiEEZNS1_24adjacent_difference_implIS3_Lb0ELb0EPiS7_N6thrust23THRUST_200600_302600_NS4plusIiEEEE10hipError_tPvRmT2_T3_mT4_P12ihipStream_tbEUlT_E_NS1_11comp_targetILNS1_3genE0ELNS1_11target_archE4294967295ELNS1_3gpuE0ELNS1_3repE0EEENS1_30default_config_static_selectorELNS0_4arch9wavefront6targetE1EEEvT1_
	.globl	_ZN7rocprim17ROCPRIM_400000_NS6detail17trampoline_kernelINS0_14default_configENS1_35adjacent_difference_config_selectorILb0EiEEZNS1_24adjacent_difference_implIS3_Lb0ELb0EPiS7_N6thrust23THRUST_200600_302600_NS4plusIiEEEE10hipError_tPvRmT2_T3_mT4_P12ihipStream_tbEUlT_E_NS1_11comp_targetILNS1_3genE0ELNS1_11target_archE4294967295ELNS1_3gpuE0ELNS1_3repE0EEENS1_30default_config_static_selectorELNS0_4arch9wavefront6targetE1EEEvT1_
	.p2align	8
	.type	_ZN7rocprim17ROCPRIM_400000_NS6detail17trampoline_kernelINS0_14default_configENS1_35adjacent_difference_config_selectorILb0EiEEZNS1_24adjacent_difference_implIS3_Lb0ELb0EPiS7_N6thrust23THRUST_200600_302600_NS4plusIiEEEE10hipError_tPvRmT2_T3_mT4_P12ihipStream_tbEUlT_E_NS1_11comp_targetILNS1_3genE0ELNS1_11target_archE4294967295ELNS1_3gpuE0ELNS1_3repE0EEENS1_30default_config_static_selectorELNS0_4arch9wavefront6targetE1EEEvT1_,@function
_ZN7rocprim17ROCPRIM_400000_NS6detail17trampoline_kernelINS0_14default_configENS1_35adjacent_difference_config_selectorILb0EiEEZNS1_24adjacent_difference_implIS3_Lb0ELb0EPiS7_N6thrust23THRUST_200600_302600_NS4plusIiEEEE10hipError_tPvRmT2_T3_mT4_P12ihipStream_tbEUlT_E_NS1_11comp_targetILNS1_3genE0ELNS1_11target_archE4294967295ELNS1_3gpuE0ELNS1_3repE0EEENS1_30default_config_static_selectorELNS0_4arch9wavefront6targetE1EEEvT1_: ; @_ZN7rocprim17ROCPRIM_400000_NS6detail17trampoline_kernelINS0_14default_configENS1_35adjacent_difference_config_selectorILb0EiEEZNS1_24adjacent_difference_implIS3_Lb0ELb0EPiS7_N6thrust23THRUST_200600_302600_NS4plusIiEEEE10hipError_tPvRmT2_T3_mT4_P12ihipStream_tbEUlT_E_NS1_11comp_targetILNS1_3genE0ELNS1_11target_archE4294967295ELNS1_3gpuE0ELNS1_3repE0EEENS1_30default_config_static_selectorELNS0_4arch9wavefront6targetE1EEEvT1_
; %bb.0:
	.section	.rodata,"a",@progbits
	.p2align	6, 0x0
	.amdhsa_kernel _ZN7rocprim17ROCPRIM_400000_NS6detail17trampoline_kernelINS0_14default_configENS1_35adjacent_difference_config_selectorILb0EiEEZNS1_24adjacent_difference_implIS3_Lb0ELb0EPiS7_N6thrust23THRUST_200600_302600_NS4plusIiEEEE10hipError_tPvRmT2_T3_mT4_P12ihipStream_tbEUlT_E_NS1_11comp_targetILNS1_3genE0ELNS1_11target_archE4294967295ELNS1_3gpuE0ELNS1_3repE0EEENS1_30default_config_static_selectorELNS0_4arch9wavefront6targetE1EEEvT1_
		.amdhsa_group_segment_fixed_size 0
		.amdhsa_private_segment_fixed_size 0
		.amdhsa_kernarg_size 56
		.amdhsa_user_sgpr_count 2
		.amdhsa_user_sgpr_dispatch_ptr 0
		.amdhsa_user_sgpr_queue_ptr 0
		.amdhsa_user_sgpr_kernarg_segment_ptr 1
		.amdhsa_user_sgpr_dispatch_id 0
		.amdhsa_user_sgpr_kernarg_preload_length 0
		.amdhsa_user_sgpr_kernarg_preload_offset 0
		.amdhsa_user_sgpr_private_segment_size 0
		.amdhsa_uses_dynamic_stack 0
		.amdhsa_enable_private_segment 0
		.amdhsa_system_sgpr_workgroup_id_x 1
		.amdhsa_system_sgpr_workgroup_id_y 0
		.amdhsa_system_sgpr_workgroup_id_z 0
		.amdhsa_system_sgpr_workgroup_info 0
		.amdhsa_system_vgpr_workitem_id 0
		.amdhsa_next_free_vgpr 1
		.amdhsa_next_free_sgpr 0
		.amdhsa_accum_offset 4
		.amdhsa_reserve_vcc 0
		.amdhsa_float_round_mode_32 0
		.amdhsa_float_round_mode_16_64 0
		.amdhsa_float_denorm_mode_32 3
		.amdhsa_float_denorm_mode_16_64 3
		.amdhsa_dx10_clamp 1
		.amdhsa_ieee_mode 1
		.amdhsa_fp16_overflow 0
		.amdhsa_tg_split 0
		.amdhsa_exception_fp_ieee_invalid_op 0
		.amdhsa_exception_fp_denorm_src 0
		.amdhsa_exception_fp_ieee_div_zero 0
		.amdhsa_exception_fp_ieee_overflow 0
		.amdhsa_exception_fp_ieee_underflow 0
		.amdhsa_exception_fp_ieee_inexact 0
		.amdhsa_exception_int_div_zero 0
	.end_amdhsa_kernel
	.section	.text._ZN7rocprim17ROCPRIM_400000_NS6detail17trampoline_kernelINS0_14default_configENS1_35adjacent_difference_config_selectorILb0EiEEZNS1_24adjacent_difference_implIS3_Lb0ELb0EPiS7_N6thrust23THRUST_200600_302600_NS4plusIiEEEE10hipError_tPvRmT2_T3_mT4_P12ihipStream_tbEUlT_E_NS1_11comp_targetILNS1_3genE0ELNS1_11target_archE4294967295ELNS1_3gpuE0ELNS1_3repE0EEENS1_30default_config_static_selectorELNS0_4arch9wavefront6targetE1EEEvT1_,"axG",@progbits,_ZN7rocprim17ROCPRIM_400000_NS6detail17trampoline_kernelINS0_14default_configENS1_35adjacent_difference_config_selectorILb0EiEEZNS1_24adjacent_difference_implIS3_Lb0ELb0EPiS7_N6thrust23THRUST_200600_302600_NS4plusIiEEEE10hipError_tPvRmT2_T3_mT4_P12ihipStream_tbEUlT_E_NS1_11comp_targetILNS1_3genE0ELNS1_11target_archE4294967295ELNS1_3gpuE0ELNS1_3repE0EEENS1_30default_config_static_selectorELNS0_4arch9wavefront6targetE1EEEvT1_,comdat
.Lfunc_end127:
	.size	_ZN7rocprim17ROCPRIM_400000_NS6detail17trampoline_kernelINS0_14default_configENS1_35adjacent_difference_config_selectorILb0EiEEZNS1_24adjacent_difference_implIS3_Lb0ELb0EPiS7_N6thrust23THRUST_200600_302600_NS4plusIiEEEE10hipError_tPvRmT2_T3_mT4_P12ihipStream_tbEUlT_E_NS1_11comp_targetILNS1_3genE0ELNS1_11target_archE4294967295ELNS1_3gpuE0ELNS1_3repE0EEENS1_30default_config_static_selectorELNS0_4arch9wavefront6targetE1EEEvT1_, .Lfunc_end127-_ZN7rocprim17ROCPRIM_400000_NS6detail17trampoline_kernelINS0_14default_configENS1_35adjacent_difference_config_selectorILb0EiEEZNS1_24adjacent_difference_implIS3_Lb0ELb0EPiS7_N6thrust23THRUST_200600_302600_NS4plusIiEEEE10hipError_tPvRmT2_T3_mT4_P12ihipStream_tbEUlT_E_NS1_11comp_targetILNS1_3genE0ELNS1_11target_archE4294967295ELNS1_3gpuE0ELNS1_3repE0EEENS1_30default_config_static_selectorELNS0_4arch9wavefront6targetE1EEEvT1_
                                        ; -- End function
	.section	.AMDGPU.csdata,"",@progbits
; Kernel info:
; codeLenInByte = 0
; NumSgprs: 6
; NumVgprs: 0
; NumAgprs: 0
; TotalNumVgprs: 0
; ScratchSize: 0
; MemoryBound: 0
; FloatMode: 240
; IeeeMode: 1
; LDSByteSize: 0 bytes/workgroup (compile time only)
; SGPRBlocks: 0
; VGPRBlocks: 0
; NumSGPRsForWavesPerEU: 6
; NumVGPRsForWavesPerEU: 1
; AccumOffset: 4
; Occupancy: 8
; WaveLimiterHint : 0
; COMPUTE_PGM_RSRC2:SCRATCH_EN: 0
; COMPUTE_PGM_RSRC2:USER_SGPR: 2
; COMPUTE_PGM_RSRC2:TRAP_HANDLER: 0
; COMPUTE_PGM_RSRC2:TGID_X_EN: 1
; COMPUTE_PGM_RSRC2:TGID_Y_EN: 0
; COMPUTE_PGM_RSRC2:TGID_Z_EN: 0
; COMPUTE_PGM_RSRC2:TIDIG_COMP_CNT: 0
; COMPUTE_PGM_RSRC3_GFX90A:ACCUM_OFFSET: 0
; COMPUTE_PGM_RSRC3_GFX90A:TG_SPLIT: 0
	.section	.text._ZN7rocprim17ROCPRIM_400000_NS6detail17trampoline_kernelINS0_14default_configENS1_35adjacent_difference_config_selectorILb0EiEEZNS1_24adjacent_difference_implIS3_Lb0ELb0EPiS7_N6thrust23THRUST_200600_302600_NS4plusIiEEEE10hipError_tPvRmT2_T3_mT4_P12ihipStream_tbEUlT_E_NS1_11comp_targetILNS1_3genE10ELNS1_11target_archE1201ELNS1_3gpuE5ELNS1_3repE0EEENS1_30default_config_static_selectorELNS0_4arch9wavefront6targetE1EEEvT1_,"axG",@progbits,_ZN7rocprim17ROCPRIM_400000_NS6detail17trampoline_kernelINS0_14default_configENS1_35adjacent_difference_config_selectorILb0EiEEZNS1_24adjacent_difference_implIS3_Lb0ELb0EPiS7_N6thrust23THRUST_200600_302600_NS4plusIiEEEE10hipError_tPvRmT2_T3_mT4_P12ihipStream_tbEUlT_E_NS1_11comp_targetILNS1_3genE10ELNS1_11target_archE1201ELNS1_3gpuE5ELNS1_3repE0EEENS1_30default_config_static_selectorELNS0_4arch9wavefront6targetE1EEEvT1_,comdat
	.protected	_ZN7rocprim17ROCPRIM_400000_NS6detail17trampoline_kernelINS0_14default_configENS1_35adjacent_difference_config_selectorILb0EiEEZNS1_24adjacent_difference_implIS3_Lb0ELb0EPiS7_N6thrust23THRUST_200600_302600_NS4plusIiEEEE10hipError_tPvRmT2_T3_mT4_P12ihipStream_tbEUlT_E_NS1_11comp_targetILNS1_3genE10ELNS1_11target_archE1201ELNS1_3gpuE5ELNS1_3repE0EEENS1_30default_config_static_selectorELNS0_4arch9wavefront6targetE1EEEvT1_ ; -- Begin function _ZN7rocprim17ROCPRIM_400000_NS6detail17trampoline_kernelINS0_14default_configENS1_35adjacent_difference_config_selectorILb0EiEEZNS1_24adjacent_difference_implIS3_Lb0ELb0EPiS7_N6thrust23THRUST_200600_302600_NS4plusIiEEEE10hipError_tPvRmT2_T3_mT4_P12ihipStream_tbEUlT_E_NS1_11comp_targetILNS1_3genE10ELNS1_11target_archE1201ELNS1_3gpuE5ELNS1_3repE0EEENS1_30default_config_static_selectorELNS0_4arch9wavefront6targetE1EEEvT1_
	.globl	_ZN7rocprim17ROCPRIM_400000_NS6detail17trampoline_kernelINS0_14default_configENS1_35adjacent_difference_config_selectorILb0EiEEZNS1_24adjacent_difference_implIS3_Lb0ELb0EPiS7_N6thrust23THRUST_200600_302600_NS4plusIiEEEE10hipError_tPvRmT2_T3_mT4_P12ihipStream_tbEUlT_E_NS1_11comp_targetILNS1_3genE10ELNS1_11target_archE1201ELNS1_3gpuE5ELNS1_3repE0EEENS1_30default_config_static_selectorELNS0_4arch9wavefront6targetE1EEEvT1_
	.p2align	8
	.type	_ZN7rocprim17ROCPRIM_400000_NS6detail17trampoline_kernelINS0_14default_configENS1_35adjacent_difference_config_selectorILb0EiEEZNS1_24adjacent_difference_implIS3_Lb0ELb0EPiS7_N6thrust23THRUST_200600_302600_NS4plusIiEEEE10hipError_tPvRmT2_T3_mT4_P12ihipStream_tbEUlT_E_NS1_11comp_targetILNS1_3genE10ELNS1_11target_archE1201ELNS1_3gpuE5ELNS1_3repE0EEENS1_30default_config_static_selectorELNS0_4arch9wavefront6targetE1EEEvT1_,@function
_ZN7rocprim17ROCPRIM_400000_NS6detail17trampoline_kernelINS0_14default_configENS1_35adjacent_difference_config_selectorILb0EiEEZNS1_24adjacent_difference_implIS3_Lb0ELb0EPiS7_N6thrust23THRUST_200600_302600_NS4plusIiEEEE10hipError_tPvRmT2_T3_mT4_P12ihipStream_tbEUlT_E_NS1_11comp_targetILNS1_3genE10ELNS1_11target_archE1201ELNS1_3gpuE5ELNS1_3repE0EEENS1_30default_config_static_selectorELNS0_4arch9wavefront6targetE1EEEvT1_: ; @_ZN7rocprim17ROCPRIM_400000_NS6detail17trampoline_kernelINS0_14default_configENS1_35adjacent_difference_config_selectorILb0EiEEZNS1_24adjacent_difference_implIS3_Lb0ELb0EPiS7_N6thrust23THRUST_200600_302600_NS4plusIiEEEE10hipError_tPvRmT2_T3_mT4_P12ihipStream_tbEUlT_E_NS1_11comp_targetILNS1_3genE10ELNS1_11target_archE1201ELNS1_3gpuE5ELNS1_3repE0EEENS1_30default_config_static_selectorELNS0_4arch9wavefront6targetE1EEEvT1_
; %bb.0:
	.section	.rodata,"a",@progbits
	.p2align	6, 0x0
	.amdhsa_kernel _ZN7rocprim17ROCPRIM_400000_NS6detail17trampoline_kernelINS0_14default_configENS1_35adjacent_difference_config_selectorILb0EiEEZNS1_24adjacent_difference_implIS3_Lb0ELb0EPiS7_N6thrust23THRUST_200600_302600_NS4plusIiEEEE10hipError_tPvRmT2_T3_mT4_P12ihipStream_tbEUlT_E_NS1_11comp_targetILNS1_3genE10ELNS1_11target_archE1201ELNS1_3gpuE5ELNS1_3repE0EEENS1_30default_config_static_selectorELNS0_4arch9wavefront6targetE1EEEvT1_
		.amdhsa_group_segment_fixed_size 0
		.amdhsa_private_segment_fixed_size 0
		.amdhsa_kernarg_size 56
		.amdhsa_user_sgpr_count 2
		.amdhsa_user_sgpr_dispatch_ptr 0
		.amdhsa_user_sgpr_queue_ptr 0
		.amdhsa_user_sgpr_kernarg_segment_ptr 1
		.amdhsa_user_sgpr_dispatch_id 0
		.amdhsa_user_sgpr_kernarg_preload_length 0
		.amdhsa_user_sgpr_kernarg_preload_offset 0
		.amdhsa_user_sgpr_private_segment_size 0
		.amdhsa_uses_dynamic_stack 0
		.amdhsa_enable_private_segment 0
		.amdhsa_system_sgpr_workgroup_id_x 1
		.amdhsa_system_sgpr_workgroup_id_y 0
		.amdhsa_system_sgpr_workgroup_id_z 0
		.amdhsa_system_sgpr_workgroup_info 0
		.amdhsa_system_vgpr_workitem_id 0
		.amdhsa_next_free_vgpr 1
		.amdhsa_next_free_sgpr 0
		.amdhsa_accum_offset 4
		.amdhsa_reserve_vcc 0
		.amdhsa_float_round_mode_32 0
		.amdhsa_float_round_mode_16_64 0
		.amdhsa_float_denorm_mode_32 3
		.amdhsa_float_denorm_mode_16_64 3
		.amdhsa_dx10_clamp 1
		.amdhsa_ieee_mode 1
		.amdhsa_fp16_overflow 0
		.amdhsa_tg_split 0
		.amdhsa_exception_fp_ieee_invalid_op 0
		.amdhsa_exception_fp_denorm_src 0
		.amdhsa_exception_fp_ieee_div_zero 0
		.amdhsa_exception_fp_ieee_overflow 0
		.amdhsa_exception_fp_ieee_underflow 0
		.amdhsa_exception_fp_ieee_inexact 0
		.amdhsa_exception_int_div_zero 0
	.end_amdhsa_kernel
	.section	.text._ZN7rocprim17ROCPRIM_400000_NS6detail17trampoline_kernelINS0_14default_configENS1_35adjacent_difference_config_selectorILb0EiEEZNS1_24adjacent_difference_implIS3_Lb0ELb0EPiS7_N6thrust23THRUST_200600_302600_NS4plusIiEEEE10hipError_tPvRmT2_T3_mT4_P12ihipStream_tbEUlT_E_NS1_11comp_targetILNS1_3genE10ELNS1_11target_archE1201ELNS1_3gpuE5ELNS1_3repE0EEENS1_30default_config_static_selectorELNS0_4arch9wavefront6targetE1EEEvT1_,"axG",@progbits,_ZN7rocprim17ROCPRIM_400000_NS6detail17trampoline_kernelINS0_14default_configENS1_35adjacent_difference_config_selectorILb0EiEEZNS1_24adjacent_difference_implIS3_Lb0ELb0EPiS7_N6thrust23THRUST_200600_302600_NS4plusIiEEEE10hipError_tPvRmT2_T3_mT4_P12ihipStream_tbEUlT_E_NS1_11comp_targetILNS1_3genE10ELNS1_11target_archE1201ELNS1_3gpuE5ELNS1_3repE0EEENS1_30default_config_static_selectorELNS0_4arch9wavefront6targetE1EEEvT1_,comdat
.Lfunc_end128:
	.size	_ZN7rocprim17ROCPRIM_400000_NS6detail17trampoline_kernelINS0_14default_configENS1_35adjacent_difference_config_selectorILb0EiEEZNS1_24adjacent_difference_implIS3_Lb0ELb0EPiS7_N6thrust23THRUST_200600_302600_NS4plusIiEEEE10hipError_tPvRmT2_T3_mT4_P12ihipStream_tbEUlT_E_NS1_11comp_targetILNS1_3genE10ELNS1_11target_archE1201ELNS1_3gpuE5ELNS1_3repE0EEENS1_30default_config_static_selectorELNS0_4arch9wavefront6targetE1EEEvT1_, .Lfunc_end128-_ZN7rocprim17ROCPRIM_400000_NS6detail17trampoline_kernelINS0_14default_configENS1_35adjacent_difference_config_selectorILb0EiEEZNS1_24adjacent_difference_implIS3_Lb0ELb0EPiS7_N6thrust23THRUST_200600_302600_NS4plusIiEEEE10hipError_tPvRmT2_T3_mT4_P12ihipStream_tbEUlT_E_NS1_11comp_targetILNS1_3genE10ELNS1_11target_archE1201ELNS1_3gpuE5ELNS1_3repE0EEENS1_30default_config_static_selectorELNS0_4arch9wavefront6targetE1EEEvT1_
                                        ; -- End function
	.section	.AMDGPU.csdata,"",@progbits
; Kernel info:
; codeLenInByte = 0
; NumSgprs: 6
; NumVgprs: 0
; NumAgprs: 0
; TotalNumVgprs: 0
; ScratchSize: 0
; MemoryBound: 0
; FloatMode: 240
; IeeeMode: 1
; LDSByteSize: 0 bytes/workgroup (compile time only)
; SGPRBlocks: 0
; VGPRBlocks: 0
; NumSGPRsForWavesPerEU: 6
; NumVGPRsForWavesPerEU: 1
; AccumOffset: 4
; Occupancy: 8
; WaveLimiterHint : 0
; COMPUTE_PGM_RSRC2:SCRATCH_EN: 0
; COMPUTE_PGM_RSRC2:USER_SGPR: 2
; COMPUTE_PGM_RSRC2:TRAP_HANDLER: 0
; COMPUTE_PGM_RSRC2:TGID_X_EN: 1
; COMPUTE_PGM_RSRC2:TGID_Y_EN: 0
; COMPUTE_PGM_RSRC2:TGID_Z_EN: 0
; COMPUTE_PGM_RSRC2:TIDIG_COMP_CNT: 0
; COMPUTE_PGM_RSRC3_GFX90A:ACCUM_OFFSET: 0
; COMPUTE_PGM_RSRC3_GFX90A:TG_SPLIT: 0
	.section	.text._ZN7rocprim17ROCPRIM_400000_NS6detail17trampoline_kernelINS0_14default_configENS1_35adjacent_difference_config_selectorILb0EiEEZNS1_24adjacent_difference_implIS3_Lb0ELb0EPiS7_N6thrust23THRUST_200600_302600_NS4plusIiEEEE10hipError_tPvRmT2_T3_mT4_P12ihipStream_tbEUlT_E_NS1_11comp_targetILNS1_3genE5ELNS1_11target_archE942ELNS1_3gpuE9ELNS1_3repE0EEENS1_30default_config_static_selectorELNS0_4arch9wavefront6targetE1EEEvT1_,"axG",@progbits,_ZN7rocprim17ROCPRIM_400000_NS6detail17trampoline_kernelINS0_14default_configENS1_35adjacent_difference_config_selectorILb0EiEEZNS1_24adjacent_difference_implIS3_Lb0ELb0EPiS7_N6thrust23THRUST_200600_302600_NS4plusIiEEEE10hipError_tPvRmT2_T3_mT4_P12ihipStream_tbEUlT_E_NS1_11comp_targetILNS1_3genE5ELNS1_11target_archE942ELNS1_3gpuE9ELNS1_3repE0EEENS1_30default_config_static_selectorELNS0_4arch9wavefront6targetE1EEEvT1_,comdat
	.protected	_ZN7rocprim17ROCPRIM_400000_NS6detail17trampoline_kernelINS0_14default_configENS1_35adjacent_difference_config_selectorILb0EiEEZNS1_24adjacent_difference_implIS3_Lb0ELb0EPiS7_N6thrust23THRUST_200600_302600_NS4plusIiEEEE10hipError_tPvRmT2_T3_mT4_P12ihipStream_tbEUlT_E_NS1_11comp_targetILNS1_3genE5ELNS1_11target_archE942ELNS1_3gpuE9ELNS1_3repE0EEENS1_30default_config_static_selectorELNS0_4arch9wavefront6targetE1EEEvT1_ ; -- Begin function _ZN7rocprim17ROCPRIM_400000_NS6detail17trampoline_kernelINS0_14default_configENS1_35adjacent_difference_config_selectorILb0EiEEZNS1_24adjacent_difference_implIS3_Lb0ELb0EPiS7_N6thrust23THRUST_200600_302600_NS4plusIiEEEE10hipError_tPvRmT2_T3_mT4_P12ihipStream_tbEUlT_E_NS1_11comp_targetILNS1_3genE5ELNS1_11target_archE942ELNS1_3gpuE9ELNS1_3repE0EEENS1_30default_config_static_selectorELNS0_4arch9wavefront6targetE1EEEvT1_
	.globl	_ZN7rocprim17ROCPRIM_400000_NS6detail17trampoline_kernelINS0_14default_configENS1_35adjacent_difference_config_selectorILb0EiEEZNS1_24adjacent_difference_implIS3_Lb0ELb0EPiS7_N6thrust23THRUST_200600_302600_NS4plusIiEEEE10hipError_tPvRmT2_T3_mT4_P12ihipStream_tbEUlT_E_NS1_11comp_targetILNS1_3genE5ELNS1_11target_archE942ELNS1_3gpuE9ELNS1_3repE0EEENS1_30default_config_static_selectorELNS0_4arch9wavefront6targetE1EEEvT1_
	.p2align	8
	.type	_ZN7rocprim17ROCPRIM_400000_NS6detail17trampoline_kernelINS0_14default_configENS1_35adjacent_difference_config_selectorILb0EiEEZNS1_24adjacent_difference_implIS3_Lb0ELb0EPiS7_N6thrust23THRUST_200600_302600_NS4plusIiEEEE10hipError_tPvRmT2_T3_mT4_P12ihipStream_tbEUlT_E_NS1_11comp_targetILNS1_3genE5ELNS1_11target_archE942ELNS1_3gpuE9ELNS1_3repE0EEENS1_30default_config_static_selectorELNS0_4arch9wavefront6targetE1EEEvT1_,@function
_ZN7rocprim17ROCPRIM_400000_NS6detail17trampoline_kernelINS0_14default_configENS1_35adjacent_difference_config_selectorILb0EiEEZNS1_24adjacent_difference_implIS3_Lb0ELb0EPiS7_N6thrust23THRUST_200600_302600_NS4plusIiEEEE10hipError_tPvRmT2_T3_mT4_P12ihipStream_tbEUlT_E_NS1_11comp_targetILNS1_3genE5ELNS1_11target_archE942ELNS1_3gpuE9ELNS1_3repE0EEENS1_30default_config_static_selectorELNS0_4arch9wavefront6targetE1EEEvT1_: ; @_ZN7rocprim17ROCPRIM_400000_NS6detail17trampoline_kernelINS0_14default_configENS1_35adjacent_difference_config_selectorILb0EiEEZNS1_24adjacent_difference_implIS3_Lb0ELb0EPiS7_N6thrust23THRUST_200600_302600_NS4plusIiEEEE10hipError_tPvRmT2_T3_mT4_P12ihipStream_tbEUlT_E_NS1_11comp_targetILNS1_3genE5ELNS1_11target_archE942ELNS1_3gpuE9ELNS1_3repE0EEENS1_30default_config_static_selectorELNS0_4arch9wavefront6targetE1EEEvT1_
; %bb.0:
	s_load_dwordx8 s[4:11], s[0:1], 0x0
	s_mov_b32 s12, 0x8234f460
	s_movk_i32 s3, 0x740
	s_load_dwordx2 s[0:1], s[0:1], 0x30
	s_waitcnt lgkmcnt(0)
	s_lshl_b64 s[6:7], s[6:7], 2
	s_add_u32 s20, s4, s6
	s_addc_u32 s21, s5, s7
	s_add_u32 s12, 0xec, s12
	s_addc_u32 s14, 0, 0
	v_add_co_u32_e64 v1, s[12:13], s12, 2.0
	s_cmp_lg_u64 s[12:13], 0
	s_addc_u32 s12, s14, 0x234f72
	v_readfirstlane_b32 s14, v1
	s_mul_hi_u32 s15, s14, 0xfffff8c0
	s_mul_i32 s13, s12, 0xfffff8c0
	s_sub_i32 s15, s15, s14
	s_add_i32 s15, s15, s13
	s_mul_i32 s17, s14, 0xfffff8c0
	s_mul_hi_u32 s13, s14, s15
	s_mul_i32 s16, s14, s15
	s_mul_hi_u32 s14, s14, s17
	s_add_u32 s14, s14, s16
	s_addc_u32 s13, 0, s13
	s_mul_hi_u32 s18, s12, s17
	s_mul_i32 s17, s12, s17
	s_add_u32 s14, s14, s17
	s_mul_hi_u32 s16, s12, s15
	s_addc_u32 s13, s13, s18
	s_addc_u32 s14, s16, 0
	s_mul_i32 s15, s12, s15
	s_add_u32 s13, s13, s15
	s_addc_u32 s14, 0, s14
	v_add_co_u32_e32 v1, vcc, s13, v1
	s_cmp_lg_u64 vcc, 0
	s_addc_u32 s12, s12, s14
	v_readfirstlane_b32 s15, v1
	s_mul_i32 s14, s10, s12
	s_mul_hi_u32 s16, s10, s15
	s_mul_hi_u32 s13, s10, s12
	s_add_u32 s14, s16, s14
	s_addc_u32 s13, 0, s13
	s_mul_hi_u32 s17, s11, s15
	s_mul_i32 s15, s11, s15
	s_add_u32 s14, s14, s15
	s_mul_hi_u32 s16, s11, s12
	s_addc_u32 s13, s13, s17
	s_addc_u32 s14, s16, 0
	s_mul_i32 s12, s11, s12
	s_add_u32 s12, s13, s12
	s_addc_u32 s13, 0, s14
	s_add_u32 s14, s12, 1
	s_addc_u32 s15, s13, 0
	s_add_u32 s16, s12, 2
	s_mul_i32 s18, s13, 0x740
	s_mul_hi_u32 s19, s12, 0x740
	s_addc_u32 s17, s13, 0
	s_add_i32 s19, s19, s18
	s_mul_i32 s18, s12, 0x740
	v_mov_b32_e32 v1, s18
	v_sub_co_u32_e32 v1, vcc, s10, v1
	s_cmp_lg_u64 vcc, 0
	s_subb_u32 s18, s11, s19
	v_subrev_co_u32_e32 v2, vcc, s3, v1
	s_cmp_lg_u64 vcc, 0
	s_subb_u32 s3, s18, 0
	v_readfirstlane_b32 s19, v2
	s_cmpk_gt_u32 s19, 0x73f
	s_cselect_b32 s19, -1, 0
	s_cmp_eq_u32 s3, 0
	s_cselect_b32 s3, s19, -1
	s_cmp_lg_u32 s3, 0
	s_cselect_b32 s3, s16, s14
	s_cselect_b32 s14, s17, s15
	v_readfirstlane_b32 s15, v1
	s_cmpk_gt_u32 s15, 0x73f
	s_cselect_b32 s15, -1, 0
	s_cmp_eq_u32 s18, 0
	s_cselect_b32 s15, s15, -1
	s_cmp_lg_u32 s15, 0
	s_cselect_b32 s14, s14, s13
	s_cselect_b32 s3, s3, s12
	s_mul_i32 s12, s14, 0x740
	s_mul_hi_u32 s13, s3, 0x740
	s_add_i32 s13, s13, s12
	s_mul_i32 s12, s3, 0x740
	s_sub_u32 s12, s10, s12
	s_subb_u32 s13, s11, s13
	s_cmp_lg_u64 s[12:13], 0
	s_cselect_b64 s[12:13], -1, 0
	v_cndmask_b32_e64 v1, 0, 1, s[12:13]
	s_mul_i32 s4, s2, 0x740
	v_readfirstlane_b32 s11, v1
	s_add_u32 s12, s3, s11
	s_addc_u32 s13, s14, 0
	s_add_u32 s2, s0, s2
	s_addc_u32 s3, s1, 0
	s_add_u32 s14, s12, -1
	s_addc_u32 s15, s13, -1
	v_mov_b64_e32 v[2:3], s[14:15]
	v_cmp_ge_u64_e64 s[0:1], s[2:3], v[2:3]
	s_mov_b32 s5, 0
	s_mov_b64 s[16:17], -1
	s_and_b64 vcc, exec, s[0:1]
	s_mul_i32 s11, s14, 0xfffff8c0
	s_cbranch_vccz .LBB129_60
; %bb.1:
	s_add_i32 s22, s11, s10
	s_lshl_b64 s[16:17], s[4:5], 2
	s_add_u32 s16, s20, s16
	s_addc_u32 s17, s21, s17
	v_cmp_gt_u32_e32 vcc, s22, v0
                                        ; implicit-def: $vgpr1
	s_and_saveexec_b64 s[18:19], vcc
	s_cbranch_execz .LBB129_3
; %bb.2:
	v_lshlrev_b32_e32 v1, 2, v0
	global_load_dword v1, v1, s[16:17]
.LBB129_3:
	s_or_b64 exec, exec, s[18:19]
	v_or_b32_e32 v2, 64, v0
	v_cmp_gt_u32_e32 vcc, s22, v2
                                        ; implicit-def: $vgpr2
	s_and_saveexec_b64 s[18:19], vcc
	s_cbranch_execz .LBB129_5
; %bb.4:
	v_lshlrev_b32_e32 v2, 2, v0
	global_load_dword v2, v2, s[16:17] offset:256
.LBB129_5:
	s_or_b64 exec, exec, s[18:19]
	v_or_b32_e32 v3, 0x80, v0
	v_cmp_gt_u32_e32 vcc, s22, v3
                                        ; implicit-def: $vgpr3
	s_and_saveexec_b64 s[18:19], vcc
	s_cbranch_execz .LBB129_7
; %bb.6:
	v_lshlrev_b32_e32 v3, 2, v0
	global_load_dword v3, v3, s[16:17] offset:512
.LBB129_7:
	s_or_b64 exec, exec, s[18:19]
	v_or_b32_e32 v4, 0xc0, v0
	v_cmp_gt_u32_e32 vcc, s22, v4
                                        ; implicit-def: $vgpr4
	s_and_saveexec_b64 s[18:19], vcc
	s_cbranch_execz .LBB129_9
; %bb.8:
	v_lshlrev_b32_e32 v4, 2, v0
	global_load_dword v4, v4, s[16:17] offset:768
.LBB129_9:
	s_or_b64 exec, exec, s[18:19]
	v_or_b32_e32 v5, 0x100, v0
	v_cmp_gt_u32_e32 vcc, s22, v5
                                        ; implicit-def: $vgpr5
	s_and_saveexec_b64 s[18:19], vcc
	s_cbranch_execz .LBB129_11
; %bb.10:
	v_lshlrev_b32_e32 v5, 2, v0
	global_load_dword v5, v5, s[16:17] offset:1024
.LBB129_11:
	s_or_b64 exec, exec, s[18:19]
	v_or_b32_e32 v6, 0x140, v0
	v_cmp_gt_u32_e32 vcc, s22, v6
                                        ; implicit-def: $vgpr6
	s_and_saveexec_b64 s[18:19], vcc
	s_cbranch_execz .LBB129_13
; %bb.12:
	v_lshlrev_b32_e32 v6, 2, v0
	global_load_dword v6, v6, s[16:17] offset:1280
.LBB129_13:
	s_or_b64 exec, exec, s[18:19]
	v_or_b32_e32 v7, 0x180, v0
	v_cmp_gt_u32_e32 vcc, s22, v7
                                        ; implicit-def: $vgpr7
	s_and_saveexec_b64 s[18:19], vcc
	s_cbranch_execz .LBB129_15
; %bb.14:
	v_lshlrev_b32_e32 v7, 2, v0
	global_load_dword v7, v7, s[16:17] offset:1536
.LBB129_15:
	s_or_b64 exec, exec, s[18:19]
	v_or_b32_e32 v8, 0x1c0, v0
	v_cmp_gt_u32_e32 vcc, s22, v8
                                        ; implicit-def: $vgpr8
	s_and_saveexec_b64 s[18:19], vcc
	s_cbranch_execz .LBB129_17
; %bb.16:
	v_lshlrev_b32_e32 v8, 2, v0
	global_load_dword v8, v8, s[16:17] offset:1792
.LBB129_17:
	s_or_b64 exec, exec, s[18:19]
	v_or_b32_e32 v9, 0x200, v0
	v_cmp_gt_u32_e32 vcc, s22, v9
                                        ; implicit-def: $vgpr9
	s_and_saveexec_b64 s[18:19], vcc
	s_cbranch_execz .LBB129_19
; %bb.18:
	v_lshlrev_b32_e32 v9, 2, v0
	global_load_dword v9, v9, s[16:17] offset:2048
.LBB129_19:
	s_or_b64 exec, exec, s[18:19]
	v_or_b32_e32 v10, 0x240, v0
	v_cmp_gt_u32_e32 vcc, s22, v10
                                        ; implicit-def: $vgpr10
	s_and_saveexec_b64 s[18:19], vcc
	s_cbranch_execz .LBB129_21
; %bb.20:
	v_lshlrev_b32_e32 v10, 2, v0
	global_load_dword v10, v10, s[16:17] offset:2304
.LBB129_21:
	s_or_b64 exec, exec, s[18:19]
	v_or_b32_e32 v11, 0x280, v0
	v_cmp_gt_u32_e32 vcc, s22, v11
                                        ; implicit-def: $vgpr11
	s_and_saveexec_b64 s[18:19], vcc
	s_cbranch_execz .LBB129_23
; %bb.22:
	v_lshlrev_b32_e32 v11, 2, v0
	global_load_dword v11, v11, s[16:17] offset:2560
.LBB129_23:
	s_or_b64 exec, exec, s[18:19]
	v_or_b32_e32 v12, 0x2c0, v0
	v_cmp_gt_u32_e32 vcc, s22, v12
                                        ; implicit-def: $vgpr12
	s_and_saveexec_b64 s[18:19], vcc
	s_cbranch_execz .LBB129_25
; %bb.24:
	v_lshlrev_b32_e32 v12, 2, v0
	global_load_dword v12, v12, s[16:17] offset:2816
.LBB129_25:
	s_or_b64 exec, exec, s[18:19]
	v_or_b32_e32 v13, 0x300, v0
	v_cmp_gt_u32_e32 vcc, s22, v13
                                        ; implicit-def: $vgpr13
	s_and_saveexec_b64 s[18:19], vcc
	s_cbranch_execz .LBB129_27
; %bb.26:
	v_lshlrev_b32_e32 v13, 2, v0
	global_load_dword v13, v13, s[16:17] offset:3072
.LBB129_27:
	s_or_b64 exec, exec, s[18:19]
	v_or_b32_e32 v14, 0x340, v0
	v_cmp_gt_u32_e32 vcc, s22, v14
                                        ; implicit-def: $vgpr14
	s_and_saveexec_b64 s[18:19], vcc
	s_cbranch_execz .LBB129_29
; %bb.28:
	v_lshlrev_b32_e32 v14, 2, v0
	global_load_dword v14, v14, s[16:17] offset:3328
.LBB129_29:
	s_or_b64 exec, exec, s[18:19]
	v_or_b32_e32 v15, 0x380, v0
	v_cmp_gt_u32_e32 vcc, s22, v15
                                        ; implicit-def: $vgpr15
	s_and_saveexec_b64 s[18:19], vcc
	s_cbranch_execz .LBB129_31
; %bb.30:
	v_lshlrev_b32_e32 v15, 2, v0
	global_load_dword v15, v15, s[16:17] offset:3584
.LBB129_31:
	s_or_b64 exec, exec, s[18:19]
	v_or_b32_e32 v16, 0x3c0, v0
	v_cmp_gt_u32_e32 vcc, s22, v16
                                        ; implicit-def: $vgpr16
	s_and_saveexec_b64 s[18:19], vcc
	s_cbranch_execz .LBB129_33
; %bb.32:
	v_lshlrev_b32_e32 v16, 2, v0
	global_load_dword v16, v16, s[16:17] offset:3840
.LBB129_33:
	s_or_b64 exec, exec, s[18:19]
	v_or_b32_e32 v18, 0x400, v0
	v_cmp_gt_u32_e32 vcc, s22, v18
                                        ; implicit-def: $vgpr17
	s_and_saveexec_b64 s[18:19], vcc
	s_cbranch_execz .LBB129_35
; %bb.34:
	v_lshlrev_b32_e32 v17, 2, v18
	global_load_dword v17, v17, s[16:17]
.LBB129_35:
	s_or_b64 exec, exec, s[18:19]
	v_or_b32_e32 v19, 0x440, v0
	v_cmp_gt_u32_e32 vcc, s22, v19
                                        ; implicit-def: $vgpr18
	s_and_saveexec_b64 s[18:19], vcc
	s_cbranch_execz .LBB129_37
; %bb.36:
	v_lshlrev_b32_e32 v18, 2, v19
	global_load_dword v18, v18, s[16:17]
.LBB129_37:
	s_or_b64 exec, exec, s[18:19]
	v_or_b32_e32 v20, 0x480, v0
	v_cmp_gt_u32_e32 vcc, s22, v20
                                        ; implicit-def: $vgpr19
	s_and_saveexec_b64 s[18:19], vcc
	s_cbranch_execz .LBB129_39
; %bb.38:
	v_lshlrev_b32_e32 v19, 2, v20
	global_load_dword v19, v19, s[16:17]
.LBB129_39:
	s_or_b64 exec, exec, s[18:19]
	v_or_b32_e32 v21, 0x4c0, v0
	v_cmp_gt_u32_e32 vcc, s22, v21
                                        ; implicit-def: $vgpr20
	s_and_saveexec_b64 s[18:19], vcc
	s_cbranch_execz .LBB129_41
; %bb.40:
	v_lshlrev_b32_e32 v20, 2, v21
	global_load_dword v20, v20, s[16:17]
.LBB129_41:
	s_or_b64 exec, exec, s[18:19]
	v_or_b32_e32 v22, 0x500, v0
	v_cmp_gt_u32_e32 vcc, s22, v22
                                        ; implicit-def: $vgpr21
	s_and_saveexec_b64 s[18:19], vcc
	s_cbranch_execz .LBB129_43
; %bb.42:
	v_lshlrev_b32_e32 v21, 2, v22
	global_load_dword v21, v21, s[16:17]
.LBB129_43:
	s_or_b64 exec, exec, s[18:19]
	v_or_b32_e32 v23, 0x540, v0
	v_cmp_gt_u32_e32 vcc, s22, v23
                                        ; implicit-def: $vgpr22
	s_and_saveexec_b64 s[18:19], vcc
	s_cbranch_execz .LBB129_45
; %bb.44:
	v_lshlrev_b32_e32 v22, 2, v23
	global_load_dword v22, v22, s[16:17]
.LBB129_45:
	s_or_b64 exec, exec, s[18:19]
	v_or_b32_e32 v24, 0x580, v0
	v_cmp_gt_u32_e32 vcc, s22, v24
                                        ; implicit-def: $vgpr23
	s_and_saveexec_b64 s[18:19], vcc
	s_cbranch_execz .LBB129_47
; %bb.46:
	v_lshlrev_b32_e32 v23, 2, v24
	global_load_dword v23, v23, s[16:17]
.LBB129_47:
	s_or_b64 exec, exec, s[18:19]
	v_or_b32_e32 v25, 0x5c0, v0
	v_cmp_gt_u32_e32 vcc, s22, v25
                                        ; implicit-def: $vgpr24
	s_and_saveexec_b64 s[18:19], vcc
	s_cbranch_execz .LBB129_49
; %bb.48:
	v_lshlrev_b32_e32 v24, 2, v25
	global_load_dword v24, v24, s[16:17]
.LBB129_49:
	s_or_b64 exec, exec, s[18:19]
	v_or_b32_e32 v26, 0x600, v0
	v_cmp_gt_u32_e32 vcc, s22, v26
                                        ; implicit-def: $vgpr25
	s_and_saveexec_b64 s[18:19], vcc
	s_cbranch_execz .LBB129_51
; %bb.50:
	v_lshlrev_b32_e32 v25, 2, v26
	global_load_dword v25, v25, s[16:17]
.LBB129_51:
	s_or_b64 exec, exec, s[18:19]
	v_or_b32_e32 v27, 0x640, v0
	v_cmp_gt_u32_e32 vcc, s22, v27
                                        ; implicit-def: $vgpr26
	s_and_saveexec_b64 s[18:19], vcc
	s_cbranch_execz .LBB129_53
; %bb.52:
	v_lshlrev_b32_e32 v26, 2, v27
	global_load_dword v26, v26, s[16:17]
.LBB129_53:
	s_or_b64 exec, exec, s[18:19]
	v_or_b32_e32 v28, 0x680, v0
	v_cmp_gt_u32_e32 vcc, s22, v28
                                        ; implicit-def: $vgpr27
	s_and_saveexec_b64 s[18:19], vcc
	s_cbranch_execz .LBB129_55
; %bb.54:
	v_lshlrev_b32_e32 v27, 2, v28
	global_load_dword v27, v27, s[16:17]
.LBB129_55:
	s_or_b64 exec, exec, s[18:19]
	v_or_b32_e32 v29, 0x6c0, v0
	v_cmp_gt_u32_e32 vcc, s22, v29
                                        ; implicit-def: $vgpr28
	s_and_saveexec_b64 s[18:19], vcc
	s_cbranch_execz .LBB129_57
; %bb.56:
	v_lshlrev_b32_e32 v28, 2, v29
	global_load_dword v28, v28, s[16:17]
.LBB129_57:
	s_or_b64 exec, exec, s[18:19]
	v_or_b32_e32 v30, 0x700, v0
	v_cmp_gt_u32_e32 vcc, s22, v30
                                        ; implicit-def: $vgpr29
	s_and_saveexec_b64 s[18:19], vcc
	s_cbranch_execz .LBB129_59
; %bb.58:
	v_lshlrev_b32_e32 v29, 2, v30
	global_load_dword v29, v29, s[16:17]
.LBB129_59:
	s_or_b64 exec, exec, s[18:19]
	v_lshlrev_b32_e32 v30, 2, v0
	s_mov_b64 s[16:17], 0
	s_waitcnt vmcnt(0)
	ds_write2st64_b32 v30, v1, v2 offset1:1
	ds_write2st64_b32 v30, v3, v4 offset0:2 offset1:3
	ds_write2st64_b32 v30, v5, v6 offset0:4 offset1:5
	;; [unrolled: 1-line block ×13, first 2 shown]
	ds_write_b32 v30, v29 offset:7168
	s_waitcnt lgkmcnt(0)
	; wave barrier
.LBB129_60:
	s_and_b64 vcc, exec, s[16:17]
	v_lshlrev_b32_e32 v2, 2, v0
	s_cbranch_vccz .LBB129_62
; %bb.61:
	s_lshl_b64 s[16:17], s[4:5], 2
	s_add_u32 s16, s20, s16
	s_addc_u32 s17, s21, s17
	v_mov_b32_e32 v3, 0
	v_lshl_add_u64 v[4:5], s[16:17], 0, v[2:3]
	s_movk_i32 s5, 0x1000
	v_add_co_u32_e32 v4, vcc, s5, v4
	global_load_dword v1, v2, s[16:17]
	global_load_dword v3, v2, s[16:17] offset:256
	global_load_dword v6, v2, s[16:17] offset:512
	;; [unrolled: 1-line block ×15, first 2 shown]
	v_addc_co_u32_e32 v5, vcc, 0, v5, vcc
	global_load_dword v20, v[4:5], off
	global_load_dword v21, v[4:5], off offset:256
	global_load_dword v22, v[4:5], off offset:512
	;; [unrolled: 1-line block ×12, first 2 shown]
	s_waitcnt vmcnt(27)
	ds_write2st64_b32 v2, v1, v3 offset1:1
	s_waitcnt vmcnt(25)
	ds_write2st64_b32 v2, v6, v7 offset0:2 offset1:3
	s_waitcnt vmcnt(23)
	ds_write2st64_b32 v2, v8, v9 offset0:4 offset1:5
	;; [unrolled: 2-line block ×13, first 2 shown]
	s_waitcnt vmcnt(0)
	ds_write_b32 v2, v32 offset:7168
	s_waitcnt lgkmcnt(0)
	; wave barrier
.LBB129_62:
	v_mul_u32_u24_e32 v1, 29, v0
	v_lshlrev_b32_e32 v1, 2, v1
	s_waitcnt lgkmcnt(0)
	ds_read_b32 v3, v1 offset:112
	ds_read2_b32 v[4:5], v1 offset0:26 offset1:27
	ds_read2_b32 v[6:7], v1 offset0:24 offset1:25
	ds_read2_b32 v[30:31], v1 offset1:1
	ds_read2_b32 v[28:29], v1 offset0:2 offset1:3
	ds_read2_b32 v[26:27], v1 offset0:4 offset1:5
	;; [unrolled: 1-line block ×11, first 2 shown]
	s_cmp_eq_u64 s[2:3], 0
	s_waitcnt lgkmcnt(0)
	; wave barrier
	s_waitcnt lgkmcnt(0)
	s_cbranch_scc1 .LBB129_67
; %bb.63:
	s_mov_b32 s5, 0
	s_lshl_b64 s[16:17], s[4:5], 2
	s_add_u32 s5, s20, s16
	s_addc_u32 s17, s21, s17
	s_add_u32 s16, s5, -4
	s_addc_u32 s17, s17, -1
	s_load_dword s5, s[16:17], 0x0
	s_cmp_eq_u64 s[2:3], s[14:15]
	s_cbranch_scc1 .LBB129_68
; %bb.64:
	v_cmp_ne_u32_e32 vcc, 0, v0
	s_waitcnt lgkmcnt(0)
	v_mov_b32_e32 v1, s5
	ds_write_b32 v2, v3
	s_waitcnt lgkmcnt(0)
	; wave barrier
	s_waitcnt lgkmcnt(0)
	s_and_saveexec_b64 s[14:15], vcc
	s_cbranch_execz .LBB129_66
; %bb.65:
	v_add_u32_e32 v1, -4, v2
	ds_read_b32 v1, v1
.LBB129_66:
	s_or_b64 exec, exec, s[14:15]
	s_waitcnt lgkmcnt(0)
	v_add_u32_e32 v1, v1, v30
	s_mov_b64 s[14:15], 0
	s_branch .LBB129_69
.LBB129_67:
                                        ; implicit-def: $vgpr32_vgpr33
                                        ; implicit-def: $vgpr34_vgpr35
                                        ; implicit-def: $vgpr36_vgpr37
                                        ; implicit-def: $vgpr38_vgpr39
                                        ; implicit-def: $vgpr40_vgpr41
                                        ; implicit-def: $vgpr42_vgpr43
                                        ; implicit-def: $vgpr44_vgpr45
                                        ; implicit-def: $vgpr46_vgpr47
                                        ; implicit-def: $vgpr48_vgpr49
                                        ; implicit-def: $vgpr50_vgpr51
                                        ; implicit-def: $vgpr52_vgpr53
                                        ; implicit-def: $vgpr54_vgpr55
                                        ; implicit-def: $vgpr56_vgpr57
                                        ; implicit-def: $vgpr58_vgpr59
                                        ; implicit-def: $vgpr1
	s_branch .LBB129_74
.LBB129_68:
	s_mov_b64 s[14:15], -1
                                        ; implicit-def: $vgpr1
.LBB129_69:
	s_and_b64 vcc, exec, s[14:15]
	v_mov_b64_e32 v[32:33], v[4:5]
	v_mov_b64_e32 v[34:35], v[6:7]
	;; [unrolled: 1-line block ×14, first 2 shown]
	s_cbranch_vccz .LBB129_73
; %bb.70:
	v_mul_u32_u24_e32 v1, 29, v0
	v_cmp_ne_u32_e32 vcc, 0, v0
	s_waitcnt lgkmcnt(0)
	v_mov_b32_e32 v60, s5
	ds_write_b32 v2, v3
	s_waitcnt lgkmcnt(0)
	; wave barrier
	s_waitcnt lgkmcnt(0)
	s_and_saveexec_b64 s[14:15], vcc
	s_cbranch_execz .LBB129_72
; %bb.71:
	v_add_u32_e32 v32, -4, v2
	ds_read_b32 v60, v32
.LBB129_72:
	s_or_b64 exec, exec, s[14:15]
	s_mulk_i32 s2, 0xf8c0
	s_add_i32 s2, s2, s10
	v_add_u32_e32 v32, 28, v1
	v_add_u32_e32 v34, 27, v1
	v_cmp_gt_u32_e32 vcc, s2, v32
	v_add_u32_e32 v36, 25, v1
	v_add_u32_e32 v38, 23, v1
	v_cndmask_b32_e32 v33, 0, v5, vcc
	v_cmp_gt_u32_e32 vcc, s2, v34
	v_add_u32_e32 v34, 26, v1
	v_add_u32_e32 v40, 21, v1
	v_cndmask_b32_e32 v32, 0, v4, vcc
	;; [unrolled: 4-line block ×8, first 2 shown]
	v_cmp_gt_u32_e32 vcc, s2, v40
	v_add_u32_e32 v61, 1, v1
	s_nop 0
	v_cndmask_b32_e32 v41, 0, v13, vcc
	v_cmp_gt_u32_e32 vcc, s2, v42
	v_add_u32_e32 v42, 18, v1
	s_nop 0
	v_cndmask_b32_e32 v40, 0, v12, vcc
	v_cmp_gt_u32_e32 vcc, s2, v42
	s_nop 1
	v_cndmask_b32_e32 v43, 0, v15, vcc
	v_cmp_gt_u32_e32 vcc, s2, v44
	v_add_u32_e32 v44, 16, v1
	s_nop 0
	v_cndmask_b32_e32 v42, 0, v14, vcc
	v_cmp_gt_u32_e32 vcc, s2, v44
	;; [unrolled: 7-line block ×9, first 2 shown]
	s_nop 1
	v_cndmask_b32_e32 v59, 0, v31, vcc
	v_cmp_gt_u32_e32 vcc, s2, v61
	s_nop 1
	v_cndmask_b32_e32 v58, 0, v30, vcc
	v_cmp_gt_u32_e32 vcc, s2, v1
	s_waitcnt lgkmcnt(0)
	s_nop 0
	v_cndmask_b32_e32 v1, 0, v60, vcc
	v_add_u32_e32 v1, v1, v30
.LBB129_73:
	s_cbranch_execnz .LBB129_83
.LBB129_74:
	s_cmp_eq_u64 s[12:13], 1
	v_cmp_ne_u32_e32 vcc, 0, v0
	s_cbranch_scc1 .LBB129_78
; %bb.75:
	v_mov_b32_e32 v1, v30
	ds_write_b32 v2, v3
	s_waitcnt lgkmcnt(0)
	; wave barrier
	s_waitcnt lgkmcnt(0)
	s_and_saveexec_b64 s[2:3], vcc
	s_cbranch_execz .LBB129_77
; %bb.76:
	v_add_u32_e32 v1, -4, v2
	ds_read_b32 v1, v1
	s_waitcnt lgkmcnt(0)
	v_add_u32_e32 v1, v1, v30
.LBB129_77:
	s_or_b64 exec, exec, s[2:3]
	s_mov_b64 s[2:3], 0
	s_branch .LBB129_79
.LBB129_78:
	s_mov_b64 s[2:3], -1
                                        ; implicit-def: $vgpr1
.LBB129_79:
	s_andn2_b64 vcc, exec, s[2:3]
	v_mov_b64_e32 v[32:33], v[4:5]
	v_mov_b64_e32 v[34:35], v[6:7]
	;; [unrolled: 1-line block ×14, first 2 shown]
	s_cbranch_vccnz .LBB129_83
; %bb.80:
	v_mad_u32_u24 v32, v0, 29, 28
	v_mad_u32_u24 v34, v0, 29, 27
	v_cmp_gt_u32_e32 vcc, s10, v32
	v_mad_u32_u24 v36, v0, 29, 25
	v_mad_u32_u24 v38, v0, 29, 23
	v_cndmask_b32_e32 v33, 0, v5, vcc
	v_cmp_gt_u32_e32 vcc, s10, v34
	v_mad_u32_u24 v34, v0, 29, 26
	v_mad_u32_u24 v40, v0, 29, 21
	v_cndmask_b32_e32 v32, 0, v4, vcc
	;; [unrolled: 4-line block ×8, first 2 shown]
	v_cmp_gt_u32_e32 vcc, s10, v40
	v_mad_u32_u24 v60, v0, 29, 1
	v_mul_u32_u24_e32 v1, 29, v0
	v_cndmask_b32_e32 v41, 0, v13, vcc
	v_cmp_gt_u32_e32 vcc, s10, v42
	v_mad_u32_u24 v42, v0, 29, 18
	v_cmp_gt_u32_e64 s[2:3], s10, v1
	v_cndmask_b32_e32 v40, 0, v12, vcc
	v_cmp_gt_u32_e32 vcc, s10, v42
	ds_write_b32 v2, v3
	s_waitcnt lgkmcnt(0)
	v_cndmask_b32_e32 v43, 0, v15, vcc
	v_cmp_gt_u32_e32 vcc, s10, v44
	v_mad_u32_u24 v44, v0, 29, 16
	; wave barrier
	s_nop 0
	v_cndmask_b32_e32 v42, 0, v14, vcc
	v_cmp_gt_u32_e32 vcc, s10, v44
	s_nop 1
	v_cndmask_b32_e32 v45, 0, v17, vcc
	v_cmp_gt_u32_e32 vcc, s10, v46
	v_mad_u32_u24 v46, v0, 29, 14
	s_nop 0
	v_cndmask_b32_e32 v44, 0, v16, vcc
	v_cmp_gt_u32_e32 vcc, s10, v46
	s_nop 1
	v_cndmask_b32_e32 v47, 0, v19, vcc
	v_cmp_gt_u32_e32 vcc, s10, v48
	v_mad_u32_u24 v48, v0, 29, 12
	;; [unrolled: 7-line block ×7, first 2 shown]
	s_nop 0
	v_cndmask_b32_e32 v56, 0, v28, vcc
	v_cmp_gt_u32_e32 vcc, s10, v58
	s_nop 1
	v_cndmask_b32_e32 v59, 0, v31, vcc
	v_cmp_gt_u32_e32 vcc, s10, v60
	s_nop 1
	v_cndmask_b32_e32 v58, 0, v30, vcc
	v_cmp_ne_u32_e32 vcc, 0, v0
	s_and_b64 s[12:13], vcc, s[2:3]
	s_and_saveexec_b64 s[2:3], s[12:13]
	s_cbranch_execz .LBB129_82
; %bb.81:
	v_add_u32_e32 v1, -4, v2
	ds_read_b32 v1, v1
	s_waitcnt lgkmcnt(0)
	v_add_u32_e32 v30, v1, v30
.LBB129_82:
	s_or_b64 exec, exec, s[2:3]
	v_mov_b32_e32 v1, v30
.LBB129_83:
	s_add_u32 s6, s8, s6
	s_addc_u32 s7, s9, s7
	v_add_u32_e32 v59, v59, v28
	v_add_u32_e32 v58, v58, v31
	;; [unrolled: 1-line block ×28, first 2 shown]
	s_and_b64 vcc, exec, s[0:1]
	s_waitcnt lgkmcnt(0)
	; wave barrier
	s_waitcnt lgkmcnt(0)
	s_cbranch_vccz .LBB129_141
; %bb.84:
	s_movk_i32 s2, 0x74
	v_mul_i32_i24_e32 v63, 0xffffff90, v0
	v_mul_u32_u24_e32 v62, 0x74, v0
	v_mad_u32_u24 v3, v0, s2, v63
	ds_write_b32 v62, v1
	ds_write2_b32 v62, v58, v59 offset0:1 offset1:2
	ds_write2_b32 v62, v56, v57 offset0:3 offset1:4
	ds_write2_b32 v62, v54, v55 offset0:5 offset1:6
	ds_write2_b32 v62, v52, v53 offset0:7 offset1:8
	ds_write2_b32 v62, v50, v51 offset0:9 offset1:10
	ds_write2_b32 v62, v48, v49 offset0:11 offset1:12
	ds_write2_b32 v62, v46, v47 offset0:13 offset1:14
	ds_write2_b32 v62, v44, v45 offset0:15 offset1:16
	ds_write2_b32 v62, v42, v43 offset0:17 offset1:18
	ds_write2_b32 v62, v40, v41 offset0:19 offset1:20
	ds_write2_b32 v62, v38, v39 offset0:21 offset1:22
	ds_write2_b32 v62, v36, v37 offset0:23 offset1:24
	ds_write2_b32 v62, v34, v35 offset0:25 offset1:26
	ds_write2_b32 v62, v61, v60 offset0:27 offset1:28
	s_waitcnt lgkmcnt(0)
	; wave barrier
	s_waitcnt lgkmcnt(0)
	ds_read2st64_b32 v[32:33], v3 offset0:1 offset1:2
	ds_read2st64_b32 v[30:31], v3 offset0:3 offset1:4
	;; [unrolled: 1-line block ×14, first 2 shown]
	s_mov_b32 s5, 0
	s_add_i32 s11, s11, s10
	s_lshl_b64 s[0:1], s[4:5], 2
	s_add_u32 s0, s6, s0
	s_addc_u32 s1, s7, s1
	v_mov_b32_e32 v3, 0
	v_lshl_add_u64 v[6:7], s[0:1], 0, v[2:3]
	v_cmp_gt_u32_e32 vcc, s11, v0
	s_and_saveexec_b64 s[0:1], vcc
	s_cbranch_execz .LBB129_86
; %bb.85:
	v_add_u32_e32 v3, v62, v63
	ds_read_b32 v3, v3
	s_waitcnt lgkmcnt(0)
	global_store_dword v[6:7], v3, off
.LBB129_86:
	s_or_b64 exec, exec, s[0:1]
	v_or_b32_e32 v3, 64, v0
	v_cmp_gt_u32_e32 vcc, s11, v3
	s_and_saveexec_b64 s[0:1], vcc
	s_cbranch_execz .LBB129_88
; %bb.87:
	s_waitcnt lgkmcnt(13)
	global_store_dword v[6:7], v32, off offset:256
.LBB129_88:
	s_or_b64 exec, exec, s[0:1]
	v_or_b32_e32 v3, 0x80, v0
	v_cmp_gt_u32_e32 vcc, s11, v3
	s_and_saveexec_b64 s[0:1], vcc
	s_cbranch_execz .LBB129_90
; %bb.89:
	s_waitcnt lgkmcnt(13)
	global_store_dword v[6:7], v33, off offset:512
.LBB129_90:
	;; [unrolled: 9-line block ×15, first 2 shown]
	s_or_b64 exec, exec, s[0:1]
	v_or_b32_e32 v3, 0x400, v0
	v_cmp_gt_u32_e32 vcc, s11, v3
	s_and_saveexec_b64 s[0:1], vcc
	s_cbranch_execz .LBB129_118
; %bb.117:
	s_waitcnt lgkmcnt(7)
	v_add_co_u32_e32 v20, vcc, 0x1000, v6
	s_nop 1
	v_addc_co_u32_e32 v21, vcc, 0, v7, vcc
	s_waitcnt lgkmcnt(6)
	global_store_dword v[20:21], v19, off
.LBB129_118:
	s_or_b64 exec, exec, s[0:1]
	v_or_b32_e32 v3, 0x440, v0
	v_cmp_gt_u32_e32 vcc, s11, v3
	s_and_saveexec_b64 s[0:1], vcc
	s_cbranch_execz .LBB129_120
; %bb.119:
	s_waitcnt lgkmcnt(6)
	v_add_co_u32_e32 v18, vcc, 0x1000, v6
	s_nop 1
	v_addc_co_u32_e32 v19, vcc, 0, v7, vcc
	s_waitcnt lgkmcnt(5)
	global_store_dword v[18:19], v16, off offset:256
.LBB129_120:
	s_or_b64 exec, exec, s[0:1]
	v_or_b32_e32 v3, 0x480, v0
	v_cmp_gt_u32_e32 vcc, s11, v3
	s_and_saveexec_b64 s[0:1], vcc
	s_cbranch_execz .LBB129_122
; %bb.121:
	s_waitcnt lgkmcnt(6)
	v_add_co_u32_e32 v18, vcc, 0x1000, v6
	s_nop 1
	v_addc_co_u32_e32 v19, vcc, 0, v7, vcc
	s_waitcnt lgkmcnt(5)
	global_store_dword v[18:19], v17, off offset:512
.LBB129_122:
	;; [unrolled: 13-line block ×11, first 2 shown]
	s_or_b64 exec, exec, s[0:1]
	v_or_b32_e32 v3, 0x700, v0
	v_cmp_gt_u32_e64 s[0:1], s11, v3
	s_branch .LBB129_143
.LBB129_141:
	s_mov_b64 s[0:1], 0
                                        ; implicit-def: $vgpr5
                                        ; implicit-def: $vgpr6_vgpr7
	s_cbranch_execz .LBB129_143
; %bb.142:
	s_mov_b32 s5, 0
	v_mul_u32_u24_e32 v3, 0x74, v0
	s_lshl_b64 s[2:3], s[4:5], 2
	s_movk_i32 s4, 0x74
	ds_write_b32 v3, v1
	ds_write2_b32 v3, v58, v59 offset0:1 offset1:2
	ds_write2_b32 v3, v56, v57 offset0:3 offset1:4
	;; [unrolled: 1-line block ×14, first 2 shown]
	v_mul_i32_i24_e32 v1, 0xffffff90, v0
	s_add_u32 s2, s6, s2
	v_mad_u32_u24 v3, v0, s4, v1
	s_addc_u32 s3, s7, s3
	s_waitcnt lgkmcnt(0)
	; wave barrier
	s_waitcnt lgkmcnt(0)
	ds_read2st64_b32 v[0:1], v3 offset1:1
	ds_read2st64_b32 v[8:9], v3 offset0:2 offset1:3
	ds_read2st64_b32 v[10:11], v3 offset0:4 offset1:5
	;; [unrolled: 1-line block ×13, first 2 shown]
	ds_read_b32 v5, v3 offset:7168
	v_mov_b32_e32 v3, 0
	v_lshl_add_u64 v[6:7], s[2:3], 0, v[2:3]
	s_waitcnt lgkmcnt(14)
	global_store_dword v2, v0, s[2:3]
	global_store_dword v2, v1, s[2:3] offset:256
	s_waitcnt lgkmcnt(13)
	global_store_dword v2, v8, s[2:3] offset:512
	global_store_dword v2, v9, s[2:3] offset:768
	s_waitcnt lgkmcnt(12)
	global_store_dword v2, v10, s[2:3] offset:1024
	;; [unrolled: 3-line block ×7, first 2 shown]
	global_store_dword v2, v21, s[2:3] offset:3840
	s_movk_i32 s2, 0x1000
	v_add_co_u32_e32 v0, vcc, s2, v6
	s_or_b64 s[0:1], s[0:1], exec
	s_nop 0
	v_addc_co_u32_e32 v1, vcc, 0, v7, vcc
	s_waitcnt lgkmcnt(6)
	global_store_dword v[0:1], v22, off
	global_store_dword v[0:1], v23, off offset:256
	s_waitcnt lgkmcnt(5)
	global_store_dword v[0:1], v24, off offset:512
	global_store_dword v[0:1], v25, off offset:768
	s_waitcnt lgkmcnt(4)
	global_store_dword v[0:1], v26, off offset:1024
	;; [unrolled: 3-line block ×5, first 2 shown]
	global_store_dword v[0:1], v33, off offset:2816
.LBB129_143:
	s_and_saveexec_b64 s[2:3], s[0:1]
	s_cbranch_execnz .LBB129_145
; %bb.144:
	s_endpgm
.LBB129_145:
	v_add_co_u32_e32 v0, vcc, 0x1000, v6
	s_nop 1
	v_addc_co_u32_e32 v1, vcc, 0, v7, vcc
	s_waitcnt lgkmcnt(0)
	global_store_dword v[0:1], v5, off offset:3072
	s_endpgm
	.section	.rodata,"a",@progbits
	.p2align	6, 0x0
	.amdhsa_kernel _ZN7rocprim17ROCPRIM_400000_NS6detail17trampoline_kernelINS0_14default_configENS1_35adjacent_difference_config_selectorILb0EiEEZNS1_24adjacent_difference_implIS3_Lb0ELb0EPiS7_N6thrust23THRUST_200600_302600_NS4plusIiEEEE10hipError_tPvRmT2_T3_mT4_P12ihipStream_tbEUlT_E_NS1_11comp_targetILNS1_3genE5ELNS1_11target_archE942ELNS1_3gpuE9ELNS1_3repE0EEENS1_30default_config_static_selectorELNS0_4arch9wavefront6targetE1EEEvT1_
		.amdhsa_group_segment_fixed_size 7424
		.amdhsa_private_segment_fixed_size 0
		.amdhsa_kernarg_size 56
		.amdhsa_user_sgpr_count 2
		.amdhsa_user_sgpr_dispatch_ptr 0
		.amdhsa_user_sgpr_queue_ptr 0
		.amdhsa_user_sgpr_kernarg_segment_ptr 1
		.amdhsa_user_sgpr_dispatch_id 0
		.amdhsa_user_sgpr_kernarg_preload_length 0
		.amdhsa_user_sgpr_kernarg_preload_offset 0
		.amdhsa_user_sgpr_private_segment_size 0
		.amdhsa_uses_dynamic_stack 0
		.amdhsa_enable_private_segment 0
		.amdhsa_system_sgpr_workgroup_id_x 1
		.amdhsa_system_sgpr_workgroup_id_y 0
		.amdhsa_system_sgpr_workgroup_id_z 0
		.amdhsa_system_sgpr_workgroup_info 0
		.amdhsa_system_vgpr_workitem_id 0
		.amdhsa_next_free_vgpr 64
		.amdhsa_next_free_sgpr 23
		.amdhsa_accum_offset 64
		.amdhsa_reserve_vcc 1
		.amdhsa_float_round_mode_32 0
		.amdhsa_float_round_mode_16_64 0
		.amdhsa_float_denorm_mode_32 3
		.amdhsa_float_denorm_mode_16_64 3
		.amdhsa_dx10_clamp 1
		.amdhsa_ieee_mode 1
		.amdhsa_fp16_overflow 0
		.amdhsa_tg_split 0
		.amdhsa_exception_fp_ieee_invalid_op 0
		.amdhsa_exception_fp_denorm_src 0
		.amdhsa_exception_fp_ieee_div_zero 0
		.amdhsa_exception_fp_ieee_overflow 0
		.amdhsa_exception_fp_ieee_underflow 0
		.amdhsa_exception_fp_ieee_inexact 0
		.amdhsa_exception_int_div_zero 0
	.end_amdhsa_kernel
	.section	.text._ZN7rocprim17ROCPRIM_400000_NS6detail17trampoline_kernelINS0_14default_configENS1_35adjacent_difference_config_selectorILb0EiEEZNS1_24adjacent_difference_implIS3_Lb0ELb0EPiS7_N6thrust23THRUST_200600_302600_NS4plusIiEEEE10hipError_tPvRmT2_T3_mT4_P12ihipStream_tbEUlT_E_NS1_11comp_targetILNS1_3genE5ELNS1_11target_archE942ELNS1_3gpuE9ELNS1_3repE0EEENS1_30default_config_static_selectorELNS0_4arch9wavefront6targetE1EEEvT1_,"axG",@progbits,_ZN7rocprim17ROCPRIM_400000_NS6detail17trampoline_kernelINS0_14default_configENS1_35adjacent_difference_config_selectorILb0EiEEZNS1_24adjacent_difference_implIS3_Lb0ELb0EPiS7_N6thrust23THRUST_200600_302600_NS4plusIiEEEE10hipError_tPvRmT2_T3_mT4_P12ihipStream_tbEUlT_E_NS1_11comp_targetILNS1_3genE5ELNS1_11target_archE942ELNS1_3gpuE9ELNS1_3repE0EEENS1_30default_config_static_selectorELNS0_4arch9wavefront6targetE1EEEvT1_,comdat
.Lfunc_end129:
	.size	_ZN7rocprim17ROCPRIM_400000_NS6detail17trampoline_kernelINS0_14default_configENS1_35adjacent_difference_config_selectorILb0EiEEZNS1_24adjacent_difference_implIS3_Lb0ELb0EPiS7_N6thrust23THRUST_200600_302600_NS4plusIiEEEE10hipError_tPvRmT2_T3_mT4_P12ihipStream_tbEUlT_E_NS1_11comp_targetILNS1_3genE5ELNS1_11target_archE942ELNS1_3gpuE9ELNS1_3repE0EEENS1_30default_config_static_selectorELNS0_4arch9wavefront6targetE1EEEvT1_, .Lfunc_end129-_ZN7rocprim17ROCPRIM_400000_NS6detail17trampoline_kernelINS0_14default_configENS1_35adjacent_difference_config_selectorILb0EiEEZNS1_24adjacent_difference_implIS3_Lb0ELb0EPiS7_N6thrust23THRUST_200600_302600_NS4plusIiEEEE10hipError_tPvRmT2_T3_mT4_P12ihipStream_tbEUlT_E_NS1_11comp_targetILNS1_3genE5ELNS1_11target_archE942ELNS1_3gpuE9ELNS1_3repE0EEENS1_30default_config_static_selectorELNS0_4arch9wavefront6targetE1EEEvT1_
                                        ; -- End function
	.section	.AMDGPU.csdata,"",@progbits
; Kernel info:
; codeLenInByte = 6064
; NumSgprs: 29
; NumVgprs: 64
; NumAgprs: 0
; TotalNumVgprs: 64
; ScratchSize: 0
; MemoryBound: 0
; FloatMode: 240
; IeeeMode: 1
; LDSByteSize: 7424 bytes/workgroup (compile time only)
; SGPRBlocks: 3
; VGPRBlocks: 7
; NumSGPRsForWavesPerEU: 29
; NumVGPRsForWavesPerEU: 64
; AccumOffset: 64
; Occupancy: 2
; WaveLimiterHint : 1
; COMPUTE_PGM_RSRC2:SCRATCH_EN: 0
; COMPUTE_PGM_RSRC2:USER_SGPR: 2
; COMPUTE_PGM_RSRC2:TRAP_HANDLER: 0
; COMPUTE_PGM_RSRC2:TGID_X_EN: 1
; COMPUTE_PGM_RSRC2:TGID_Y_EN: 0
; COMPUTE_PGM_RSRC2:TGID_Z_EN: 0
; COMPUTE_PGM_RSRC2:TIDIG_COMP_CNT: 0
; COMPUTE_PGM_RSRC3_GFX90A:ACCUM_OFFSET: 15
; COMPUTE_PGM_RSRC3_GFX90A:TG_SPLIT: 0
	.section	.text._ZN7rocprim17ROCPRIM_400000_NS6detail17trampoline_kernelINS0_14default_configENS1_35adjacent_difference_config_selectorILb0EiEEZNS1_24adjacent_difference_implIS3_Lb0ELb0EPiS7_N6thrust23THRUST_200600_302600_NS4plusIiEEEE10hipError_tPvRmT2_T3_mT4_P12ihipStream_tbEUlT_E_NS1_11comp_targetILNS1_3genE4ELNS1_11target_archE910ELNS1_3gpuE8ELNS1_3repE0EEENS1_30default_config_static_selectorELNS0_4arch9wavefront6targetE1EEEvT1_,"axG",@progbits,_ZN7rocprim17ROCPRIM_400000_NS6detail17trampoline_kernelINS0_14default_configENS1_35adjacent_difference_config_selectorILb0EiEEZNS1_24adjacent_difference_implIS3_Lb0ELb0EPiS7_N6thrust23THRUST_200600_302600_NS4plusIiEEEE10hipError_tPvRmT2_T3_mT4_P12ihipStream_tbEUlT_E_NS1_11comp_targetILNS1_3genE4ELNS1_11target_archE910ELNS1_3gpuE8ELNS1_3repE0EEENS1_30default_config_static_selectorELNS0_4arch9wavefront6targetE1EEEvT1_,comdat
	.protected	_ZN7rocprim17ROCPRIM_400000_NS6detail17trampoline_kernelINS0_14default_configENS1_35adjacent_difference_config_selectorILb0EiEEZNS1_24adjacent_difference_implIS3_Lb0ELb0EPiS7_N6thrust23THRUST_200600_302600_NS4plusIiEEEE10hipError_tPvRmT2_T3_mT4_P12ihipStream_tbEUlT_E_NS1_11comp_targetILNS1_3genE4ELNS1_11target_archE910ELNS1_3gpuE8ELNS1_3repE0EEENS1_30default_config_static_selectorELNS0_4arch9wavefront6targetE1EEEvT1_ ; -- Begin function _ZN7rocprim17ROCPRIM_400000_NS6detail17trampoline_kernelINS0_14default_configENS1_35adjacent_difference_config_selectorILb0EiEEZNS1_24adjacent_difference_implIS3_Lb0ELb0EPiS7_N6thrust23THRUST_200600_302600_NS4plusIiEEEE10hipError_tPvRmT2_T3_mT4_P12ihipStream_tbEUlT_E_NS1_11comp_targetILNS1_3genE4ELNS1_11target_archE910ELNS1_3gpuE8ELNS1_3repE0EEENS1_30default_config_static_selectorELNS0_4arch9wavefront6targetE1EEEvT1_
	.globl	_ZN7rocprim17ROCPRIM_400000_NS6detail17trampoline_kernelINS0_14default_configENS1_35adjacent_difference_config_selectorILb0EiEEZNS1_24adjacent_difference_implIS3_Lb0ELb0EPiS7_N6thrust23THRUST_200600_302600_NS4plusIiEEEE10hipError_tPvRmT2_T3_mT4_P12ihipStream_tbEUlT_E_NS1_11comp_targetILNS1_3genE4ELNS1_11target_archE910ELNS1_3gpuE8ELNS1_3repE0EEENS1_30default_config_static_selectorELNS0_4arch9wavefront6targetE1EEEvT1_
	.p2align	8
	.type	_ZN7rocprim17ROCPRIM_400000_NS6detail17trampoline_kernelINS0_14default_configENS1_35adjacent_difference_config_selectorILb0EiEEZNS1_24adjacent_difference_implIS3_Lb0ELb0EPiS7_N6thrust23THRUST_200600_302600_NS4plusIiEEEE10hipError_tPvRmT2_T3_mT4_P12ihipStream_tbEUlT_E_NS1_11comp_targetILNS1_3genE4ELNS1_11target_archE910ELNS1_3gpuE8ELNS1_3repE0EEENS1_30default_config_static_selectorELNS0_4arch9wavefront6targetE1EEEvT1_,@function
_ZN7rocprim17ROCPRIM_400000_NS6detail17trampoline_kernelINS0_14default_configENS1_35adjacent_difference_config_selectorILb0EiEEZNS1_24adjacent_difference_implIS3_Lb0ELb0EPiS7_N6thrust23THRUST_200600_302600_NS4plusIiEEEE10hipError_tPvRmT2_T3_mT4_P12ihipStream_tbEUlT_E_NS1_11comp_targetILNS1_3genE4ELNS1_11target_archE910ELNS1_3gpuE8ELNS1_3repE0EEENS1_30default_config_static_selectorELNS0_4arch9wavefront6targetE1EEEvT1_: ; @_ZN7rocprim17ROCPRIM_400000_NS6detail17trampoline_kernelINS0_14default_configENS1_35adjacent_difference_config_selectorILb0EiEEZNS1_24adjacent_difference_implIS3_Lb0ELb0EPiS7_N6thrust23THRUST_200600_302600_NS4plusIiEEEE10hipError_tPvRmT2_T3_mT4_P12ihipStream_tbEUlT_E_NS1_11comp_targetILNS1_3genE4ELNS1_11target_archE910ELNS1_3gpuE8ELNS1_3repE0EEENS1_30default_config_static_selectorELNS0_4arch9wavefront6targetE1EEEvT1_
; %bb.0:
	.section	.rodata,"a",@progbits
	.p2align	6, 0x0
	.amdhsa_kernel _ZN7rocprim17ROCPRIM_400000_NS6detail17trampoline_kernelINS0_14default_configENS1_35adjacent_difference_config_selectorILb0EiEEZNS1_24adjacent_difference_implIS3_Lb0ELb0EPiS7_N6thrust23THRUST_200600_302600_NS4plusIiEEEE10hipError_tPvRmT2_T3_mT4_P12ihipStream_tbEUlT_E_NS1_11comp_targetILNS1_3genE4ELNS1_11target_archE910ELNS1_3gpuE8ELNS1_3repE0EEENS1_30default_config_static_selectorELNS0_4arch9wavefront6targetE1EEEvT1_
		.amdhsa_group_segment_fixed_size 0
		.amdhsa_private_segment_fixed_size 0
		.amdhsa_kernarg_size 56
		.amdhsa_user_sgpr_count 2
		.amdhsa_user_sgpr_dispatch_ptr 0
		.amdhsa_user_sgpr_queue_ptr 0
		.amdhsa_user_sgpr_kernarg_segment_ptr 1
		.amdhsa_user_sgpr_dispatch_id 0
		.amdhsa_user_sgpr_kernarg_preload_length 0
		.amdhsa_user_sgpr_kernarg_preload_offset 0
		.amdhsa_user_sgpr_private_segment_size 0
		.amdhsa_uses_dynamic_stack 0
		.amdhsa_enable_private_segment 0
		.amdhsa_system_sgpr_workgroup_id_x 1
		.amdhsa_system_sgpr_workgroup_id_y 0
		.amdhsa_system_sgpr_workgroup_id_z 0
		.amdhsa_system_sgpr_workgroup_info 0
		.amdhsa_system_vgpr_workitem_id 0
		.amdhsa_next_free_vgpr 1
		.amdhsa_next_free_sgpr 0
		.amdhsa_accum_offset 4
		.amdhsa_reserve_vcc 0
		.amdhsa_float_round_mode_32 0
		.amdhsa_float_round_mode_16_64 0
		.amdhsa_float_denorm_mode_32 3
		.amdhsa_float_denorm_mode_16_64 3
		.amdhsa_dx10_clamp 1
		.amdhsa_ieee_mode 1
		.amdhsa_fp16_overflow 0
		.amdhsa_tg_split 0
		.amdhsa_exception_fp_ieee_invalid_op 0
		.amdhsa_exception_fp_denorm_src 0
		.amdhsa_exception_fp_ieee_div_zero 0
		.amdhsa_exception_fp_ieee_overflow 0
		.amdhsa_exception_fp_ieee_underflow 0
		.amdhsa_exception_fp_ieee_inexact 0
		.amdhsa_exception_int_div_zero 0
	.end_amdhsa_kernel
	.section	.text._ZN7rocprim17ROCPRIM_400000_NS6detail17trampoline_kernelINS0_14default_configENS1_35adjacent_difference_config_selectorILb0EiEEZNS1_24adjacent_difference_implIS3_Lb0ELb0EPiS7_N6thrust23THRUST_200600_302600_NS4plusIiEEEE10hipError_tPvRmT2_T3_mT4_P12ihipStream_tbEUlT_E_NS1_11comp_targetILNS1_3genE4ELNS1_11target_archE910ELNS1_3gpuE8ELNS1_3repE0EEENS1_30default_config_static_selectorELNS0_4arch9wavefront6targetE1EEEvT1_,"axG",@progbits,_ZN7rocprim17ROCPRIM_400000_NS6detail17trampoline_kernelINS0_14default_configENS1_35adjacent_difference_config_selectorILb0EiEEZNS1_24adjacent_difference_implIS3_Lb0ELb0EPiS7_N6thrust23THRUST_200600_302600_NS4plusIiEEEE10hipError_tPvRmT2_T3_mT4_P12ihipStream_tbEUlT_E_NS1_11comp_targetILNS1_3genE4ELNS1_11target_archE910ELNS1_3gpuE8ELNS1_3repE0EEENS1_30default_config_static_selectorELNS0_4arch9wavefront6targetE1EEEvT1_,comdat
.Lfunc_end130:
	.size	_ZN7rocprim17ROCPRIM_400000_NS6detail17trampoline_kernelINS0_14default_configENS1_35adjacent_difference_config_selectorILb0EiEEZNS1_24adjacent_difference_implIS3_Lb0ELb0EPiS7_N6thrust23THRUST_200600_302600_NS4plusIiEEEE10hipError_tPvRmT2_T3_mT4_P12ihipStream_tbEUlT_E_NS1_11comp_targetILNS1_3genE4ELNS1_11target_archE910ELNS1_3gpuE8ELNS1_3repE0EEENS1_30default_config_static_selectorELNS0_4arch9wavefront6targetE1EEEvT1_, .Lfunc_end130-_ZN7rocprim17ROCPRIM_400000_NS6detail17trampoline_kernelINS0_14default_configENS1_35adjacent_difference_config_selectorILb0EiEEZNS1_24adjacent_difference_implIS3_Lb0ELb0EPiS7_N6thrust23THRUST_200600_302600_NS4plusIiEEEE10hipError_tPvRmT2_T3_mT4_P12ihipStream_tbEUlT_E_NS1_11comp_targetILNS1_3genE4ELNS1_11target_archE910ELNS1_3gpuE8ELNS1_3repE0EEENS1_30default_config_static_selectorELNS0_4arch9wavefront6targetE1EEEvT1_
                                        ; -- End function
	.section	.AMDGPU.csdata,"",@progbits
; Kernel info:
; codeLenInByte = 0
; NumSgprs: 6
; NumVgprs: 0
; NumAgprs: 0
; TotalNumVgprs: 0
; ScratchSize: 0
; MemoryBound: 0
; FloatMode: 240
; IeeeMode: 1
; LDSByteSize: 0 bytes/workgroup (compile time only)
; SGPRBlocks: 0
; VGPRBlocks: 0
; NumSGPRsForWavesPerEU: 6
; NumVGPRsForWavesPerEU: 1
; AccumOffset: 4
; Occupancy: 8
; WaveLimiterHint : 0
; COMPUTE_PGM_RSRC2:SCRATCH_EN: 0
; COMPUTE_PGM_RSRC2:USER_SGPR: 2
; COMPUTE_PGM_RSRC2:TRAP_HANDLER: 0
; COMPUTE_PGM_RSRC2:TGID_X_EN: 1
; COMPUTE_PGM_RSRC2:TGID_Y_EN: 0
; COMPUTE_PGM_RSRC2:TGID_Z_EN: 0
; COMPUTE_PGM_RSRC2:TIDIG_COMP_CNT: 0
; COMPUTE_PGM_RSRC3_GFX90A:ACCUM_OFFSET: 0
; COMPUTE_PGM_RSRC3_GFX90A:TG_SPLIT: 0
	.section	.text._ZN7rocprim17ROCPRIM_400000_NS6detail17trampoline_kernelINS0_14default_configENS1_35adjacent_difference_config_selectorILb0EiEEZNS1_24adjacent_difference_implIS3_Lb0ELb0EPiS7_N6thrust23THRUST_200600_302600_NS4plusIiEEEE10hipError_tPvRmT2_T3_mT4_P12ihipStream_tbEUlT_E_NS1_11comp_targetILNS1_3genE3ELNS1_11target_archE908ELNS1_3gpuE7ELNS1_3repE0EEENS1_30default_config_static_selectorELNS0_4arch9wavefront6targetE1EEEvT1_,"axG",@progbits,_ZN7rocprim17ROCPRIM_400000_NS6detail17trampoline_kernelINS0_14default_configENS1_35adjacent_difference_config_selectorILb0EiEEZNS1_24adjacent_difference_implIS3_Lb0ELb0EPiS7_N6thrust23THRUST_200600_302600_NS4plusIiEEEE10hipError_tPvRmT2_T3_mT4_P12ihipStream_tbEUlT_E_NS1_11comp_targetILNS1_3genE3ELNS1_11target_archE908ELNS1_3gpuE7ELNS1_3repE0EEENS1_30default_config_static_selectorELNS0_4arch9wavefront6targetE1EEEvT1_,comdat
	.protected	_ZN7rocprim17ROCPRIM_400000_NS6detail17trampoline_kernelINS0_14default_configENS1_35adjacent_difference_config_selectorILb0EiEEZNS1_24adjacent_difference_implIS3_Lb0ELb0EPiS7_N6thrust23THRUST_200600_302600_NS4plusIiEEEE10hipError_tPvRmT2_T3_mT4_P12ihipStream_tbEUlT_E_NS1_11comp_targetILNS1_3genE3ELNS1_11target_archE908ELNS1_3gpuE7ELNS1_3repE0EEENS1_30default_config_static_selectorELNS0_4arch9wavefront6targetE1EEEvT1_ ; -- Begin function _ZN7rocprim17ROCPRIM_400000_NS6detail17trampoline_kernelINS0_14default_configENS1_35adjacent_difference_config_selectorILb0EiEEZNS1_24adjacent_difference_implIS3_Lb0ELb0EPiS7_N6thrust23THRUST_200600_302600_NS4plusIiEEEE10hipError_tPvRmT2_T3_mT4_P12ihipStream_tbEUlT_E_NS1_11comp_targetILNS1_3genE3ELNS1_11target_archE908ELNS1_3gpuE7ELNS1_3repE0EEENS1_30default_config_static_selectorELNS0_4arch9wavefront6targetE1EEEvT1_
	.globl	_ZN7rocprim17ROCPRIM_400000_NS6detail17trampoline_kernelINS0_14default_configENS1_35adjacent_difference_config_selectorILb0EiEEZNS1_24adjacent_difference_implIS3_Lb0ELb0EPiS7_N6thrust23THRUST_200600_302600_NS4plusIiEEEE10hipError_tPvRmT2_T3_mT4_P12ihipStream_tbEUlT_E_NS1_11comp_targetILNS1_3genE3ELNS1_11target_archE908ELNS1_3gpuE7ELNS1_3repE0EEENS1_30default_config_static_selectorELNS0_4arch9wavefront6targetE1EEEvT1_
	.p2align	8
	.type	_ZN7rocprim17ROCPRIM_400000_NS6detail17trampoline_kernelINS0_14default_configENS1_35adjacent_difference_config_selectorILb0EiEEZNS1_24adjacent_difference_implIS3_Lb0ELb0EPiS7_N6thrust23THRUST_200600_302600_NS4plusIiEEEE10hipError_tPvRmT2_T3_mT4_P12ihipStream_tbEUlT_E_NS1_11comp_targetILNS1_3genE3ELNS1_11target_archE908ELNS1_3gpuE7ELNS1_3repE0EEENS1_30default_config_static_selectorELNS0_4arch9wavefront6targetE1EEEvT1_,@function
_ZN7rocprim17ROCPRIM_400000_NS6detail17trampoline_kernelINS0_14default_configENS1_35adjacent_difference_config_selectorILb0EiEEZNS1_24adjacent_difference_implIS3_Lb0ELb0EPiS7_N6thrust23THRUST_200600_302600_NS4plusIiEEEE10hipError_tPvRmT2_T3_mT4_P12ihipStream_tbEUlT_E_NS1_11comp_targetILNS1_3genE3ELNS1_11target_archE908ELNS1_3gpuE7ELNS1_3repE0EEENS1_30default_config_static_selectorELNS0_4arch9wavefront6targetE1EEEvT1_: ; @_ZN7rocprim17ROCPRIM_400000_NS6detail17trampoline_kernelINS0_14default_configENS1_35adjacent_difference_config_selectorILb0EiEEZNS1_24adjacent_difference_implIS3_Lb0ELb0EPiS7_N6thrust23THRUST_200600_302600_NS4plusIiEEEE10hipError_tPvRmT2_T3_mT4_P12ihipStream_tbEUlT_E_NS1_11comp_targetILNS1_3genE3ELNS1_11target_archE908ELNS1_3gpuE7ELNS1_3repE0EEENS1_30default_config_static_selectorELNS0_4arch9wavefront6targetE1EEEvT1_
; %bb.0:
	.section	.rodata,"a",@progbits
	.p2align	6, 0x0
	.amdhsa_kernel _ZN7rocprim17ROCPRIM_400000_NS6detail17trampoline_kernelINS0_14default_configENS1_35adjacent_difference_config_selectorILb0EiEEZNS1_24adjacent_difference_implIS3_Lb0ELb0EPiS7_N6thrust23THRUST_200600_302600_NS4plusIiEEEE10hipError_tPvRmT2_T3_mT4_P12ihipStream_tbEUlT_E_NS1_11comp_targetILNS1_3genE3ELNS1_11target_archE908ELNS1_3gpuE7ELNS1_3repE0EEENS1_30default_config_static_selectorELNS0_4arch9wavefront6targetE1EEEvT1_
		.amdhsa_group_segment_fixed_size 0
		.amdhsa_private_segment_fixed_size 0
		.amdhsa_kernarg_size 56
		.amdhsa_user_sgpr_count 2
		.amdhsa_user_sgpr_dispatch_ptr 0
		.amdhsa_user_sgpr_queue_ptr 0
		.amdhsa_user_sgpr_kernarg_segment_ptr 1
		.amdhsa_user_sgpr_dispatch_id 0
		.amdhsa_user_sgpr_kernarg_preload_length 0
		.amdhsa_user_sgpr_kernarg_preload_offset 0
		.amdhsa_user_sgpr_private_segment_size 0
		.amdhsa_uses_dynamic_stack 0
		.amdhsa_enable_private_segment 0
		.amdhsa_system_sgpr_workgroup_id_x 1
		.amdhsa_system_sgpr_workgroup_id_y 0
		.amdhsa_system_sgpr_workgroup_id_z 0
		.amdhsa_system_sgpr_workgroup_info 0
		.amdhsa_system_vgpr_workitem_id 0
		.amdhsa_next_free_vgpr 1
		.amdhsa_next_free_sgpr 0
		.amdhsa_accum_offset 4
		.amdhsa_reserve_vcc 0
		.amdhsa_float_round_mode_32 0
		.amdhsa_float_round_mode_16_64 0
		.amdhsa_float_denorm_mode_32 3
		.amdhsa_float_denorm_mode_16_64 3
		.amdhsa_dx10_clamp 1
		.amdhsa_ieee_mode 1
		.amdhsa_fp16_overflow 0
		.amdhsa_tg_split 0
		.amdhsa_exception_fp_ieee_invalid_op 0
		.amdhsa_exception_fp_denorm_src 0
		.amdhsa_exception_fp_ieee_div_zero 0
		.amdhsa_exception_fp_ieee_overflow 0
		.amdhsa_exception_fp_ieee_underflow 0
		.amdhsa_exception_fp_ieee_inexact 0
		.amdhsa_exception_int_div_zero 0
	.end_amdhsa_kernel
	.section	.text._ZN7rocprim17ROCPRIM_400000_NS6detail17trampoline_kernelINS0_14default_configENS1_35adjacent_difference_config_selectorILb0EiEEZNS1_24adjacent_difference_implIS3_Lb0ELb0EPiS7_N6thrust23THRUST_200600_302600_NS4plusIiEEEE10hipError_tPvRmT2_T3_mT4_P12ihipStream_tbEUlT_E_NS1_11comp_targetILNS1_3genE3ELNS1_11target_archE908ELNS1_3gpuE7ELNS1_3repE0EEENS1_30default_config_static_selectorELNS0_4arch9wavefront6targetE1EEEvT1_,"axG",@progbits,_ZN7rocprim17ROCPRIM_400000_NS6detail17trampoline_kernelINS0_14default_configENS1_35adjacent_difference_config_selectorILb0EiEEZNS1_24adjacent_difference_implIS3_Lb0ELb0EPiS7_N6thrust23THRUST_200600_302600_NS4plusIiEEEE10hipError_tPvRmT2_T3_mT4_P12ihipStream_tbEUlT_E_NS1_11comp_targetILNS1_3genE3ELNS1_11target_archE908ELNS1_3gpuE7ELNS1_3repE0EEENS1_30default_config_static_selectorELNS0_4arch9wavefront6targetE1EEEvT1_,comdat
.Lfunc_end131:
	.size	_ZN7rocprim17ROCPRIM_400000_NS6detail17trampoline_kernelINS0_14default_configENS1_35adjacent_difference_config_selectorILb0EiEEZNS1_24adjacent_difference_implIS3_Lb0ELb0EPiS7_N6thrust23THRUST_200600_302600_NS4plusIiEEEE10hipError_tPvRmT2_T3_mT4_P12ihipStream_tbEUlT_E_NS1_11comp_targetILNS1_3genE3ELNS1_11target_archE908ELNS1_3gpuE7ELNS1_3repE0EEENS1_30default_config_static_selectorELNS0_4arch9wavefront6targetE1EEEvT1_, .Lfunc_end131-_ZN7rocprim17ROCPRIM_400000_NS6detail17trampoline_kernelINS0_14default_configENS1_35adjacent_difference_config_selectorILb0EiEEZNS1_24adjacent_difference_implIS3_Lb0ELb0EPiS7_N6thrust23THRUST_200600_302600_NS4plusIiEEEE10hipError_tPvRmT2_T3_mT4_P12ihipStream_tbEUlT_E_NS1_11comp_targetILNS1_3genE3ELNS1_11target_archE908ELNS1_3gpuE7ELNS1_3repE0EEENS1_30default_config_static_selectorELNS0_4arch9wavefront6targetE1EEEvT1_
                                        ; -- End function
	.section	.AMDGPU.csdata,"",@progbits
; Kernel info:
; codeLenInByte = 0
; NumSgprs: 6
; NumVgprs: 0
; NumAgprs: 0
; TotalNumVgprs: 0
; ScratchSize: 0
; MemoryBound: 0
; FloatMode: 240
; IeeeMode: 1
; LDSByteSize: 0 bytes/workgroup (compile time only)
; SGPRBlocks: 0
; VGPRBlocks: 0
; NumSGPRsForWavesPerEU: 6
; NumVGPRsForWavesPerEU: 1
; AccumOffset: 4
; Occupancy: 8
; WaveLimiterHint : 0
; COMPUTE_PGM_RSRC2:SCRATCH_EN: 0
; COMPUTE_PGM_RSRC2:USER_SGPR: 2
; COMPUTE_PGM_RSRC2:TRAP_HANDLER: 0
; COMPUTE_PGM_RSRC2:TGID_X_EN: 1
; COMPUTE_PGM_RSRC2:TGID_Y_EN: 0
; COMPUTE_PGM_RSRC2:TGID_Z_EN: 0
; COMPUTE_PGM_RSRC2:TIDIG_COMP_CNT: 0
; COMPUTE_PGM_RSRC3_GFX90A:ACCUM_OFFSET: 0
; COMPUTE_PGM_RSRC3_GFX90A:TG_SPLIT: 0
	.section	.text._ZN7rocprim17ROCPRIM_400000_NS6detail17trampoline_kernelINS0_14default_configENS1_35adjacent_difference_config_selectorILb0EiEEZNS1_24adjacent_difference_implIS3_Lb0ELb0EPiS7_N6thrust23THRUST_200600_302600_NS4plusIiEEEE10hipError_tPvRmT2_T3_mT4_P12ihipStream_tbEUlT_E_NS1_11comp_targetILNS1_3genE2ELNS1_11target_archE906ELNS1_3gpuE6ELNS1_3repE0EEENS1_30default_config_static_selectorELNS0_4arch9wavefront6targetE1EEEvT1_,"axG",@progbits,_ZN7rocprim17ROCPRIM_400000_NS6detail17trampoline_kernelINS0_14default_configENS1_35adjacent_difference_config_selectorILb0EiEEZNS1_24adjacent_difference_implIS3_Lb0ELb0EPiS7_N6thrust23THRUST_200600_302600_NS4plusIiEEEE10hipError_tPvRmT2_T3_mT4_P12ihipStream_tbEUlT_E_NS1_11comp_targetILNS1_3genE2ELNS1_11target_archE906ELNS1_3gpuE6ELNS1_3repE0EEENS1_30default_config_static_selectorELNS0_4arch9wavefront6targetE1EEEvT1_,comdat
	.protected	_ZN7rocprim17ROCPRIM_400000_NS6detail17trampoline_kernelINS0_14default_configENS1_35adjacent_difference_config_selectorILb0EiEEZNS1_24adjacent_difference_implIS3_Lb0ELb0EPiS7_N6thrust23THRUST_200600_302600_NS4plusIiEEEE10hipError_tPvRmT2_T3_mT4_P12ihipStream_tbEUlT_E_NS1_11comp_targetILNS1_3genE2ELNS1_11target_archE906ELNS1_3gpuE6ELNS1_3repE0EEENS1_30default_config_static_selectorELNS0_4arch9wavefront6targetE1EEEvT1_ ; -- Begin function _ZN7rocprim17ROCPRIM_400000_NS6detail17trampoline_kernelINS0_14default_configENS1_35adjacent_difference_config_selectorILb0EiEEZNS1_24adjacent_difference_implIS3_Lb0ELb0EPiS7_N6thrust23THRUST_200600_302600_NS4plusIiEEEE10hipError_tPvRmT2_T3_mT4_P12ihipStream_tbEUlT_E_NS1_11comp_targetILNS1_3genE2ELNS1_11target_archE906ELNS1_3gpuE6ELNS1_3repE0EEENS1_30default_config_static_selectorELNS0_4arch9wavefront6targetE1EEEvT1_
	.globl	_ZN7rocprim17ROCPRIM_400000_NS6detail17trampoline_kernelINS0_14default_configENS1_35adjacent_difference_config_selectorILb0EiEEZNS1_24adjacent_difference_implIS3_Lb0ELb0EPiS7_N6thrust23THRUST_200600_302600_NS4plusIiEEEE10hipError_tPvRmT2_T3_mT4_P12ihipStream_tbEUlT_E_NS1_11comp_targetILNS1_3genE2ELNS1_11target_archE906ELNS1_3gpuE6ELNS1_3repE0EEENS1_30default_config_static_selectorELNS0_4arch9wavefront6targetE1EEEvT1_
	.p2align	8
	.type	_ZN7rocprim17ROCPRIM_400000_NS6detail17trampoline_kernelINS0_14default_configENS1_35adjacent_difference_config_selectorILb0EiEEZNS1_24adjacent_difference_implIS3_Lb0ELb0EPiS7_N6thrust23THRUST_200600_302600_NS4plusIiEEEE10hipError_tPvRmT2_T3_mT4_P12ihipStream_tbEUlT_E_NS1_11comp_targetILNS1_3genE2ELNS1_11target_archE906ELNS1_3gpuE6ELNS1_3repE0EEENS1_30default_config_static_selectorELNS0_4arch9wavefront6targetE1EEEvT1_,@function
_ZN7rocprim17ROCPRIM_400000_NS6detail17trampoline_kernelINS0_14default_configENS1_35adjacent_difference_config_selectorILb0EiEEZNS1_24adjacent_difference_implIS3_Lb0ELb0EPiS7_N6thrust23THRUST_200600_302600_NS4plusIiEEEE10hipError_tPvRmT2_T3_mT4_P12ihipStream_tbEUlT_E_NS1_11comp_targetILNS1_3genE2ELNS1_11target_archE906ELNS1_3gpuE6ELNS1_3repE0EEENS1_30default_config_static_selectorELNS0_4arch9wavefront6targetE1EEEvT1_: ; @_ZN7rocprim17ROCPRIM_400000_NS6detail17trampoline_kernelINS0_14default_configENS1_35adjacent_difference_config_selectorILb0EiEEZNS1_24adjacent_difference_implIS3_Lb0ELb0EPiS7_N6thrust23THRUST_200600_302600_NS4plusIiEEEE10hipError_tPvRmT2_T3_mT4_P12ihipStream_tbEUlT_E_NS1_11comp_targetILNS1_3genE2ELNS1_11target_archE906ELNS1_3gpuE6ELNS1_3repE0EEENS1_30default_config_static_selectorELNS0_4arch9wavefront6targetE1EEEvT1_
; %bb.0:
	.section	.rodata,"a",@progbits
	.p2align	6, 0x0
	.amdhsa_kernel _ZN7rocprim17ROCPRIM_400000_NS6detail17trampoline_kernelINS0_14default_configENS1_35adjacent_difference_config_selectorILb0EiEEZNS1_24adjacent_difference_implIS3_Lb0ELb0EPiS7_N6thrust23THRUST_200600_302600_NS4plusIiEEEE10hipError_tPvRmT2_T3_mT4_P12ihipStream_tbEUlT_E_NS1_11comp_targetILNS1_3genE2ELNS1_11target_archE906ELNS1_3gpuE6ELNS1_3repE0EEENS1_30default_config_static_selectorELNS0_4arch9wavefront6targetE1EEEvT1_
		.amdhsa_group_segment_fixed_size 0
		.amdhsa_private_segment_fixed_size 0
		.amdhsa_kernarg_size 56
		.amdhsa_user_sgpr_count 2
		.amdhsa_user_sgpr_dispatch_ptr 0
		.amdhsa_user_sgpr_queue_ptr 0
		.amdhsa_user_sgpr_kernarg_segment_ptr 1
		.amdhsa_user_sgpr_dispatch_id 0
		.amdhsa_user_sgpr_kernarg_preload_length 0
		.amdhsa_user_sgpr_kernarg_preload_offset 0
		.amdhsa_user_sgpr_private_segment_size 0
		.amdhsa_uses_dynamic_stack 0
		.amdhsa_enable_private_segment 0
		.amdhsa_system_sgpr_workgroup_id_x 1
		.amdhsa_system_sgpr_workgroup_id_y 0
		.amdhsa_system_sgpr_workgroup_id_z 0
		.amdhsa_system_sgpr_workgroup_info 0
		.amdhsa_system_vgpr_workitem_id 0
		.amdhsa_next_free_vgpr 1
		.amdhsa_next_free_sgpr 0
		.amdhsa_accum_offset 4
		.amdhsa_reserve_vcc 0
		.amdhsa_float_round_mode_32 0
		.amdhsa_float_round_mode_16_64 0
		.amdhsa_float_denorm_mode_32 3
		.amdhsa_float_denorm_mode_16_64 3
		.amdhsa_dx10_clamp 1
		.amdhsa_ieee_mode 1
		.amdhsa_fp16_overflow 0
		.amdhsa_tg_split 0
		.amdhsa_exception_fp_ieee_invalid_op 0
		.amdhsa_exception_fp_denorm_src 0
		.amdhsa_exception_fp_ieee_div_zero 0
		.amdhsa_exception_fp_ieee_overflow 0
		.amdhsa_exception_fp_ieee_underflow 0
		.amdhsa_exception_fp_ieee_inexact 0
		.amdhsa_exception_int_div_zero 0
	.end_amdhsa_kernel
	.section	.text._ZN7rocprim17ROCPRIM_400000_NS6detail17trampoline_kernelINS0_14default_configENS1_35adjacent_difference_config_selectorILb0EiEEZNS1_24adjacent_difference_implIS3_Lb0ELb0EPiS7_N6thrust23THRUST_200600_302600_NS4plusIiEEEE10hipError_tPvRmT2_T3_mT4_P12ihipStream_tbEUlT_E_NS1_11comp_targetILNS1_3genE2ELNS1_11target_archE906ELNS1_3gpuE6ELNS1_3repE0EEENS1_30default_config_static_selectorELNS0_4arch9wavefront6targetE1EEEvT1_,"axG",@progbits,_ZN7rocprim17ROCPRIM_400000_NS6detail17trampoline_kernelINS0_14default_configENS1_35adjacent_difference_config_selectorILb0EiEEZNS1_24adjacent_difference_implIS3_Lb0ELb0EPiS7_N6thrust23THRUST_200600_302600_NS4plusIiEEEE10hipError_tPvRmT2_T3_mT4_P12ihipStream_tbEUlT_E_NS1_11comp_targetILNS1_3genE2ELNS1_11target_archE906ELNS1_3gpuE6ELNS1_3repE0EEENS1_30default_config_static_selectorELNS0_4arch9wavefront6targetE1EEEvT1_,comdat
.Lfunc_end132:
	.size	_ZN7rocprim17ROCPRIM_400000_NS6detail17trampoline_kernelINS0_14default_configENS1_35adjacent_difference_config_selectorILb0EiEEZNS1_24adjacent_difference_implIS3_Lb0ELb0EPiS7_N6thrust23THRUST_200600_302600_NS4plusIiEEEE10hipError_tPvRmT2_T3_mT4_P12ihipStream_tbEUlT_E_NS1_11comp_targetILNS1_3genE2ELNS1_11target_archE906ELNS1_3gpuE6ELNS1_3repE0EEENS1_30default_config_static_selectorELNS0_4arch9wavefront6targetE1EEEvT1_, .Lfunc_end132-_ZN7rocprim17ROCPRIM_400000_NS6detail17trampoline_kernelINS0_14default_configENS1_35adjacent_difference_config_selectorILb0EiEEZNS1_24adjacent_difference_implIS3_Lb0ELb0EPiS7_N6thrust23THRUST_200600_302600_NS4plusIiEEEE10hipError_tPvRmT2_T3_mT4_P12ihipStream_tbEUlT_E_NS1_11comp_targetILNS1_3genE2ELNS1_11target_archE906ELNS1_3gpuE6ELNS1_3repE0EEENS1_30default_config_static_selectorELNS0_4arch9wavefront6targetE1EEEvT1_
                                        ; -- End function
	.section	.AMDGPU.csdata,"",@progbits
; Kernel info:
; codeLenInByte = 0
; NumSgprs: 6
; NumVgprs: 0
; NumAgprs: 0
; TotalNumVgprs: 0
; ScratchSize: 0
; MemoryBound: 0
; FloatMode: 240
; IeeeMode: 1
; LDSByteSize: 0 bytes/workgroup (compile time only)
; SGPRBlocks: 0
; VGPRBlocks: 0
; NumSGPRsForWavesPerEU: 6
; NumVGPRsForWavesPerEU: 1
; AccumOffset: 4
; Occupancy: 8
; WaveLimiterHint : 0
; COMPUTE_PGM_RSRC2:SCRATCH_EN: 0
; COMPUTE_PGM_RSRC2:USER_SGPR: 2
; COMPUTE_PGM_RSRC2:TRAP_HANDLER: 0
; COMPUTE_PGM_RSRC2:TGID_X_EN: 1
; COMPUTE_PGM_RSRC2:TGID_Y_EN: 0
; COMPUTE_PGM_RSRC2:TGID_Z_EN: 0
; COMPUTE_PGM_RSRC2:TIDIG_COMP_CNT: 0
; COMPUTE_PGM_RSRC3_GFX90A:ACCUM_OFFSET: 0
; COMPUTE_PGM_RSRC3_GFX90A:TG_SPLIT: 0
	.section	.text._ZN7rocprim17ROCPRIM_400000_NS6detail17trampoline_kernelINS0_14default_configENS1_35adjacent_difference_config_selectorILb0EiEEZNS1_24adjacent_difference_implIS3_Lb0ELb0EPiS7_N6thrust23THRUST_200600_302600_NS4plusIiEEEE10hipError_tPvRmT2_T3_mT4_P12ihipStream_tbEUlT_E_NS1_11comp_targetILNS1_3genE9ELNS1_11target_archE1100ELNS1_3gpuE3ELNS1_3repE0EEENS1_30default_config_static_selectorELNS0_4arch9wavefront6targetE1EEEvT1_,"axG",@progbits,_ZN7rocprim17ROCPRIM_400000_NS6detail17trampoline_kernelINS0_14default_configENS1_35adjacent_difference_config_selectorILb0EiEEZNS1_24adjacent_difference_implIS3_Lb0ELb0EPiS7_N6thrust23THRUST_200600_302600_NS4plusIiEEEE10hipError_tPvRmT2_T3_mT4_P12ihipStream_tbEUlT_E_NS1_11comp_targetILNS1_3genE9ELNS1_11target_archE1100ELNS1_3gpuE3ELNS1_3repE0EEENS1_30default_config_static_selectorELNS0_4arch9wavefront6targetE1EEEvT1_,comdat
	.protected	_ZN7rocprim17ROCPRIM_400000_NS6detail17trampoline_kernelINS0_14default_configENS1_35adjacent_difference_config_selectorILb0EiEEZNS1_24adjacent_difference_implIS3_Lb0ELb0EPiS7_N6thrust23THRUST_200600_302600_NS4plusIiEEEE10hipError_tPvRmT2_T3_mT4_P12ihipStream_tbEUlT_E_NS1_11comp_targetILNS1_3genE9ELNS1_11target_archE1100ELNS1_3gpuE3ELNS1_3repE0EEENS1_30default_config_static_selectorELNS0_4arch9wavefront6targetE1EEEvT1_ ; -- Begin function _ZN7rocprim17ROCPRIM_400000_NS6detail17trampoline_kernelINS0_14default_configENS1_35adjacent_difference_config_selectorILb0EiEEZNS1_24adjacent_difference_implIS3_Lb0ELb0EPiS7_N6thrust23THRUST_200600_302600_NS4plusIiEEEE10hipError_tPvRmT2_T3_mT4_P12ihipStream_tbEUlT_E_NS1_11comp_targetILNS1_3genE9ELNS1_11target_archE1100ELNS1_3gpuE3ELNS1_3repE0EEENS1_30default_config_static_selectorELNS0_4arch9wavefront6targetE1EEEvT1_
	.globl	_ZN7rocprim17ROCPRIM_400000_NS6detail17trampoline_kernelINS0_14default_configENS1_35adjacent_difference_config_selectorILb0EiEEZNS1_24adjacent_difference_implIS3_Lb0ELb0EPiS7_N6thrust23THRUST_200600_302600_NS4plusIiEEEE10hipError_tPvRmT2_T3_mT4_P12ihipStream_tbEUlT_E_NS1_11comp_targetILNS1_3genE9ELNS1_11target_archE1100ELNS1_3gpuE3ELNS1_3repE0EEENS1_30default_config_static_selectorELNS0_4arch9wavefront6targetE1EEEvT1_
	.p2align	8
	.type	_ZN7rocprim17ROCPRIM_400000_NS6detail17trampoline_kernelINS0_14default_configENS1_35adjacent_difference_config_selectorILb0EiEEZNS1_24adjacent_difference_implIS3_Lb0ELb0EPiS7_N6thrust23THRUST_200600_302600_NS4plusIiEEEE10hipError_tPvRmT2_T3_mT4_P12ihipStream_tbEUlT_E_NS1_11comp_targetILNS1_3genE9ELNS1_11target_archE1100ELNS1_3gpuE3ELNS1_3repE0EEENS1_30default_config_static_selectorELNS0_4arch9wavefront6targetE1EEEvT1_,@function
_ZN7rocprim17ROCPRIM_400000_NS6detail17trampoline_kernelINS0_14default_configENS1_35adjacent_difference_config_selectorILb0EiEEZNS1_24adjacent_difference_implIS3_Lb0ELb0EPiS7_N6thrust23THRUST_200600_302600_NS4plusIiEEEE10hipError_tPvRmT2_T3_mT4_P12ihipStream_tbEUlT_E_NS1_11comp_targetILNS1_3genE9ELNS1_11target_archE1100ELNS1_3gpuE3ELNS1_3repE0EEENS1_30default_config_static_selectorELNS0_4arch9wavefront6targetE1EEEvT1_: ; @_ZN7rocprim17ROCPRIM_400000_NS6detail17trampoline_kernelINS0_14default_configENS1_35adjacent_difference_config_selectorILb0EiEEZNS1_24adjacent_difference_implIS3_Lb0ELb0EPiS7_N6thrust23THRUST_200600_302600_NS4plusIiEEEE10hipError_tPvRmT2_T3_mT4_P12ihipStream_tbEUlT_E_NS1_11comp_targetILNS1_3genE9ELNS1_11target_archE1100ELNS1_3gpuE3ELNS1_3repE0EEENS1_30default_config_static_selectorELNS0_4arch9wavefront6targetE1EEEvT1_
; %bb.0:
	.section	.rodata,"a",@progbits
	.p2align	6, 0x0
	.amdhsa_kernel _ZN7rocprim17ROCPRIM_400000_NS6detail17trampoline_kernelINS0_14default_configENS1_35adjacent_difference_config_selectorILb0EiEEZNS1_24adjacent_difference_implIS3_Lb0ELb0EPiS7_N6thrust23THRUST_200600_302600_NS4plusIiEEEE10hipError_tPvRmT2_T3_mT4_P12ihipStream_tbEUlT_E_NS1_11comp_targetILNS1_3genE9ELNS1_11target_archE1100ELNS1_3gpuE3ELNS1_3repE0EEENS1_30default_config_static_selectorELNS0_4arch9wavefront6targetE1EEEvT1_
		.amdhsa_group_segment_fixed_size 0
		.amdhsa_private_segment_fixed_size 0
		.amdhsa_kernarg_size 56
		.amdhsa_user_sgpr_count 2
		.amdhsa_user_sgpr_dispatch_ptr 0
		.amdhsa_user_sgpr_queue_ptr 0
		.amdhsa_user_sgpr_kernarg_segment_ptr 1
		.amdhsa_user_sgpr_dispatch_id 0
		.amdhsa_user_sgpr_kernarg_preload_length 0
		.amdhsa_user_sgpr_kernarg_preload_offset 0
		.amdhsa_user_sgpr_private_segment_size 0
		.amdhsa_uses_dynamic_stack 0
		.amdhsa_enable_private_segment 0
		.amdhsa_system_sgpr_workgroup_id_x 1
		.amdhsa_system_sgpr_workgroup_id_y 0
		.amdhsa_system_sgpr_workgroup_id_z 0
		.amdhsa_system_sgpr_workgroup_info 0
		.amdhsa_system_vgpr_workitem_id 0
		.amdhsa_next_free_vgpr 1
		.amdhsa_next_free_sgpr 0
		.amdhsa_accum_offset 4
		.amdhsa_reserve_vcc 0
		.amdhsa_float_round_mode_32 0
		.amdhsa_float_round_mode_16_64 0
		.amdhsa_float_denorm_mode_32 3
		.amdhsa_float_denorm_mode_16_64 3
		.amdhsa_dx10_clamp 1
		.amdhsa_ieee_mode 1
		.amdhsa_fp16_overflow 0
		.amdhsa_tg_split 0
		.amdhsa_exception_fp_ieee_invalid_op 0
		.amdhsa_exception_fp_denorm_src 0
		.amdhsa_exception_fp_ieee_div_zero 0
		.amdhsa_exception_fp_ieee_overflow 0
		.amdhsa_exception_fp_ieee_underflow 0
		.amdhsa_exception_fp_ieee_inexact 0
		.amdhsa_exception_int_div_zero 0
	.end_amdhsa_kernel
	.section	.text._ZN7rocprim17ROCPRIM_400000_NS6detail17trampoline_kernelINS0_14default_configENS1_35adjacent_difference_config_selectorILb0EiEEZNS1_24adjacent_difference_implIS3_Lb0ELb0EPiS7_N6thrust23THRUST_200600_302600_NS4plusIiEEEE10hipError_tPvRmT2_T3_mT4_P12ihipStream_tbEUlT_E_NS1_11comp_targetILNS1_3genE9ELNS1_11target_archE1100ELNS1_3gpuE3ELNS1_3repE0EEENS1_30default_config_static_selectorELNS0_4arch9wavefront6targetE1EEEvT1_,"axG",@progbits,_ZN7rocprim17ROCPRIM_400000_NS6detail17trampoline_kernelINS0_14default_configENS1_35adjacent_difference_config_selectorILb0EiEEZNS1_24adjacent_difference_implIS3_Lb0ELb0EPiS7_N6thrust23THRUST_200600_302600_NS4plusIiEEEE10hipError_tPvRmT2_T3_mT4_P12ihipStream_tbEUlT_E_NS1_11comp_targetILNS1_3genE9ELNS1_11target_archE1100ELNS1_3gpuE3ELNS1_3repE0EEENS1_30default_config_static_selectorELNS0_4arch9wavefront6targetE1EEEvT1_,comdat
.Lfunc_end133:
	.size	_ZN7rocprim17ROCPRIM_400000_NS6detail17trampoline_kernelINS0_14default_configENS1_35adjacent_difference_config_selectorILb0EiEEZNS1_24adjacent_difference_implIS3_Lb0ELb0EPiS7_N6thrust23THRUST_200600_302600_NS4plusIiEEEE10hipError_tPvRmT2_T3_mT4_P12ihipStream_tbEUlT_E_NS1_11comp_targetILNS1_3genE9ELNS1_11target_archE1100ELNS1_3gpuE3ELNS1_3repE0EEENS1_30default_config_static_selectorELNS0_4arch9wavefront6targetE1EEEvT1_, .Lfunc_end133-_ZN7rocprim17ROCPRIM_400000_NS6detail17trampoline_kernelINS0_14default_configENS1_35adjacent_difference_config_selectorILb0EiEEZNS1_24adjacent_difference_implIS3_Lb0ELb0EPiS7_N6thrust23THRUST_200600_302600_NS4plusIiEEEE10hipError_tPvRmT2_T3_mT4_P12ihipStream_tbEUlT_E_NS1_11comp_targetILNS1_3genE9ELNS1_11target_archE1100ELNS1_3gpuE3ELNS1_3repE0EEENS1_30default_config_static_selectorELNS0_4arch9wavefront6targetE1EEEvT1_
                                        ; -- End function
	.section	.AMDGPU.csdata,"",@progbits
; Kernel info:
; codeLenInByte = 0
; NumSgprs: 6
; NumVgprs: 0
; NumAgprs: 0
; TotalNumVgprs: 0
; ScratchSize: 0
; MemoryBound: 0
; FloatMode: 240
; IeeeMode: 1
; LDSByteSize: 0 bytes/workgroup (compile time only)
; SGPRBlocks: 0
; VGPRBlocks: 0
; NumSGPRsForWavesPerEU: 6
; NumVGPRsForWavesPerEU: 1
; AccumOffset: 4
; Occupancy: 8
; WaveLimiterHint : 0
; COMPUTE_PGM_RSRC2:SCRATCH_EN: 0
; COMPUTE_PGM_RSRC2:USER_SGPR: 2
; COMPUTE_PGM_RSRC2:TRAP_HANDLER: 0
; COMPUTE_PGM_RSRC2:TGID_X_EN: 1
; COMPUTE_PGM_RSRC2:TGID_Y_EN: 0
; COMPUTE_PGM_RSRC2:TGID_Z_EN: 0
; COMPUTE_PGM_RSRC2:TIDIG_COMP_CNT: 0
; COMPUTE_PGM_RSRC3_GFX90A:ACCUM_OFFSET: 0
; COMPUTE_PGM_RSRC3_GFX90A:TG_SPLIT: 0
	.section	.text._ZN7rocprim17ROCPRIM_400000_NS6detail17trampoline_kernelINS0_14default_configENS1_35adjacent_difference_config_selectorILb0EiEEZNS1_24adjacent_difference_implIS3_Lb0ELb0EPiS7_N6thrust23THRUST_200600_302600_NS4plusIiEEEE10hipError_tPvRmT2_T3_mT4_P12ihipStream_tbEUlT_E_NS1_11comp_targetILNS1_3genE8ELNS1_11target_archE1030ELNS1_3gpuE2ELNS1_3repE0EEENS1_30default_config_static_selectorELNS0_4arch9wavefront6targetE1EEEvT1_,"axG",@progbits,_ZN7rocprim17ROCPRIM_400000_NS6detail17trampoline_kernelINS0_14default_configENS1_35adjacent_difference_config_selectorILb0EiEEZNS1_24adjacent_difference_implIS3_Lb0ELb0EPiS7_N6thrust23THRUST_200600_302600_NS4plusIiEEEE10hipError_tPvRmT2_T3_mT4_P12ihipStream_tbEUlT_E_NS1_11comp_targetILNS1_3genE8ELNS1_11target_archE1030ELNS1_3gpuE2ELNS1_3repE0EEENS1_30default_config_static_selectorELNS0_4arch9wavefront6targetE1EEEvT1_,comdat
	.protected	_ZN7rocprim17ROCPRIM_400000_NS6detail17trampoline_kernelINS0_14default_configENS1_35adjacent_difference_config_selectorILb0EiEEZNS1_24adjacent_difference_implIS3_Lb0ELb0EPiS7_N6thrust23THRUST_200600_302600_NS4plusIiEEEE10hipError_tPvRmT2_T3_mT4_P12ihipStream_tbEUlT_E_NS1_11comp_targetILNS1_3genE8ELNS1_11target_archE1030ELNS1_3gpuE2ELNS1_3repE0EEENS1_30default_config_static_selectorELNS0_4arch9wavefront6targetE1EEEvT1_ ; -- Begin function _ZN7rocprim17ROCPRIM_400000_NS6detail17trampoline_kernelINS0_14default_configENS1_35adjacent_difference_config_selectorILb0EiEEZNS1_24adjacent_difference_implIS3_Lb0ELb0EPiS7_N6thrust23THRUST_200600_302600_NS4plusIiEEEE10hipError_tPvRmT2_T3_mT4_P12ihipStream_tbEUlT_E_NS1_11comp_targetILNS1_3genE8ELNS1_11target_archE1030ELNS1_3gpuE2ELNS1_3repE0EEENS1_30default_config_static_selectorELNS0_4arch9wavefront6targetE1EEEvT1_
	.globl	_ZN7rocprim17ROCPRIM_400000_NS6detail17trampoline_kernelINS0_14default_configENS1_35adjacent_difference_config_selectorILb0EiEEZNS1_24adjacent_difference_implIS3_Lb0ELb0EPiS7_N6thrust23THRUST_200600_302600_NS4plusIiEEEE10hipError_tPvRmT2_T3_mT4_P12ihipStream_tbEUlT_E_NS1_11comp_targetILNS1_3genE8ELNS1_11target_archE1030ELNS1_3gpuE2ELNS1_3repE0EEENS1_30default_config_static_selectorELNS0_4arch9wavefront6targetE1EEEvT1_
	.p2align	8
	.type	_ZN7rocprim17ROCPRIM_400000_NS6detail17trampoline_kernelINS0_14default_configENS1_35adjacent_difference_config_selectorILb0EiEEZNS1_24adjacent_difference_implIS3_Lb0ELb0EPiS7_N6thrust23THRUST_200600_302600_NS4plusIiEEEE10hipError_tPvRmT2_T3_mT4_P12ihipStream_tbEUlT_E_NS1_11comp_targetILNS1_3genE8ELNS1_11target_archE1030ELNS1_3gpuE2ELNS1_3repE0EEENS1_30default_config_static_selectorELNS0_4arch9wavefront6targetE1EEEvT1_,@function
_ZN7rocprim17ROCPRIM_400000_NS6detail17trampoline_kernelINS0_14default_configENS1_35adjacent_difference_config_selectorILb0EiEEZNS1_24adjacent_difference_implIS3_Lb0ELb0EPiS7_N6thrust23THRUST_200600_302600_NS4plusIiEEEE10hipError_tPvRmT2_T3_mT4_P12ihipStream_tbEUlT_E_NS1_11comp_targetILNS1_3genE8ELNS1_11target_archE1030ELNS1_3gpuE2ELNS1_3repE0EEENS1_30default_config_static_selectorELNS0_4arch9wavefront6targetE1EEEvT1_: ; @_ZN7rocprim17ROCPRIM_400000_NS6detail17trampoline_kernelINS0_14default_configENS1_35adjacent_difference_config_selectorILb0EiEEZNS1_24adjacent_difference_implIS3_Lb0ELb0EPiS7_N6thrust23THRUST_200600_302600_NS4plusIiEEEE10hipError_tPvRmT2_T3_mT4_P12ihipStream_tbEUlT_E_NS1_11comp_targetILNS1_3genE8ELNS1_11target_archE1030ELNS1_3gpuE2ELNS1_3repE0EEENS1_30default_config_static_selectorELNS0_4arch9wavefront6targetE1EEEvT1_
; %bb.0:
	.section	.rodata,"a",@progbits
	.p2align	6, 0x0
	.amdhsa_kernel _ZN7rocprim17ROCPRIM_400000_NS6detail17trampoline_kernelINS0_14default_configENS1_35adjacent_difference_config_selectorILb0EiEEZNS1_24adjacent_difference_implIS3_Lb0ELb0EPiS7_N6thrust23THRUST_200600_302600_NS4plusIiEEEE10hipError_tPvRmT2_T3_mT4_P12ihipStream_tbEUlT_E_NS1_11comp_targetILNS1_3genE8ELNS1_11target_archE1030ELNS1_3gpuE2ELNS1_3repE0EEENS1_30default_config_static_selectorELNS0_4arch9wavefront6targetE1EEEvT1_
		.amdhsa_group_segment_fixed_size 0
		.amdhsa_private_segment_fixed_size 0
		.amdhsa_kernarg_size 56
		.amdhsa_user_sgpr_count 2
		.amdhsa_user_sgpr_dispatch_ptr 0
		.amdhsa_user_sgpr_queue_ptr 0
		.amdhsa_user_sgpr_kernarg_segment_ptr 1
		.amdhsa_user_sgpr_dispatch_id 0
		.amdhsa_user_sgpr_kernarg_preload_length 0
		.amdhsa_user_sgpr_kernarg_preload_offset 0
		.amdhsa_user_sgpr_private_segment_size 0
		.amdhsa_uses_dynamic_stack 0
		.amdhsa_enable_private_segment 0
		.amdhsa_system_sgpr_workgroup_id_x 1
		.amdhsa_system_sgpr_workgroup_id_y 0
		.amdhsa_system_sgpr_workgroup_id_z 0
		.amdhsa_system_sgpr_workgroup_info 0
		.amdhsa_system_vgpr_workitem_id 0
		.amdhsa_next_free_vgpr 1
		.amdhsa_next_free_sgpr 0
		.amdhsa_accum_offset 4
		.amdhsa_reserve_vcc 0
		.amdhsa_float_round_mode_32 0
		.amdhsa_float_round_mode_16_64 0
		.amdhsa_float_denorm_mode_32 3
		.amdhsa_float_denorm_mode_16_64 3
		.amdhsa_dx10_clamp 1
		.amdhsa_ieee_mode 1
		.amdhsa_fp16_overflow 0
		.amdhsa_tg_split 0
		.amdhsa_exception_fp_ieee_invalid_op 0
		.amdhsa_exception_fp_denorm_src 0
		.amdhsa_exception_fp_ieee_div_zero 0
		.amdhsa_exception_fp_ieee_overflow 0
		.amdhsa_exception_fp_ieee_underflow 0
		.amdhsa_exception_fp_ieee_inexact 0
		.amdhsa_exception_int_div_zero 0
	.end_amdhsa_kernel
	.section	.text._ZN7rocprim17ROCPRIM_400000_NS6detail17trampoline_kernelINS0_14default_configENS1_35adjacent_difference_config_selectorILb0EiEEZNS1_24adjacent_difference_implIS3_Lb0ELb0EPiS7_N6thrust23THRUST_200600_302600_NS4plusIiEEEE10hipError_tPvRmT2_T3_mT4_P12ihipStream_tbEUlT_E_NS1_11comp_targetILNS1_3genE8ELNS1_11target_archE1030ELNS1_3gpuE2ELNS1_3repE0EEENS1_30default_config_static_selectorELNS0_4arch9wavefront6targetE1EEEvT1_,"axG",@progbits,_ZN7rocprim17ROCPRIM_400000_NS6detail17trampoline_kernelINS0_14default_configENS1_35adjacent_difference_config_selectorILb0EiEEZNS1_24adjacent_difference_implIS3_Lb0ELb0EPiS7_N6thrust23THRUST_200600_302600_NS4plusIiEEEE10hipError_tPvRmT2_T3_mT4_P12ihipStream_tbEUlT_E_NS1_11comp_targetILNS1_3genE8ELNS1_11target_archE1030ELNS1_3gpuE2ELNS1_3repE0EEENS1_30default_config_static_selectorELNS0_4arch9wavefront6targetE1EEEvT1_,comdat
.Lfunc_end134:
	.size	_ZN7rocprim17ROCPRIM_400000_NS6detail17trampoline_kernelINS0_14default_configENS1_35adjacent_difference_config_selectorILb0EiEEZNS1_24adjacent_difference_implIS3_Lb0ELb0EPiS7_N6thrust23THRUST_200600_302600_NS4plusIiEEEE10hipError_tPvRmT2_T3_mT4_P12ihipStream_tbEUlT_E_NS1_11comp_targetILNS1_3genE8ELNS1_11target_archE1030ELNS1_3gpuE2ELNS1_3repE0EEENS1_30default_config_static_selectorELNS0_4arch9wavefront6targetE1EEEvT1_, .Lfunc_end134-_ZN7rocprim17ROCPRIM_400000_NS6detail17trampoline_kernelINS0_14default_configENS1_35adjacent_difference_config_selectorILb0EiEEZNS1_24adjacent_difference_implIS3_Lb0ELb0EPiS7_N6thrust23THRUST_200600_302600_NS4plusIiEEEE10hipError_tPvRmT2_T3_mT4_P12ihipStream_tbEUlT_E_NS1_11comp_targetILNS1_3genE8ELNS1_11target_archE1030ELNS1_3gpuE2ELNS1_3repE0EEENS1_30default_config_static_selectorELNS0_4arch9wavefront6targetE1EEEvT1_
                                        ; -- End function
	.section	.AMDGPU.csdata,"",@progbits
; Kernel info:
; codeLenInByte = 0
; NumSgprs: 6
; NumVgprs: 0
; NumAgprs: 0
; TotalNumVgprs: 0
; ScratchSize: 0
; MemoryBound: 0
; FloatMode: 240
; IeeeMode: 1
; LDSByteSize: 0 bytes/workgroup (compile time only)
; SGPRBlocks: 0
; VGPRBlocks: 0
; NumSGPRsForWavesPerEU: 6
; NumVGPRsForWavesPerEU: 1
; AccumOffset: 4
; Occupancy: 8
; WaveLimiterHint : 0
; COMPUTE_PGM_RSRC2:SCRATCH_EN: 0
; COMPUTE_PGM_RSRC2:USER_SGPR: 2
; COMPUTE_PGM_RSRC2:TRAP_HANDLER: 0
; COMPUTE_PGM_RSRC2:TGID_X_EN: 1
; COMPUTE_PGM_RSRC2:TGID_Y_EN: 0
; COMPUTE_PGM_RSRC2:TGID_Z_EN: 0
; COMPUTE_PGM_RSRC2:TIDIG_COMP_CNT: 0
; COMPUTE_PGM_RSRC3_GFX90A:ACCUM_OFFSET: 0
; COMPUTE_PGM_RSRC3_GFX90A:TG_SPLIT: 0
	.section	.text._ZN7rocprim17ROCPRIM_400000_NS6detail17trampoline_kernelINS0_14default_configENS1_25transform_config_selectorIiLb0EEEZNS1_14transform_implILb0ES3_S5_NS0_18transform_iteratorINS0_17counting_iteratorImlEEZNS1_24adjacent_difference_implIS3_Lb1ELb0EPiSB_N6thrust23THRUST_200600_302600_NS4plusIiEEEE10hipError_tPvRmT2_T3_mT4_P12ihipStream_tbEUlmE_iEESB_NS0_8identityIvEEEESG_SJ_SK_mSL_SN_bEUlT_E_NS1_11comp_targetILNS1_3genE0ELNS1_11target_archE4294967295ELNS1_3gpuE0ELNS1_3repE0EEENS1_30default_config_static_selectorELNS0_4arch9wavefront6targetE1EEEvT1_,"axG",@progbits,_ZN7rocprim17ROCPRIM_400000_NS6detail17trampoline_kernelINS0_14default_configENS1_25transform_config_selectorIiLb0EEEZNS1_14transform_implILb0ES3_S5_NS0_18transform_iteratorINS0_17counting_iteratorImlEEZNS1_24adjacent_difference_implIS3_Lb1ELb0EPiSB_N6thrust23THRUST_200600_302600_NS4plusIiEEEE10hipError_tPvRmT2_T3_mT4_P12ihipStream_tbEUlmE_iEESB_NS0_8identityIvEEEESG_SJ_SK_mSL_SN_bEUlT_E_NS1_11comp_targetILNS1_3genE0ELNS1_11target_archE4294967295ELNS1_3gpuE0ELNS1_3repE0EEENS1_30default_config_static_selectorELNS0_4arch9wavefront6targetE1EEEvT1_,comdat
	.protected	_ZN7rocprim17ROCPRIM_400000_NS6detail17trampoline_kernelINS0_14default_configENS1_25transform_config_selectorIiLb0EEEZNS1_14transform_implILb0ES3_S5_NS0_18transform_iteratorINS0_17counting_iteratorImlEEZNS1_24adjacent_difference_implIS3_Lb1ELb0EPiSB_N6thrust23THRUST_200600_302600_NS4plusIiEEEE10hipError_tPvRmT2_T3_mT4_P12ihipStream_tbEUlmE_iEESB_NS0_8identityIvEEEESG_SJ_SK_mSL_SN_bEUlT_E_NS1_11comp_targetILNS1_3genE0ELNS1_11target_archE4294967295ELNS1_3gpuE0ELNS1_3repE0EEENS1_30default_config_static_selectorELNS0_4arch9wavefront6targetE1EEEvT1_ ; -- Begin function _ZN7rocprim17ROCPRIM_400000_NS6detail17trampoline_kernelINS0_14default_configENS1_25transform_config_selectorIiLb0EEEZNS1_14transform_implILb0ES3_S5_NS0_18transform_iteratorINS0_17counting_iteratorImlEEZNS1_24adjacent_difference_implIS3_Lb1ELb0EPiSB_N6thrust23THRUST_200600_302600_NS4plusIiEEEE10hipError_tPvRmT2_T3_mT4_P12ihipStream_tbEUlmE_iEESB_NS0_8identityIvEEEESG_SJ_SK_mSL_SN_bEUlT_E_NS1_11comp_targetILNS1_3genE0ELNS1_11target_archE4294967295ELNS1_3gpuE0ELNS1_3repE0EEENS1_30default_config_static_selectorELNS0_4arch9wavefront6targetE1EEEvT1_
	.globl	_ZN7rocprim17ROCPRIM_400000_NS6detail17trampoline_kernelINS0_14default_configENS1_25transform_config_selectorIiLb0EEEZNS1_14transform_implILb0ES3_S5_NS0_18transform_iteratorINS0_17counting_iteratorImlEEZNS1_24adjacent_difference_implIS3_Lb1ELb0EPiSB_N6thrust23THRUST_200600_302600_NS4plusIiEEEE10hipError_tPvRmT2_T3_mT4_P12ihipStream_tbEUlmE_iEESB_NS0_8identityIvEEEESG_SJ_SK_mSL_SN_bEUlT_E_NS1_11comp_targetILNS1_3genE0ELNS1_11target_archE4294967295ELNS1_3gpuE0ELNS1_3repE0EEENS1_30default_config_static_selectorELNS0_4arch9wavefront6targetE1EEEvT1_
	.p2align	8
	.type	_ZN7rocprim17ROCPRIM_400000_NS6detail17trampoline_kernelINS0_14default_configENS1_25transform_config_selectorIiLb0EEEZNS1_14transform_implILb0ES3_S5_NS0_18transform_iteratorINS0_17counting_iteratorImlEEZNS1_24adjacent_difference_implIS3_Lb1ELb0EPiSB_N6thrust23THRUST_200600_302600_NS4plusIiEEEE10hipError_tPvRmT2_T3_mT4_P12ihipStream_tbEUlmE_iEESB_NS0_8identityIvEEEESG_SJ_SK_mSL_SN_bEUlT_E_NS1_11comp_targetILNS1_3genE0ELNS1_11target_archE4294967295ELNS1_3gpuE0ELNS1_3repE0EEENS1_30default_config_static_selectorELNS0_4arch9wavefront6targetE1EEEvT1_,@function
_ZN7rocprim17ROCPRIM_400000_NS6detail17trampoline_kernelINS0_14default_configENS1_25transform_config_selectorIiLb0EEEZNS1_14transform_implILb0ES3_S5_NS0_18transform_iteratorINS0_17counting_iteratorImlEEZNS1_24adjacent_difference_implIS3_Lb1ELb0EPiSB_N6thrust23THRUST_200600_302600_NS4plusIiEEEE10hipError_tPvRmT2_T3_mT4_P12ihipStream_tbEUlmE_iEESB_NS0_8identityIvEEEESG_SJ_SK_mSL_SN_bEUlT_E_NS1_11comp_targetILNS1_3genE0ELNS1_11target_archE4294967295ELNS1_3gpuE0ELNS1_3repE0EEENS1_30default_config_static_selectorELNS0_4arch9wavefront6targetE1EEEvT1_: ; @_ZN7rocprim17ROCPRIM_400000_NS6detail17trampoline_kernelINS0_14default_configENS1_25transform_config_selectorIiLb0EEEZNS1_14transform_implILb0ES3_S5_NS0_18transform_iteratorINS0_17counting_iteratorImlEEZNS1_24adjacent_difference_implIS3_Lb1ELb0EPiSB_N6thrust23THRUST_200600_302600_NS4plusIiEEEE10hipError_tPvRmT2_T3_mT4_P12ihipStream_tbEUlmE_iEESB_NS0_8identityIvEEEESG_SJ_SK_mSL_SN_bEUlT_E_NS1_11comp_targetILNS1_3genE0ELNS1_11target_archE4294967295ELNS1_3gpuE0ELNS1_3repE0EEENS1_30default_config_static_selectorELNS0_4arch9wavefront6targetE1EEEvT1_
; %bb.0:
	.section	.rodata,"a",@progbits
	.p2align	6, 0x0
	.amdhsa_kernel _ZN7rocprim17ROCPRIM_400000_NS6detail17trampoline_kernelINS0_14default_configENS1_25transform_config_selectorIiLb0EEEZNS1_14transform_implILb0ES3_S5_NS0_18transform_iteratorINS0_17counting_iteratorImlEEZNS1_24adjacent_difference_implIS3_Lb1ELb0EPiSB_N6thrust23THRUST_200600_302600_NS4plusIiEEEE10hipError_tPvRmT2_T3_mT4_P12ihipStream_tbEUlmE_iEESB_NS0_8identityIvEEEESG_SJ_SK_mSL_SN_bEUlT_E_NS1_11comp_targetILNS1_3genE0ELNS1_11target_archE4294967295ELNS1_3gpuE0ELNS1_3repE0EEENS1_30default_config_static_selectorELNS0_4arch9wavefront6targetE1EEEvT1_
		.amdhsa_group_segment_fixed_size 0
		.amdhsa_private_segment_fixed_size 0
		.amdhsa_kernarg_size 56
		.amdhsa_user_sgpr_count 2
		.amdhsa_user_sgpr_dispatch_ptr 0
		.amdhsa_user_sgpr_queue_ptr 0
		.amdhsa_user_sgpr_kernarg_segment_ptr 1
		.amdhsa_user_sgpr_dispatch_id 0
		.amdhsa_user_sgpr_kernarg_preload_length 0
		.amdhsa_user_sgpr_kernarg_preload_offset 0
		.amdhsa_user_sgpr_private_segment_size 0
		.amdhsa_uses_dynamic_stack 0
		.amdhsa_enable_private_segment 0
		.amdhsa_system_sgpr_workgroup_id_x 1
		.amdhsa_system_sgpr_workgroup_id_y 0
		.amdhsa_system_sgpr_workgroup_id_z 0
		.amdhsa_system_sgpr_workgroup_info 0
		.amdhsa_system_vgpr_workitem_id 0
		.amdhsa_next_free_vgpr 1
		.amdhsa_next_free_sgpr 0
		.amdhsa_accum_offset 4
		.amdhsa_reserve_vcc 0
		.amdhsa_float_round_mode_32 0
		.amdhsa_float_round_mode_16_64 0
		.amdhsa_float_denorm_mode_32 3
		.amdhsa_float_denorm_mode_16_64 3
		.amdhsa_dx10_clamp 1
		.amdhsa_ieee_mode 1
		.amdhsa_fp16_overflow 0
		.amdhsa_tg_split 0
		.amdhsa_exception_fp_ieee_invalid_op 0
		.amdhsa_exception_fp_denorm_src 0
		.amdhsa_exception_fp_ieee_div_zero 0
		.amdhsa_exception_fp_ieee_overflow 0
		.amdhsa_exception_fp_ieee_underflow 0
		.amdhsa_exception_fp_ieee_inexact 0
		.amdhsa_exception_int_div_zero 0
	.end_amdhsa_kernel
	.section	.text._ZN7rocprim17ROCPRIM_400000_NS6detail17trampoline_kernelINS0_14default_configENS1_25transform_config_selectorIiLb0EEEZNS1_14transform_implILb0ES3_S5_NS0_18transform_iteratorINS0_17counting_iteratorImlEEZNS1_24adjacent_difference_implIS3_Lb1ELb0EPiSB_N6thrust23THRUST_200600_302600_NS4plusIiEEEE10hipError_tPvRmT2_T3_mT4_P12ihipStream_tbEUlmE_iEESB_NS0_8identityIvEEEESG_SJ_SK_mSL_SN_bEUlT_E_NS1_11comp_targetILNS1_3genE0ELNS1_11target_archE4294967295ELNS1_3gpuE0ELNS1_3repE0EEENS1_30default_config_static_selectorELNS0_4arch9wavefront6targetE1EEEvT1_,"axG",@progbits,_ZN7rocprim17ROCPRIM_400000_NS6detail17trampoline_kernelINS0_14default_configENS1_25transform_config_selectorIiLb0EEEZNS1_14transform_implILb0ES3_S5_NS0_18transform_iteratorINS0_17counting_iteratorImlEEZNS1_24adjacent_difference_implIS3_Lb1ELb0EPiSB_N6thrust23THRUST_200600_302600_NS4plusIiEEEE10hipError_tPvRmT2_T3_mT4_P12ihipStream_tbEUlmE_iEESB_NS0_8identityIvEEEESG_SJ_SK_mSL_SN_bEUlT_E_NS1_11comp_targetILNS1_3genE0ELNS1_11target_archE4294967295ELNS1_3gpuE0ELNS1_3repE0EEENS1_30default_config_static_selectorELNS0_4arch9wavefront6targetE1EEEvT1_,comdat
.Lfunc_end135:
	.size	_ZN7rocprim17ROCPRIM_400000_NS6detail17trampoline_kernelINS0_14default_configENS1_25transform_config_selectorIiLb0EEEZNS1_14transform_implILb0ES3_S5_NS0_18transform_iteratorINS0_17counting_iteratorImlEEZNS1_24adjacent_difference_implIS3_Lb1ELb0EPiSB_N6thrust23THRUST_200600_302600_NS4plusIiEEEE10hipError_tPvRmT2_T3_mT4_P12ihipStream_tbEUlmE_iEESB_NS0_8identityIvEEEESG_SJ_SK_mSL_SN_bEUlT_E_NS1_11comp_targetILNS1_3genE0ELNS1_11target_archE4294967295ELNS1_3gpuE0ELNS1_3repE0EEENS1_30default_config_static_selectorELNS0_4arch9wavefront6targetE1EEEvT1_, .Lfunc_end135-_ZN7rocprim17ROCPRIM_400000_NS6detail17trampoline_kernelINS0_14default_configENS1_25transform_config_selectorIiLb0EEEZNS1_14transform_implILb0ES3_S5_NS0_18transform_iteratorINS0_17counting_iteratorImlEEZNS1_24adjacent_difference_implIS3_Lb1ELb0EPiSB_N6thrust23THRUST_200600_302600_NS4plusIiEEEE10hipError_tPvRmT2_T3_mT4_P12ihipStream_tbEUlmE_iEESB_NS0_8identityIvEEEESG_SJ_SK_mSL_SN_bEUlT_E_NS1_11comp_targetILNS1_3genE0ELNS1_11target_archE4294967295ELNS1_3gpuE0ELNS1_3repE0EEENS1_30default_config_static_selectorELNS0_4arch9wavefront6targetE1EEEvT1_
                                        ; -- End function
	.section	.AMDGPU.csdata,"",@progbits
; Kernel info:
; codeLenInByte = 0
; NumSgprs: 6
; NumVgprs: 0
; NumAgprs: 0
; TotalNumVgprs: 0
; ScratchSize: 0
; MemoryBound: 0
; FloatMode: 240
; IeeeMode: 1
; LDSByteSize: 0 bytes/workgroup (compile time only)
; SGPRBlocks: 0
; VGPRBlocks: 0
; NumSGPRsForWavesPerEU: 6
; NumVGPRsForWavesPerEU: 1
; AccumOffset: 4
; Occupancy: 8
; WaveLimiterHint : 0
; COMPUTE_PGM_RSRC2:SCRATCH_EN: 0
; COMPUTE_PGM_RSRC2:USER_SGPR: 2
; COMPUTE_PGM_RSRC2:TRAP_HANDLER: 0
; COMPUTE_PGM_RSRC2:TGID_X_EN: 1
; COMPUTE_PGM_RSRC2:TGID_Y_EN: 0
; COMPUTE_PGM_RSRC2:TGID_Z_EN: 0
; COMPUTE_PGM_RSRC2:TIDIG_COMP_CNT: 0
; COMPUTE_PGM_RSRC3_GFX90A:ACCUM_OFFSET: 0
; COMPUTE_PGM_RSRC3_GFX90A:TG_SPLIT: 0
	.section	.text._ZN7rocprim17ROCPRIM_400000_NS6detail17trampoline_kernelINS0_14default_configENS1_25transform_config_selectorIiLb0EEEZNS1_14transform_implILb0ES3_S5_NS0_18transform_iteratorINS0_17counting_iteratorImlEEZNS1_24adjacent_difference_implIS3_Lb1ELb0EPiSB_N6thrust23THRUST_200600_302600_NS4plusIiEEEE10hipError_tPvRmT2_T3_mT4_P12ihipStream_tbEUlmE_iEESB_NS0_8identityIvEEEESG_SJ_SK_mSL_SN_bEUlT_E_NS1_11comp_targetILNS1_3genE5ELNS1_11target_archE942ELNS1_3gpuE9ELNS1_3repE0EEENS1_30default_config_static_selectorELNS0_4arch9wavefront6targetE1EEEvT1_,"axG",@progbits,_ZN7rocprim17ROCPRIM_400000_NS6detail17trampoline_kernelINS0_14default_configENS1_25transform_config_selectorIiLb0EEEZNS1_14transform_implILb0ES3_S5_NS0_18transform_iteratorINS0_17counting_iteratorImlEEZNS1_24adjacent_difference_implIS3_Lb1ELb0EPiSB_N6thrust23THRUST_200600_302600_NS4plusIiEEEE10hipError_tPvRmT2_T3_mT4_P12ihipStream_tbEUlmE_iEESB_NS0_8identityIvEEEESG_SJ_SK_mSL_SN_bEUlT_E_NS1_11comp_targetILNS1_3genE5ELNS1_11target_archE942ELNS1_3gpuE9ELNS1_3repE0EEENS1_30default_config_static_selectorELNS0_4arch9wavefront6targetE1EEEvT1_,comdat
	.protected	_ZN7rocprim17ROCPRIM_400000_NS6detail17trampoline_kernelINS0_14default_configENS1_25transform_config_selectorIiLb0EEEZNS1_14transform_implILb0ES3_S5_NS0_18transform_iteratorINS0_17counting_iteratorImlEEZNS1_24adjacent_difference_implIS3_Lb1ELb0EPiSB_N6thrust23THRUST_200600_302600_NS4plusIiEEEE10hipError_tPvRmT2_T3_mT4_P12ihipStream_tbEUlmE_iEESB_NS0_8identityIvEEEESG_SJ_SK_mSL_SN_bEUlT_E_NS1_11comp_targetILNS1_3genE5ELNS1_11target_archE942ELNS1_3gpuE9ELNS1_3repE0EEENS1_30default_config_static_selectorELNS0_4arch9wavefront6targetE1EEEvT1_ ; -- Begin function _ZN7rocprim17ROCPRIM_400000_NS6detail17trampoline_kernelINS0_14default_configENS1_25transform_config_selectorIiLb0EEEZNS1_14transform_implILb0ES3_S5_NS0_18transform_iteratorINS0_17counting_iteratorImlEEZNS1_24adjacent_difference_implIS3_Lb1ELb0EPiSB_N6thrust23THRUST_200600_302600_NS4plusIiEEEE10hipError_tPvRmT2_T3_mT4_P12ihipStream_tbEUlmE_iEESB_NS0_8identityIvEEEESG_SJ_SK_mSL_SN_bEUlT_E_NS1_11comp_targetILNS1_3genE5ELNS1_11target_archE942ELNS1_3gpuE9ELNS1_3repE0EEENS1_30default_config_static_selectorELNS0_4arch9wavefront6targetE1EEEvT1_
	.globl	_ZN7rocprim17ROCPRIM_400000_NS6detail17trampoline_kernelINS0_14default_configENS1_25transform_config_selectorIiLb0EEEZNS1_14transform_implILb0ES3_S5_NS0_18transform_iteratorINS0_17counting_iteratorImlEEZNS1_24adjacent_difference_implIS3_Lb1ELb0EPiSB_N6thrust23THRUST_200600_302600_NS4plusIiEEEE10hipError_tPvRmT2_T3_mT4_P12ihipStream_tbEUlmE_iEESB_NS0_8identityIvEEEESG_SJ_SK_mSL_SN_bEUlT_E_NS1_11comp_targetILNS1_3genE5ELNS1_11target_archE942ELNS1_3gpuE9ELNS1_3repE0EEENS1_30default_config_static_selectorELNS0_4arch9wavefront6targetE1EEEvT1_
	.p2align	8
	.type	_ZN7rocprim17ROCPRIM_400000_NS6detail17trampoline_kernelINS0_14default_configENS1_25transform_config_selectorIiLb0EEEZNS1_14transform_implILb0ES3_S5_NS0_18transform_iteratorINS0_17counting_iteratorImlEEZNS1_24adjacent_difference_implIS3_Lb1ELb0EPiSB_N6thrust23THRUST_200600_302600_NS4plusIiEEEE10hipError_tPvRmT2_T3_mT4_P12ihipStream_tbEUlmE_iEESB_NS0_8identityIvEEEESG_SJ_SK_mSL_SN_bEUlT_E_NS1_11comp_targetILNS1_3genE5ELNS1_11target_archE942ELNS1_3gpuE9ELNS1_3repE0EEENS1_30default_config_static_selectorELNS0_4arch9wavefront6targetE1EEEvT1_,@function
_ZN7rocprim17ROCPRIM_400000_NS6detail17trampoline_kernelINS0_14default_configENS1_25transform_config_selectorIiLb0EEEZNS1_14transform_implILb0ES3_S5_NS0_18transform_iteratorINS0_17counting_iteratorImlEEZNS1_24adjacent_difference_implIS3_Lb1ELb0EPiSB_N6thrust23THRUST_200600_302600_NS4plusIiEEEE10hipError_tPvRmT2_T3_mT4_P12ihipStream_tbEUlmE_iEESB_NS0_8identityIvEEEESG_SJ_SK_mSL_SN_bEUlT_E_NS1_11comp_targetILNS1_3genE5ELNS1_11target_archE942ELNS1_3gpuE9ELNS1_3repE0EEENS1_30default_config_static_selectorELNS0_4arch9wavefront6targetE1EEEvT1_: ; @_ZN7rocprim17ROCPRIM_400000_NS6detail17trampoline_kernelINS0_14default_configENS1_25transform_config_selectorIiLb0EEEZNS1_14transform_implILb0ES3_S5_NS0_18transform_iteratorINS0_17counting_iteratorImlEEZNS1_24adjacent_difference_implIS3_Lb1ELb0EPiSB_N6thrust23THRUST_200600_302600_NS4plusIiEEEE10hipError_tPvRmT2_T3_mT4_P12ihipStream_tbEUlmE_iEESB_NS0_8identityIvEEEESG_SJ_SK_mSL_SN_bEUlT_E_NS1_11comp_targetILNS1_3genE5ELNS1_11target_archE942ELNS1_3gpuE9ELNS1_3repE0EEENS1_30default_config_static_selectorELNS0_4arch9wavefront6targetE1EEEvT1_
; %bb.0:
	s_load_dwordx4 s[8:11], s[0:1], 0x18
	s_load_dwordx2 s[14:15], s[0:1], 0x28
	s_load_dwordx4 s[4:7], s[0:1], 0x0
	s_load_dword s12, s[0:1], 0x10
	s_load_dword s3, s[0:1], 0x38
	s_waitcnt lgkmcnt(0)
	s_lshl_b64 s[0:1], s[8:9], 2
	s_add_u32 s18, s14, s0
	s_addc_u32 s19, s15, s1
	s_lshl_b32 s14, s2, 11
	s_add_i32 s3, s3, -1
	s_add_u32 s0, s4, s14
	s_addc_u32 s1, s5, 0
	s_add_u32 s16, s0, s8
	s_addc_u32 s17, s1, s9
	s_mov_b32 s15, 0
	s_cmp_lg_u32 s2, s3
	v_lshlrev_b32_e32 v6, 2, v0
	s_cbranch_scc0 .LBB136_2
; %bb.1:
	v_mov_b32_e32 v1, 0
	v_lshl_add_u64 v[2:3], s[16:17], 0, v[0:1]
	v_mad_u64_u32 v[4:5], s[0:1], v2, s12, 0
	v_mov_b32_e32 v2, v5
	v_mad_u64_u32 v[2:3], s[0:1], v3, s12, v[2:3]
	s_mov_b32 s13, s15
	v_mov_b32_e32 v5, v2
	v_lshl_add_u64 v[2:3], v[4:5], 2, s[6:7]
	s_lshl_b64 s[0:1], s[12:13], 11
	v_lshl_add_u64 v[4:5], v[2:3], 0, s[0:1]
	v_lshl_add_u64 v[8:9], v[4:5], 0, s[0:1]
	global_load_dword v10, v[2:3], off
	global_load_dword v11, v[4:5], off
	;; [unrolled: 1-line block ×3, first 2 shown]
	v_lshl_add_u64 v[2:3], v[8:9], 0, s[0:1]
	global_load_dword v2, v[2:3], off
	s_lshl_b64 s[2:3], s[14:15], 2
	s_add_u32 s2, s18, s2
	v_mov_b32_e32 v7, v1
	s_addc_u32 s3, s19, s3
	v_lshl_add_u64 v[8:9], s[2:3], 0, v[6:7]
	v_add_co_u32_e32 v4, vcc, 0x1000, v8
	s_nop 1
	v_addc_co_u32_e32 v5, vcc, 0, v9, vcc
	s_mov_b64 s[8:9], -1
	s_waitcnt vmcnt(3)
	global_store_dword v6, v10, s[2:3]
	s_waitcnt vmcnt(3)
	global_store_dword v6, v11, s[2:3] offset:2048
	s_waitcnt vmcnt(3)
	global_store_dword v[4:5], v12, off
	s_cbranch_execz .LBB136_3
	s_branch .LBB136_17
.LBB136_2:
	s_mov_b64 s[8:9], 0
                                        ; implicit-def: $vgpr2
                                        ; implicit-def: $vgpr8_vgpr9
.LBB136_3:
	s_sub_i32 s10, s10, s14
	v_cmp_gt_u32_e32 vcc, s10, v0
                                        ; implicit-def: $vgpr2_vgpr3_vgpr4_vgpr5
	s_and_saveexec_b64 s[0:1], vcc
	s_cbranch_execz .LBB136_5
; %bb.4:
	v_mov_b32_e32 v1, 0
	s_waitcnt vmcnt(3)
	v_lshl_add_u64 v[2:3], s[16:17], 0, v[0:1]
	v_mad_u64_u32 v[4:5], s[2:3], v2, s12, 0
	v_mov_b32_e32 v2, v5
	v_mad_u64_u32 v[2:3], s[2:3], v3, s12, v[2:3]
	v_mov_b32_e32 v5, v2
	v_lshl_add_u64 v[2:3], v[4:5], 2, s[6:7]
	global_load_dword v2, v[2:3], off
.LBB136_5:
	s_or_b64 exec, exec, s[0:1]
	v_or_b32_e32 v8, 0x200, v0
	v_cmp_gt_u32_e64 s[0:1], s10, v8
	s_and_saveexec_b64 s[2:3], s[0:1]
	s_cbranch_execz .LBB136_7
; %bb.6:
	v_mov_b32_e32 v9, 0
	v_lshl_add_u64 v[8:9], s[16:17], 0, v[8:9]
	v_mad_u64_u32 v[10:11], s[4:5], v8, s12, 0
	v_mov_b32_e32 v8, v11
	v_mad_u64_u32 v[8:9], s[4:5], v9, s12, v[8:9]
	v_mov_b32_e32 v11, v8
	v_lshl_add_u64 v[8:9], v[10:11], 2, s[6:7]
	global_load_dword v3, v[8:9], off
.LBB136_7:
	s_or_b64 exec, exec, s[2:3]
	v_or_b32_e32 v8, 0x400, v0
	v_cmp_gt_u32_e64 s[2:3], s10, v8
	s_and_saveexec_b64 s[4:5], s[2:3]
	s_cbranch_execz .LBB136_9
; %bb.8:
	v_mov_b32_e32 v9, 0
	v_lshl_add_u64 v[8:9], s[16:17], 0, v[8:9]
	v_mad_u64_u32 v[10:11], s[20:21], v8, s12, 0
	v_mov_b32_e32 v4, v11
	v_mad_u64_u32 v[8:9], s[20:21], v9, s12, v[4:5]
	v_mov_b32_e32 v11, v8
	v_lshl_add_u64 v[8:9], v[10:11], 2, s[6:7]
	global_load_dword v4, v[8:9], off
.LBB136_9:
	;; [unrolled: 15-line block ×3, first 2 shown]
	s_or_b64 exec, exec, s[10:11]
	s_lshl_b64 s[6:7], s[14:15], 2
	s_add_u32 s6, s18, s6
	s_addc_u32 s7, s19, s7
	v_mov_b32_e32 v7, 0
	v_lshl_add_u64 v[8:9], s[6:7], 0, v[6:7]
	s_and_saveexec_b64 s[6:7], vcc
	s_cbranch_execnz .LBB136_20
; %bb.12:
	s_or_b64 exec, exec, s[6:7]
	s_and_saveexec_b64 s[6:7], s[0:1]
	s_cbranch_execnz .LBB136_21
.LBB136_13:
	s_or_b64 exec, exec, s[6:7]
	s_and_saveexec_b64 s[0:1], s[2:3]
	s_cbranch_execnz .LBB136_22
.LBB136_14:
	s_or_b64 exec, exec, s[0:1]
                                        ; implicit-def: $vgpr2
	s_and_saveexec_b64 s[0:1], s[4:5]
	s_cbranch_execz .LBB136_16
.LBB136_15:
	s_waitcnt vmcnt(0)
	v_cndmask_b32_e64 v2, v5, v5, s[4:5]
	s_or_b64 s[8:9], s[8:9], exec
.LBB136_16:
	s_or_b64 exec, exec, s[0:1]
.LBB136_17:
	s_and_saveexec_b64 s[0:1], s[8:9]
	s_cbranch_execnz .LBB136_19
; %bb.18:
	s_endpgm
.LBB136_19:
	v_add_co_u32_e32 v0, vcc, 0x1000, v8
	s_nop 1
	v_addc_co_u32_e32 v1, vcc, 0, v9, vcc
	s_waitcnt vmcnt(0)
	global_store_dword v[0:1], v2, off offset:2048
	s_endpgm
.LBB136_20:
	s_waitcnt vmcnt(0)
	global_store_dword v[8:9], v2, off
	s_or_b64 exec, exec, s[6:7]
	s_and_saveexec_b64 s[6:7], s[0:1]
	s_cbranch_execz .LBB136_13
.LBB136_21:
	s_waitcnt vmcnt(0)
	global_store_dword v[8:9], v3, off offset:2048
	s_or_b64 exec, exec, s[6:7]
	s_and_saveexec_b64 s[0:1], s[2:3]
	s_cbranch_execz .LBB136_14
.LBB136_22:
	v_add_co_u32_e32 v0, vcc, 0x1000, v8
	s_waitcnt vmcnt(0)
	v_cndmask_b32_e64 v2, v4, v4, s[2:3]
	v_addc_co_u32_e32 v1, vcc, 0, v9, vcc
	global_store_dword v[0:1], v2, off
	s_or_b64 exec, exec, s[0:1]
                                        ; implicit-def: $vgpr2
	s_and_saveexec_b64 s[0:1], s[4:5]
	s_cbranch_execnz .LBB136_15
	s_branch .LBB136_16
	.section	.rodata,"a",@progbits
	.p2align	6, 0x0
	.amdhsa_kernel _ZN7rocprim17ROCPRIM_400000_NS6detail17trampoline_kernelINS0_14default_configENS1_25transform_config_selectorIiLb0EEEZNS1_14transform_implILb0ES3_S5_NS0_18transform_iteratorINS0_17counting_iteratorImlEEZNS1_24adjacent_difference_implIS3_Lb1ELb0EPiSB_N6thrust23THRUST_200600_302600_NS4plusIiEEEE10hipError_tPvRmT2_T3_mT4_P12ihipStream_tbEUlmE_iEESB_NS0_8identityIvEEEESG_SJ_SK_mSL_SN_bEUlT_E_NS1_11comp_targetILNS1_3genE5ELNS1_11target_archE942ELNS1_3gpuE9ELNS1_3repE0EEENS1_30default_config_static_selectorELNS0_4arch9wavefront6targetE1EEEvT1_
		.amdhsa_group_segment_fixed_size 0
		.amdhsa_private_segment_fixed_size 0
		.amdhsa_kernarg_size 312
		.amdhsa_user_sgpr_count 2
		.amdhsa_user_sgpr_dispatch_ptr 0
		.amdhsa_user_sgpr_queue_ptr 0
		.amdhsa_user_sgpr_kernarg_segment_ptr 1
		.amdhsa_user_sgpr_dispatch_id 0
		.amdhsa_user_sgpr_kernarg_preload_length 0
		.amdhsa_user_sgpr_kernarg_preload_offset 0
		.amdhsa_user_sgpr_private_segment_size 0
		.amdhsa_uses_dynamic_stack 0
		.amdhsa_enable_private_segment 0
		.amdhsa_system_sgpr_workgroup_id_x 1
		.amdhsa_system_sgpr_workgroup_id_y 0
		.amdhsa_system_sgpr_workgroup_id_z 0
		.amdhsa_system_sgpr_workgroup_info 0
		.amdhsa_system_vgpr_workitem_id 0
		.amdhsa_next_free_vgpr 13
		.amdhsa_next_free_sgpr 22
		.amdhsa_accum_offset 16
		.amdhsa_reserve_vcc 1
		.amdhsa_float_round_mode_32 0
		.amdhsa_float_round_mode_16_64 0
		.amdhsa_float_denorm_mode_32 3
		.amdhsa_float_denorm_mode_16_64 3
		.amdhsa_dx10_clamp 1
		.amdhsa_ieee_mode 1
		.amdhsa_fp16_overflow 0
		.amdhsa_tg_split 0
		.amdhsa_exception_fp_ieee_invalid_op 0
		.amdhsa_exception_fp_denorm_src 0
		.amdhsa_exception_fp_ieee_div_zero 0
		.amdhsa_exception_fp_ieee_overflow 0
		.amdhsa_exception_fp_ieee_underflow 0
		.amdhsa_exception_fp_ieee_inexact 0
		.amdhsa_exception_int_div_zero 0
	.end_amdhsa_kernel
	.section	.text._ZN7rocprim17ROCPRIM_400000_NS6detail17trampoline_kernelINS0_14default_configENS1_25transform_config_selectorIiLb0EEEZNS1_14transform_implILb0ES3_S5_NS0_18transform_iteratorINS0_17counting_iteratorImlEEZNS1_24adjacent_difference_implIS3_Lb1ELb0EPiSB_N6thrust23THRUST_200600_302600_NS4plusIiEEEE10hipError_tPvRmT2_T3_mT4_P12ihipStream_tbEUlmE_iEESB_NS0_8identityIvEEEESG_SJ_SK_mSL_SN_bEUlT_E_NS1_11comp_targetILNS1_3genE5ELNS1_11target_archE942ELNS1_3gpuE9ELNS1_3repE0EEENS1_30default_config_static_selectorELNS0_4arch9wavefront6targetE1EEEvT1_,"axG",@progbits,_ZN7rocprim17ROCPRIM_400000_NS6detail17trampoline_kernelINS0_14default_configENS1_25transform_config_selectorIiLb0EEEZNS1_14transform_implILb0ES3_S5_NS0_18transform_iteratorINS0_17counting_iteratorImlEEZNS1_24adjacent_difference_implIS3_Lb1ELb0EPiSB_N6thrust23THRUST_200600_302600_NS4plusIiEEEE10hipError_tPvRmT2_T3_mT4_P12ihipStream_tbEUlmE_iEESB_NS0_8identityIvEEEESG_SJ_SK_mSL_SN_bEUlT_E_NS1_11comp_targetILNS1_3genE5ELNS1_11target_archE942ELNS1_3gpuE9ELNS1_3repE0EEENS1_30default_config_static_selectorELNS0_4arch9wavefront6targetE1EEEvT1_,comdat
.Lfunc_end136:
	.size	_ZN7rocprim17ROCPRIM_400000_NS6detail17trampoline_kernelINS0_14default_configENS1_25transform_config_selectorIiLb0EEEZNS1_14transform_implILb0ES3_S5_NS0_18transform_iteratorINS0_17counting_iteratorImlEEZNS1_24adjacent_difference_implIS3_Lb1ELb0EPiSB_N6thrust23THRUST_200600_302600_NS4plusIiEEEE10hipError_tPvRmT2_T3_mT4_P12ihipStream_tbEUlmE_iEESB_NS0_8identityIvEEEESG_SJ_SK_mSL_SN_bEUlT_E_NS1_11comp_targetILNS1_3genE5ELNS1_11target_archE942ELNS1_3gpuE9ELNS1_3repE0EEENS1_30default_config_static_selectorELNS0_4arch9wavefront6targetE1EEEvT1_, .Lfunc_end136-_ZN7rocprim17ROCPRIM_400000_NS6detail17trampoline_kernelINS0_14default_configENS1_25transform_config_selectorIiLb0EEEZNS1_14transform_implILb0ES3_S5_NS0_18transform_iteratorINS0_17counting_iteratorImlEEZNS1_24adjacent_difference_implIS3_Lb1ELb0EPiSB_N6thrust23THRUST_200600_302600_NS4plusIiEEEE10hipError_tPvRmT2_T3_mT4_P12ihipStream_tbEUlmE_iEESB_NS0_8identityIvEEEESG_SJ_SK_mSL_SN_bEUlT_E_NS1_11comp_targetILNS1_3genE5ELNS1_11target_archE942ELNS1_3gpuE9ELNS1_3repE0EEENS1_30default_config_static_selectorELNS0_4arch9wavefront6targetE1EEEvT1_
                                        ; -- End function
	.section	.AMDGPU.csdata,"",@progbits
; Kernel info:
; codeLenInByte = 840
; NumSgprs: 28
; NumVgprs: 13
; NumAgprs: 0
; TotalNumVgprs: 13
; ScratchSize: 0
; MemoryBound: 0
; FloatMode: 240
; IeeeMode: 1
; LDSByteSize: 0 bytes/workgroup (compile time only)
; SGPRBlocks: 3
; VGPRBlocks: 1
; NumSGPRsForWavesPerEU: 28
; NumVGPRsForWavesPerEU: 13
; AccumOffset: 16
; Occupancy: 8
; WaveLimiterHint : 1
; COMPUTE_PGM_RSRC2:SCRATCH_EN: 0
; COMPUTE_PGM_RSRC2:USER_SGPR: 2
; COMPUTE_PGM_RSRC2:TRAP_HANDLER: 0
; COMPUTE_PGM_RSRC2:TGID_X_EN: 1
; COMPUTE_PGM_RSRC2:TGID_Y_EN: 0
; COMPUTE_PGM_RSRC2:TGID_Z_EN: 0
; COMPUTE_PGM_RSRC2:TIDIG_COMP_CNT: 0
; COMPUTE_PGM_RSRC3_GFX90A:ACCUM_OFFSET: 3
; COMPUTE_PGM_RSRC3_GFX90A:TG_SPLIT: 0
	.section	.text._ZN7rocprim17ROCPRIM_400000_NS6detail17trampoline_kernelINS0_14default_configENS1_25transform_config_selectorIiLb0EEEZNS1_14transform_implILb0ES3_S5_NS0_18transform_iteratorINS0_17counting_iteratorImlEEZNS1_24adjacent_difference_implIS3_Lb1ELb0EPiSB_N6thrust23THRUST_200600_302600_NS4plusIiEEEE10hipError_tPvRmT2_T3_mT4_P12ihipStream_tbEUlmE_iEESB_NS0_8identityIvEEEESG_SJ_SK_mSL_SN_bEUlT_E_NS1_11comp_targetILNS1_3genE4ELNS1_11target_archE910ELNS1_3gpuE8ELNS1_3repE0EEENS1_30default_config_static_selectorELNS0_4arch9wavefront6targetE1EEEvT1_,"axG",@progbits,_ZN7rocprim17ROCPRIM_400000_NS6detail17trampoline_kernelINS0_14default_configENS1_25transform_config_selectorIiLb0EEEZNS1_14transform_implILb0ES3_S5_NS0_18transform_iteratorINS0_17counting_iteratorImlEEZNS1_24adjacent_difference_implIS3_Lb1ELb0EPiSB_N6thrust23THRUST_200600_302600_NS4plusIiEEEE10hipError_tPvRmT2_T3_mT4_P12ihipStream_tbEUlmE_iEESB_NS0_8identityIvEEEESG_SJ_SK_mSL_SN_bEUlT_E_NS1_11comp_targetILNS1_3genE4ELNS1_11target_archE910ELNS1_3gpuE8ELNS1_3repE0EEENS1_30default_config_static_selectorELNS0_4arch9wavefront6targetE1EEEvT1_,comdat
	.protected	_ZN7rocprim17ROCPRIM_400000_NS6detail17trampoline_kernelINS0_14default_configENS1_25transform_config_selectorIiLb0EEEZNS1_14transform_implILb0ES3_S5_NS0_18transform_iteratorINS0_17counting_iteratorImlEEZNS1_24adjacent_difference_implIS3_Lb1ELb0EPiSB_N6thrust23THRUST_200600_302600_NS4plusIiEEEE10hipError_tPvRmT2_T3_mT4_P12ihipStream_tbEUlmE_iEESB_NS0_8identityIvEEEESG_SJ_SK_mSL_SN_bEUlT_E_NS1_11comp_targetILNS1_3genE4ELNS1_11target_archE910ELNS1_3gpuE8ELNS1_3repE0EEENS1_30default_config_static_selectorELNS0_4arch9wavefront6targetE1EEEvT1_ ; -- Begin function _ZN7rocprim17ROCPRIM_400000_NS6detail17trampoline_kernelINS0_14default_configENS1_25transform_config_selectorIiLb0EEEZNS1_14transform_implILb0ES3_S5_NS0_18transform_iteratorINS0_17counting_iteratorImlEEZNS1_24adjacent_difference_implIS3_Lb1ELb0EPiSB_N6thrust23THRUST_200600_302600_NS4plusIiEEEE10hipError_tPvRmT2_T3_mT4_P12ihipStream_tbEUlmE_iEESB_NS0_8identityIvEEEESG_SJ_SK_mSL_SN_bEUlT_E_NS1_11comp_targetILNS1_3genE4ELNS1_11target_archE910ELNS1_3gpuE8ELNS1_3repE0EEENS1_30default_config_static_selectorELNS0_4arch9wavefront6targetE1EEEvT1_
	.globl	_ZN7rocprim17ROCPRIM_400000_NS6detail17trampoline_kernelINS0_14default_configENS1_25transform_config_selectorIiLb0EEEZNS1_14transform_implILb0ES3_S5_NS0_18transform_iteratorINS0_17counting_iteratorImlEEZNS1_24adjacent_difference_implIS3_Lb1ELb0EPiSB_N6thrust23THRUST_200600_302600_NS4plusIiEEEE10hipError_tPvRmT2_T3_mT4_P12ihipStream_tbEUlmE_iEESB_NS0_8identityIvEEEESG_SJ_SK_mSL_SN_bEUlT_E_NS1_11comp_targetILNS1_3genE4ELNS1_11target_archE910ELNS1_3gpuE8ELNS1_3repE0EEENS1_30default_config_static_selectorELNS0_4arch9wavefront6targetE1EEEvT1_
	.p2align	8
	.type	_ZN7rocprim17ROCPRIM_400000_NS6detail17trampoline_kernelINS0_14default_configENS1_25transform_config_selectorIiLb0EEEZNS1_14transform_implILb0ES3_S5_NS0_18transform_iteratorINS0_17counting_iteratorImlEEZNS1_24adjacent_difference_implIS3_Lb1ELb0EPiSB_N6thrust23THRUST_200600_302600_NS4plusIiEEEE10hipError_tPvRmT2_T3_mT4_P12ihipStream_tbEUlmE_iEESB_NS0_8identityIvEEEESG_SJ_SK_mSL_SN_bEUlT_E_NS1_11comp_targetILNS1_3genE4ELNS1_11target_archE910ELNS1_3gpuE8ELNS1_3repE0EEENS1_30default_config_static_selectorELNS0_4arch9wavefront6targetE1EEEvT1_,@function
_ZN7rocprim17ROCPRIM_400000_NS6detail17trampoline_kernelINS0_14default_configENS1_25transform_config_selectorIiLb0EEEZNS1_14transform_implILb0ES3_S5_NS0_18transform_iteratorINS0_17counting_iteratorImlEEZNS1_24adjacent_difference_implIS3_Lb1ELb0EPiSB_N6thrust23THRUST_200600_302600_NS4plusIiEEEE10hipError_tPvRmT2_T3_mT4_P12ihipStream_tbEUlmE_iEESB_NS0_8identityIvEEEESG_SJ_SK_mSL_SN_bEUlT_E_NS1_11comp_targetILNS1_3genE4ELNS1_11target_archE910ELNS1_3gpuE8ELNS1_3repE0EEENS1_30default_config_static_selectorELNS0_4arch9wavefront6targetE1EEEvT1_: ; @_ZN7rocprim17ROCPRIM_400000_NS6detail17trampoline_kernelINS0_14default_configENS1_25transform_config_selectorIiLb0EEEZNS1_14transform_implILb0ES3_S5_NS0_18transform_iteratorINS0_17counting_iteratorImlEEZNS1_24adjacent_difference_implIS3_Lb1ELb0EPiSB_N6thrust23THRUST_200600_302600_NS4plusIiEEEE10hipError_tPvRmT2_T3_mT4_P12ihipStream_tbEUlmE_iEESB_NS0_8identityIvEEEESG_SJ_SK_mSL_SN_bEUlT_E_NS1_11comp_targetILNS1_3genE4ELNS1_11target_archE910ELNS1_3gpuE8ELNS1_3repE0EEENS1_30default_config_static_selectorELNS0_4arch9wavefront6targetE1EEEvT1_
; %bb.0:
	.section	.rodata,"a",@progbits
	.p2align	6, 0x0
	.amdhsa_kernel _ZN7rocprim17ROCPRIM_400000_NS6detail17trampoline_kernelINS0_14default_configENS1_25transform_config_selectorIiLb0EEEZNS1_14transform_implILb0ES3_S5_NS0_18transform_iteratorINS0_17counting_iteratorImlEEZNS1_24adjacent_difference_implIS3_Lb1ELb0EPiSB_N6thrust23THRUST_200600_302600_NS4plusIiEEEE10hipError_tPvRmT2_T3_mT4_P12ihipStream_tbEUlmE_iEESB_NS0_8identityIvEEEESG_SJ_SK_mSL_SN_bEUlT_E_NS1_11comp_targetILNS1_3genE4ELNS1_11target_archE910ELNS1_3gpuE8ELNS1_3repE0EEENS1_30default_config_static_selectorELNS0_4arch9wavefront6targetE1EEEvT1_
		.amdhsa_group_segment_fixed_size 0
		.amdhsa_private_segment_fixed_size 0
		.amdhsa_kernarg_size 56
		.amdhsa_user_sgpr_count 2
		.amdhsa_user_sgpr_dispatch_ptr 0
		.amdhsa_user_sgpr_queue_ptr 0
		.amdhsa_user_sgpr_kernarg_segment_ptr 1
		.amdhsa_user_sgpr_dispatch_id 0
		.amdhsa_user_sgpr_kernarg_preload_length 0
		.amdhsa_user_sgpr_kernarg_preload_offset 0
		.amdhsa_user_sgpr_private_segment_size 0
		.amdhsa_uses_dynamic_stack 0
		.amdhsa_enable_private_segment 0
		.amdhsa_system_sgpr_workgroup_id_x 1
		.amdhsa_system_sgpr_workgroup_id_y 0
		.amdhsa_system_sgpr_workgroup_id_z 0
		.amdhsa_system_sgpr_workgroup_info 0
		.amdhsa_system_vgpr_workitem_id 0
		.amdhsa_next_free_vgpr 1
		.amdhsa_next_free_sgpr 0
		.amdhsa_accum_offset 4
		.amdhsa_reserve_vcc 0
		.amdhsa_float_round_mode_32 0
		.amdhsa_float_round_mode_16_64 0
		.amdhsa_float_denorm_mode_32 3
		.amdhsa_float_denorm_mode_16_64 3
		.amdhsa_dx10_clamp 1
		.amdhsa_ieee_mode 1
		.amdhsa_fp16_overflow 0
		.amdhsa_tg_split 0
		.amdhsa_exception_fp_ieee_invalid_op 0
		.amdhsa_exception_fp_denorm_src 0
		.amdhsa_exception_fp_ieee_div_zero 0
		.amdhsa_exception_fp_ieee_overflow 0
		.amdhsa_exception_fp_ieee_underflow 0
		.amdhsa_exception_fp_ieee_inexact 0
		.amdhsa_exception_int_div_zero 0
	.end_amdhsa_kernel
	.section	.text._ZN7rocprim17ROCPRIM_400000_NS6detail17trampoline_kernelINS0_14default_configENS1_25transform_config_selectorIiLb0EEEZNS1_14transform_implILb0ES3_S5_NS0_18transform_iteratorINS0_17counting_iteratorImlEEZNS1_24adjacent_difference_implIS3_Lb1ELb0EPiSB_N6thrust23THRUST_200600_302600_NS4plusIiEEEE10hipError_tPvRmT2_T3_mT4_P12ihipStream_tbEUlmE_iEESB_NS0_8identityIvEEEESG_SJ_SK_mSL_SN_bEUlT_E_NS1_11comp_targetILNS1_3genE4ELNS1_11target_archE910ELNS1_3gpuE8ELNS1_3repE0EEENS1_30default_config_static_selectorELNS0_4arch9wavefront6targetE1EEEvT1_,"axG",@progbits,_ZN7rocprim17ROCPRIM_400000_NS6detail17trampoline_kernelINS0_14default_configENS1_25transform_config_selectorIiLb0EEEZNS1_14transform_implILb0ES3_S5_NS0_18transform_iteratorINS0_17counting_iteratorImlEEZNS1_24adjacent_difference_implIS3_Lb1ELb0EPiSB_N6thrust23THRUST_200600_302600_NS4plusIiEEEE10hipError_tPvRmT2_T3_mT4_P12ihipStream_tbEUlmE_iEESB_NS0_8identityIvEEEESG_SJ_SK_mSL_SN_bEUlT_E_NS1_11comp_targetILNS1_3genE4ELNS1_11target_archE910ELNS1_3gpuE8ELNS1_3repE0EEENS1_30default_config_static_selectorELNS0_4arch9wavefront6targetE1EEEvT1_,comdat
.Lfunc_end137:
	.size	_ZN7rocprim17ROCPRIM_400000_NS6detail17trampoline_kernelINS0_14default_configENS1_25transform_config_selectorIiLb0EEEZNS1_14transform_implILb0ES3_S5_NS0_18transform_iteratorINS0_17counting_iteratorImlEEZNS1_24adjacent_difference_implIS3_Lb1ELb0EPiSB_N6thrust23THRUST_200600_302600_NS4plusIiEEEE10hipError_tPvRmT2_T3_mT4_P12ihipStream_tbEUlmE_iEESB_NS0_8identityIvEEEESG_SJ_SK_mSL_SN_bEUlT_E_NS1_11comp_targetILNS1_3genE4ELNS1_11target_archE910ELNS1_3gpuE8ELNS1_3repE0EEENS1_30default_config_static_selectorELNS0_4arch9wavefront6targetE1EEEvT1_, .Lfunc_end137-_ZN7rocprim17ROCPRIM_400000_NS6detail17trampoline_kernelINS0_14default_configENS1_25transform_config_selectorIiLb0EEEZNS1_14transform_implILb0ES3_S5_NS0_18transform_iteratorINS0_17counting_iteratorImlEEZNS1_24adjacent_difference_implIS3_Lb1ELb0EPiSB_N6thrust23THRUST_200600_302600_NS4plusIiEEEE10hipError_tPvRmT2_T3_mT4_P12ihipStream_tbEUlmE_iEESB_NS0_8identityIvEEEESG_SJ_SK_mSL_SN_bEUlT_E_NS1_11comp_targetILNS1_3genE4ELNS1_11target_archE910ELNS1_3gpuE8ELNS1_3repE0EEENS1_30default_config_static_selectorELNS0_4arch9wavefront6targetE1EEEvT1_
                                        ; -- End function
	.section	.AMDGPU.csdata,"",@progbits
; Kernel info:
; codeLenInByte = 0
; NumSgprs: 6
; NumVgprs: 0
; NumAgprs: 0
; TotalNumVgprs: 0
; ScratchSize: 0
; MemoryBound: 0
; FloatMode: 240
; IeeeMode: 1
; LDSByteSize: 0 bytes/workgroup (compile time only)
; SGPRBlocks: 0
; VGPRBlocks: 0
; NumSGPRsForWavesPerEU: 6
; NumVGPRsForWavesPerEU: 1
; AccumOffset: 4
; Occupancy: 8
; WaveLimiterHint : 0
; COMPUTE_PGM_RSRC2:SCRATCH_EN: 0
; COMPUTE_PGM_RSRC2:USER_SGPR: 2
; COMPUTE_PGM_RSRC2:TRAP_HANDLER: 0
; COMPUTE_PGM_RSRC2:TGID_X_EN: 1
; COMPUTE_PGM_RSRC2:TGID_Y_EN: 0
; COMPUTE_PGM_RSRC2:TGID_Z_EN: 0
; COMPUTE_PGM_RSRC2:TIDIG_COMP_CNT: 0
; COMPUTE_PGM_RSRC3_GFX90A:ACCUM_OFFSET: 0
; COMPUTE_PGM_RSRC3_GFX90A:TG_SPLIT: 0
	.section	.text._ZN7rocprim17ROCPRIM_400000_NS6detail17trampoline_kernelINS0_14default_configENS1_25transform_config_selectorIiLb0EEEZNS1_14transform_implILb0ES3_S5_NS0_18transform_iteratorINS0_17counting_iteratorImlEEZNS1_24adjacent_difference_implIS3_Lb1ELb0EPiSB_N6thrust23THRUST_200600_302600_NS4plusIiEEEE10hipError_tPvRmT2_T3_mT4_P12ihipStream_tbEUlmE_iEESB_NS0_8identityIvEEEESG_SJ_SK_mSL_SN_bEUlT_E_NS1_11comp_targetILNS1_3genE3ELNS1_11target_archE908ELNS1_3gpuE7ELNS1_3repE0EEENS1_30default_config_static_selectorELNS0_4arch9wavefront6targetE1EEEvT1_,"axG",@progbits,_ZN7rocprim17ROCPRIM_400000_NS6detail17trampoline_kernelINS0_14default_configENS1_25transform_config_selectorIiLb0EEEZNS1_14transform_implILb0ES3_S5_NS0_18transform_iteratorINS0_17counting_iteratorImlEEZNS1_24adjacent_difference_implIS3_Lb1ELb0EPiSB_N6thrust23THRUST_200600_302600_NS4plusIiEEEE10hipError_tPvRmT2_T3_mT4_P12ihipStream_tbEUlmE_iEESB_NS0_8identityIvEEEESG_SJ_SK_mSL_SN_bEUlT_E_NS1_11comp_targetILNS1_3genE3ELNS1_11target_archE908ELNS1_3gpuE7ELNS1_3repE0EEENS1_30default_config_static_selectorELNS0_4arch9wavefront6targetE1EEEvT1_,comdat
	.protected	_ZN7rocprim17ROCPRIM_400000_NS6detail17trampoline_kernelINS0_14default_configENS1_25transform_config_selectorIiLb0EEEZNS1_14transform_implILb0ES3_S5_NS0_18transform_iteratorINS0_17counting_iteratorImlEEZNS1_24adjacent_difference_implIS3_Lb1ELb0EPiSB_N6thrust23THRUST_200600_302600_NS4plusIiEEEE10hipError_tPvRmT2_T3_mT4_P12ihipStream_tbEUlmE_iEESB_NS0_8identityIvEEEESG_SJ_SK_mSL_SN_bEUlT_E_NS1_11comp_targetILNS1_3genE3ELNS1_11target_archE908ELNS1_3gpuE7ELNS1_3repE0EEENS1_30default_config_static_selectorELNS0_4arch9wavefront6targetE1EEEvT1_ ; -- Begin function _ZN7rocprim17ROCPRIM_400000_NS6detail17trampoline_kernelINS0_14default_configENS1_25transform_config_selectorIiLb0EEEZNS1_14transform_implILb0ES3_S5_NS0_18transform_iteratorINS0_17counting_iteratorImlEEZNS1_24adjacent_difference_implIS3_Lb1ELb0EPiSB_N6thrust23THRUST_200600_302600_NS4plusIiEEEE10hipError_tPvRmT2_T3_mT4_P12ihipStream_tbEUlmE_iEESB_NS0_8identityIvEEEESG_SJ_SK_mSL_SN_bEUlT_E_NS1_11comp_targetILNS1_3genE3ELNS1_11target_archE908ELNS1_3gpuE7ELNS1_3repE0EEENS1_30default_config_static_selectorELNS0_4arch9wavefront6targetE1EEEvT1_
	.globl	_ZN7rocprim17ROCPRIM_400000_NS6detail17trampoline_kernelINS0_14default_configENS1_25transform_config_selectorIiLb0EEEZNS1_14transform_implILb0ES3_S5_NS0_18transform_iteratorINS0_17counting_iteratorImlEEZNS1_24adjacent_difference_implIS3_Lb1ELb0EPiSB_N6thrust23THRUST_200600_302600_NS4plusIiEEEE10hipError_tPvRmT2_T3_mT4_P12ihipStream_tbEUlmE_iEESB_NS0_8identityIvEEEESG_SJ_SK_mSL_SN_bEUlT_E_NS1_11comp_targetILNS1_3genE3ELNS1_11target_archE908ELNS1_3gpuE7ELNS1_3repE0EEENS1_30default_config_static_selectorELNS0_4arch9wavefront6targetE1EEEvT1_
	.p2align	8
	.type	_ZN7rocprim17ROCPRIM_400000_NS6detail17trampoline_kernelINS0_14default_configENS1_25transform_config_selectorIiLb0EEEZNS1_14transform_implILb0ES3_S5_NS0_18transform_iteratorINS0_17counting_iteratorImlEEZNS1_24adjacent_difference_implIS3_Lb1ELb0EPiSB_N6thrust23THRUST_200600_302600_NS4plusIiEEEE10hipError_tPvRmT2_T3_mT4_P12ihipStream_tbEUlmE_iEESB_NS0_8identityIvEEEESG_SJ_SK_mSL_SN_bEUlT_E_NS1_11comp_targetILNS1_3genE3ELNS1_11target_archE908ELNS1_3gpuE7ELNS1_3repE0EEENS1_30default_config_static_selectorELNS0_4arch9wavefront6targetE1EEEvT1_,@function
_ZN7rocprim17ROCPRIM_400000_NS6detail17trampoline_kernelINS0_14default_configENS1_25transform_config_selectorIiLb0EEEZNS1_14transform_implILb0ES3_S5_NS0_18transform_iteratorINS0_17counting_iteratorImlEEZNS1_24adjacent_difference_implIS3_Lb1ELb0EPiSB_N6thrust23THRUST_200600_302600_NS4plusIiEEEE10hipError_tPvRmT2_T3_mT4_P12ihipStream_tbEUlmE_iEESB_NS0_8identityIvEEEESG_SJ_SK_mSL_SN_bEUlT_E_NS1_11comp_targetILNS1_3genE3ELNS1_11target_archE908ELNS1_3gpuE7ELNS1_3repE0EEENS1_30default_config_static_selectorELNS0_4arch9wavefront6targetE1EEEvT1_: ; @_ZN7rocprim17ROCPRIM_400000_NS6detail17trampoline_kernelINS0_14default_configENS1_25transform_config_selectorIiLb0EEEZNS1_14transform_implILb0ES3_S5_NS0_18transform_iteratorINS0_17counting_iteratorImlEEZNS1_24adjacent_difference_implIS3_Lb1ELb0EPiSB_N6thrust23THRUST_200600_302600_NS4plusIiEEEE10hipError_tPvRmT2_T3_mT4_P12ihipStream_tbEUlmE_iEESB_NS0_8identityIvEEEESG_SJ_SK_mSL_SN_bEUlT_E_NS1_11comp_targetILNS1_3genE3ELNS1_11target_archE908ELNS1_3gpuE7ELNS1_3repE0EEENS1_30default_config_static_selectorELNS0_4arch9wavefront6targetE1EEEvT1_
; %bb.0:
	.section	.rodata,"a",@progbits
	.p2align	6, 0x0
	.amdhsa_kernel _ZN7rocprim17ROCPRIM_400000_NS6detail17trampoline_kernelINS0_14default_configENS1_25transform_config_selectorIiLb0EEEZNS1_14transform_implILb0ES3_S5_NS0_18transform_iteratorINS0_17counting_iteratorImlEEZNS1_24adjacent_difference_implIS3_Lb1ELb0EPiSB_N6thrust23THRUST_200600_302600_NS4plusIiEEEE10hipError_tPvRmT2_T3_mT4_P12ihipStream_tbEUlmE_iEESB_NS0_8identityIvEEEESG_SJ_SK_mSL_SN_bEUlT_E_NS1_11comp_targetILNS1_3genE3ELNS1_11target_archE908ELNS1_3gpuE7ELNS1_3repE0EEENS1_30default_config_static_selectorELNS0_4arch9wavefront6targetE1EEEvT1_
		.amdhsa_group_segment_fixed_size 0
		.amdhsa_private_segment_fixed_size 0
		.amdhsa_kernarg_size 56
		.amdhsa_user_sgpr_count 2
		.amdhsa_user_sgpr_dispatch_ptr 0
		.amdhsa_user_sgpr_queue_ptr 0
		.amdhsa_user_sgpr_kernarg_segment_ptr 1
		.amdhsa_user_sgpr_dispatch_id 0
		.amdhsa_user_sgpr_kernarg_preload_length 0
		.amdhsa_user_sgpr_kernarg_preload_offset 0
		.amdhsa_user_sgpr_private_segment_size 0
		.amdhsa_uses_dynamic_stack 0
		.amdhsa_enable_private_segment 0
		.amdhsa_system_sgpr_workgroup_id_x 1
		.amdhsa_system_sgpr_workgroup_id_y 0
		.amdhsa_system_sgpr_workgroup_id_z 0
		.amdhsa_system_sgpr_workgroup_info 0
		.amdhsa_system_vgpr_workitem_id 0
		.amdhsa_next_free_vgpr 1
		.amdhsa_next_free_sgpr 0
		.amdhsa_accum_offset 4
		.amdhsa_reserve_vcc 0
		.amdhsa_float_round_mode_32 0
		.amdhsa_float_round_mode_16_64 0
		.amdhsa_float_denorm_mode_32 3
		.amdhsa_float_denorm_mode_16_64 3
		.amdhsa_dx10_clamp 1
		.amdhsa_ieee_mode 1
		.amdhsa_fp16_overflow 0
		.amdhsa_tg_split 0
		.amdhsa_exception_fp_ieee_invalid_op 0
		.amdhsa_exception_fp_denorm_src 0
		.amdhsa_exception_fp_ieee_div_zero 0
		.amdhsa_exception_fp_ieee_overflow 0
		.amdhsa_exception_fp_ieee_underflow 0
		.amdhsa_exception_fp_ieee_inexact 0
		.amdhsa_exception_int_div_zero 0
	.end_amdhsa_kernel
	.section	.text._ZN7rocprim17ROCPRIM_400000_NS6detail17trampoline_kernelINS0_14default_configENS1_25transform_config_selectorIiLb0EEEZNS1_14transform_implILb0ES3_S5_NS0_18transform_iteratorINS0_17counting_iteratorImlEEZNS1_24adjacent_difference_implIS3_Lb1ELb0EPiSB_N6thrust23THRUST_200600_302600_NS4plusIiEEEE10hipError_tPvRmT2_T3_mT4_P12ihipStream_tbEUlmE_iEESB_NS0_8identityIvEEEESG_SJ_SK_mSL_SN_bEUlT_E_NS1_11comp_targetILNS1_3genE3ELNS1_11target_archE908ELNS1_3gpuE7ELNS1_3repE0EEENS1_30default_config_static_selectorELNS0_4arch9wavefront6targetE1EEEvT1_,"axG",@progbits,_ZN7rocprim17ROCPRIM_400000_NS6detail17trampoline_kernelINS0_14default_configENS1_25transform_config_selectorIiLb0EEEZNS1_14transform_implILb0ES3_S5_NS0_18transform_iteratorINS0_17counting_iteratorImlEEZNS1_24adjacent_difference_implIS3_Lb1ELb0EPiSB_N6thrust23THRUST_200600_302600_NS4plusIiEEEE10hipError_tPvRmT2_T3_mT4_P12ihipStream_tbEUlmE_iEESB_NS0_8identityIvEEEESG_SJ_SK_mSL_SN_bEUlT_E_NS1_11comp_targetILNS1_3genE3ELNS1_11target_archE908ELNS1_3gpuE7ELNS1_3repE0EEENS1_30default_config_static_selectorELNS0_4arch9wavefront6targetE1EEEvT1_,comdat
.Lfunc_end138:
	.size	_ZN7rocprim17ROCPRIM_400000_NS6detail17trampoline_kernelINS0_14default_configENS1_25transform_config_selectorIiLb0EEEZNS1_14transform_implILb0ES3_S5_NS0_18transform_iteratorINS0_17counting_iteratorImlEEZNS1_24adjacent_difference_implIS3_Lb1ELb0EPiSB_N6thrust23THRUST_200600_302600_NS4plusIiEEEE10hipError_tPvRmT2_T3_mT4_P12ihipStream_tbEUlmE_iEESB_NS0_8identityIvEEEESG_SJ_SK_mSL_SN_bEUlT_E_NS1_11comp_targetILNS1_3genE3ELNS1_11target_archE908ELNS1_3gpuE7ELNS1_3repE0EEENS1_30default_config_static_selectorELNS0_4arch9wavefront6targetE1EEEvT1_, .Lfunc_end138-_ZN7rocprim17ROCPRIM_400000_NS6detail17trampoline_kernelINS0_14default_configENS1_25transform_config_selectorIiLb0EEEZNS1_14transform_implILb0ES3_S5_NS0_18transform_iteratorINS0_17counting_iteratorImlEEZNS1_24adjacent_difference_implIS3_Lb1ELb0EPiSB_N6thrust23THRUST_200600_302600_NS4plusIiEEEE10hipError_tPvRmT2_T3_mT4_P12ihipStream_tbEUlmE_iEESB_NS0_8identityIvEEEESG_SJ_SK_mSL_SN_bEUlT_E_NS1_11comp_targetILNS1_3genE3ELNS1_11target_archE908ELNS1_3gpuE7ELNS1_3repE0EEENS1_30default_config_static_selectorELNS0_4arch9wavefront6targetE1EEEvT1_
                                        ; -- End function
	.section	.AMDGPU.csdata,"",@progbits
; Kernel info:
; codeLenInByte = 0
; NumSgprs: 6
; NumVgprs: 0
; NumAgprs: 0
; TotalNumVgprs: 0
; ScratchSize: 0
; MemoryBound: 0
; FloatMode: 240
; IeeeMode: 1
; LDSByteSize: 0 bytes/workgroup (compile time only)
; SGPRBlocks: 0
; VGPRBlocks: 0
; NumSGPRsForWavesPerEU: 6
; NumVGPRsForWavesPerEU: 1
; AccumOffset: 4
; Occupancy: 8
; WaveLimiterHint : 0
; COMPUTE_PGM_RSRC2:SCRATCH_EN: 0
; COMPUTE_PGM_RSRC2:USER_SGPR: 2
; COMPUTE_PGM_RSRC2:TRAP_HANDLER: 0
; COMPUTE_PGM_RSRC2:TGID_X_EN: 1
; COMPUTE_PGM_RSRC2:TGID_Y_EN: 0
; COMPUTE_PGM_RSRC2:TGID_Z_EN: 0
; COMPUTE_PGM_RSRC2:TIDIG_COMP_CNT: 0
; COMPUTE_PGM_RSRC3_GFX90A:ACCUM_OFFSET: 0
; COMPUTE_PGM_RSRC3_GFX90A:TG_SPLIT: 0
	.section	.text._ZN7rocprim17ROCPRIM_400000_NS6detail17trampoline_kernelINS0_14default_configENS1_25transform_config_selectorIiLb0EEEZNS1_14transform_implILb0ES3_S5_NS0_18transform_iteratorINS0_17counting_iteratorImlEEZNS1_24adjacent_difference_implIS3_Lb1ELb0EPiSB_N6thrust23THRUST_200600_302600_NS4plusIiEEEE10hipError_tPvRmT2_T3_mT4_P12ihipStream_tbEUlmE_iEESB_NS0_8identityIvEEEESG_SJ_SK_mSL_SN_bEUlT_E_NS1_11comp_targetILNS1_3genE2ELNS1_11target_archE906ELNS1_3gpuE6ELNS1_3repE0EEENS1_30default_config_static_selectorELNS0_4arch9wavefront6targetE1EEEvT1_,"axG",@progbits,_ZN7rocprim17ROCPRIM_400000_NS6detail17trampoline_kernelINS0_14default_configENS1_25transform_config_selectorIiLb0EEEZNS1_14transform_implILb0ES3_S5_NS0_18transform_iteratorINS0_17counting_iteratorImlEEZNS1_24adjacent_difference_implIS3_Lb1ELb0EPiSB_N6thrust23THRUST_200600_302600_NS4plusIiEEEE10hipError_tPvRmT2_T3_mT4_P12ihipStream_tbEUlmE_iEESB_NS0_8identityIvEEEESG_SJ_SK_mSL_SN_bEUlT_E_NS1_11comp_targetILNS1_3genE2ELNS1_11target_archE906ELNS1_3gpuE6ELNS1_3repE0EEENS1_30default_config_static_selectorELNS0_4arch9wavefront6targetE1EEEvT1_,comdat
	.protected	_ZN7rocprim17ROCPRIM_400000_NS6detail17trampoline_kernelINS0_14default_configENS1_25transform_config_selectorIiLb0EEEZNS1_14transform_implILb0ES3_S5_NS0_18transform_iteratorINS0_17counting_iteratorImlEEZNS1_24adjacent_difference_implIS3_Lb1ELb0EPiSB_N6thrust23THRUST_200600_302600_NS4plusIiEEEE10hipError_tPvRmT2_T3_mT4_P12ihipStream_tbEUlmE_iEESB_NS0_8identityIvEEEESG_SJ_SK_mSL_SN_bEUlT_E_NS1_11comp_targetILNS1_3genE2ELNS1_11target_archE906ELNS1_3gpuE6ELNS1_3repE0EEENS1_30default_config_static_selectorELNS0_4arch9wavefront6targetE1EEEvT1_ ; -- Begin function _ZN7rocprim17ROCPRIM_400000_NS6detail17trampoline_kernelINS0_14default_configENS1_25transform_config_selectorIiLb0EEEZNS1_14transform_implILb0ES3_S5_NS0_18transform_iteratorINS0_17counting_iteratorImlEEZNS1_24adjacent_difference_implIS3_Lb1ELb0EPiSB_N6thrust23THRUST_200600_302600_NS4plusIiEEEE10hipError_tPvRmT2_T3_mT4_P12ihipStream_tbEUlmE_iEESB_NS0_8identityIvEEEESG_SJ_SK_mSL_SN_bEUlT_E_NS1_11comp_targetILNS1_3genE2ELNS1_11target_archE906ELNS1_3gpuE6ELNS1_3repE0EEENS1_30default_config_static_selectorELNS0_4arch9wavefront6targetE1EEEvT1_
	.globl	_ZN7rocprim17ROCPRIM_400000_NS6detail17trampoline_kernelINS0_14default_configENS1_25transform_config_selectorIiLb0EEEZNS1_14transform_implILb0ES3_S5_NS0_18transform_iteratorINS0_17counting_iteratorImlEEZNS1_24adjacent_difference_implIS3_Lb1ELb0EPiSB_N6thrust23THRUST_200600_302600_NS4plusIiEEEE10hipError_tPvRmT2_T3_mT4_P12ihipStream_tbEUlmE_iEESB_NS0_8identityIvEEEESG_SJ_SK_mSL_SN_bEUlT_E_NS1_11comp_targetILNS1_3genE2ELNS1_11target_archE906ELNS1_3gpuE6ELNS1_3repE0EEENS1_30default_config_static_selectorELNS0_4arch9wavefront6targetE1EEEvT1_
	.p2align	8
	.type	_ZN7rocprim17ROCPRIM_400000_NS6detail17trampoline_kernelINS0_14default_configENS1_25transform_config_selectorIiLb0EEEZNS1_14transform_implILb0ES3_S5_NS0_18transform_iteratorINS0_17counting_iteratorImlEEZNS1_24adjacent_difference_implIS3_Lb1ELb0EPiSB_N6thrust23THRUST_200600_302600_NS4plusIiEEEE10hipError_tPvRmT2_T3_mT4_P12ihipStream_tbEUlmE_iEESB_NS0_8identityIvEEEESG_SJ_SK_mSL_SN_bEUlT_E_NS1_11comp_targetILNS1_3genE2ELNS1_11target_archE906ELNS1_3gpuE6ELNS1_3repE0EEENS1_30default_config_static_selectorELNS0_4arch9wavefront6targetE1EEEvT1_,@function
_ZN7rocprim17ROCPRIM_400000_NS6detail17trampoline_kernelINS0_14default_configENS1_25transform_config_selectorIiLb0EEEZNS1_14transform_implILb0ES3_S5_NS0_18transform_iteratorINS0_17counting_iteratorImlEEZNS1_24adjacent_difference_implIS3_Lb1ELb0EPiSB_N6thrust23THRUST_200600_302600_NS4plusIiEEEE10hipError_tPvRmT2_T3_mT4_P12ihipStream_tbEUlmE_iEESB_NS0_8identityIvEEEESG_SJ_SK_mSL_SN_bEUlT_E_NS1_11comp_targetILNS1_3genE2ELNS1_11target_archE906ELNS1_3gpuE6ELNS1_3repE0EEENS1_30default_config_static_selectorELNS0_4arch9wavefront6targetE1EEEvT1_: ; @_ZN7rocprim17ROCPRIM_400000_NS6detail17trampoline_kernelINS0_14default_configENS1_25transform_config_selectorIiLb0EEEZNS1_14transform_implILb0ES3_S5_NS0_18transform_iteratorINS0_17counting_iteratorImlEEZNS1_24adjacent_difference_implIS3_Lb1ELb0EPiSB_N6thrust23THRUST_200600_302600_NS4plusIiEEEE10hipError_tPvRmT2_T3_mT4_P12ihipStream_tbEUlmE_iEESB_NS0_8identityIvEEEESG_SJ_SK_mSL_SN_bEUlT_E_NS1_11comp_targetILNS1_3genE2ELNS1_11target_archE906ELNS1_3gpuE6ELNS1_3repE0EEENS1_30default_config_static_selectorELNS0_4arch9wavefront6targetE1EEEvT1_
; %bb.0:
	.section	.rodata,"a",@progbits
	.p2align	6, 0x0
	.amdhsa_kernel _ZN7rocprim17ROCPRIM_400000_NS6detail17trampoline_kernelINS0_14default_configENS1_25transform_config_selectorIiLb0EEEZNS1_14transform_implILb0ES3_S5_NS0_18transform_iteratorINS0_17counting_iteratorImlEEZNS1_24adjacent_difference_implIS3_Lb1ELb0EPiSB_N6thrust23THRUST_200600_302600_NS4plusIiEEEE10hipError_tPvRmT2_T3_mT4_P12ihipStream_tbEUlmE_iEESB_NS0_8identityIvEEEESG_SJ_SK_mSL_SN_bEUlT_E_NS1_11comp_targetILNS1_3genE2ELNS1_11target_archE906ELNS1_3gpuE6ELNS1_3repE0EEENS1_30default_config_static_selectorELNS0_4arch9wavefront6targetE1EEEvT1_
		.amdhsa_group_segment_fixed_size 0
		.amdhsa_private_segment_fixed_size 0
		.amdhsa_kernarg_size 56
		.amdhsa_user_sgpr_count 2
		.amdhsa_user_sgpr_dispatch_ptr 0
		.amdhsa_user_sgpr_queue_ptr 0
		.amdhsa_user_sgpr_kernarg_segment_ptr 1
		.amdhsa_user_sgpr_dispatch_id 0
		.amdhsa_user_sgpr_kernarg_preload_length 0
		.amdhsa_user_sgpr_kernarg_preload_offset 0
		.amdhsa_user_sgpr_private_segment_size 0
		.amdhsa_uses_dynamic_stack 0
		.amdhsa_enable_private_segment 0
		.amdhsa_system_sgpr_workgroup_id_x 1
		.amdhsa_system_sgpr_workgroup_id_y 0
		.amdhsa_system_sgpr_workgroup_id_z 0
		.amdhsa_system_sgpr_workgroup_info 0
		.amdhsa_system_vgpr_workitem_id 0
		.amdhsa_next_free_vgpr 1
		.amdhsa_next_free_sgpr 0
		.amdhsa_accum_offset 4
		.amdhsa_reserve_vcc 0
		.amdhsa_float_round_mode_32 0
		.amdhsa_float_round_mode_16_64 0
		.amdhsa_float_denorm_mode_32 3
		.amdhsa_float_denorm_mode_16_64 3
		.amdhsa_dx10_clamp 1
		.amdhsa_ieee_mode 1
		.amdhsa_fp16_overflow 0
		.amdhsa_tg_split 0
		.amdhsa_exception_fp_ieee_invalid_op 0
		.amdhsa_exception_fp_denorm_src 0
		.amdhsa_exception_fp_ieee_div_zero 0
		.amdhsa_exception_fp_ieee_overflow 0
		.amdhsa_exception_fp_ieee_underflow 0
		.amdhsa_exception_fp_ieee_inexact 0
		.amdhsa_exception_int_div_zero 0
	.end_amdhsa_kernel
	.section	.text._ZN7rocprim17ROCPRIM_400000_NS6detail17trampoline_kernelINS0_14default_configENS1_25transform_config_selectorIiLb0EEEZNS1_14transform_implILb0ES3_S5_NS0_18transform_iteratorINS0_17counting_iteratorImlEEZNS1_24adjacent_difference_implIS3_Lb1ELb0EPiSB_N6thrust23THRUST_200600_302600_NS4plusIiEEEE10hipError_tPvRmT2_T3_mT4_P12ihipStream_tbEUlmE_iEESB_NS0_8identityIvEEEESG_SJ_SK_mSL_SN_bEUlT_E_NS1_11comp_targetILNS1_3genE2ELNS1_11target_archE906ELNS1_3gpuE6ELNS1_3repE0EEENS1_30default_config_static_selectorELNS0_4arch9wavefront6targetE1EEEvT1_,"axG",@progbits,_ZN7rocprim17ROCPRIM_400000_NS6detail17trampoline_kernelINS0_14default_configENS1_25transform_config_selectorIiLb0EEEZNS1_14transform_implILb0ES3_S5_NS0_18transform_iteratorINS0_17counting_iteratorImlEEZNS1_24adjacent_difference_implIS3_Lb1ELb0EPiSB_N6thrust23THRUST_200600_302600_NS4plusIiEEEE10hipError_tPvRmT2_T3_mT4_P12ihipStream_tbEUlmE_iEESB_NS0_8identityIvEEEESG_SJ_SK_mSL_SN_bEUlT_E_NS1_11comp_targetILNS1_3genE2ELNS1_11target_archE906ELNS1_3gpuE6ELNS1_3repE0EEENS1_30default_config_static_selectorELNS0_4arch9wavefront6targetE1EEEvT1_,comdat
.Lfunc_end139:
	.size	_ZN7rocprim17ROCPRIM_400000_NS6detail17trampoline_kernelINS0_14default_configENS1_25transform_config_selectorIiLb0EEEZNS1_14transform_implILb0ES3_S5_NS0_18transform_iteratorINS0_17counting_iteratorImlEEZNS1_24adjacent_difference_implIS3_Lb1ELb0EPiSB_N6thrust23THRUST_200600_302600_NS4plusIiEEEE10hipError_tPvRmT2_T3_mT4_P12ihipStream_tbEUlmE_iEESB_NS0_8identityIvEEEESG_SJ_SK_mSL_SN_bEUlT_E_NS1_11comp_targetILNS1_3genE2ELNS1_11target_archE906ELNS1_3gpuE6ELNS1_3repE0EEENS1_30default_config_static_selectorELNS0_4arch9wavefront6targetE1EEEvT1_, .Lfunc_end139-_ZN7rocprim17ROCPRIM_400000_NS6detail17trampoline_kernelINS0_14default_configENS1_25transform_config_selectorIiLb0EEEZNS1_14transform_implILb0ES3_S5_NS0_18transform_iteratorINS0_17counting_iteratorImlEEZNS1_24adjacent_difference_implIS3_Lb1ELb0EPiSB_N6thrust23THRUST_200600_302600_NS4plusIiEEEE10hipError_tPvRmT2_T3_mT4_P12ihipStream_tbEUlmE_iEESB_NS0_8identityIvEEEESG_SJ_SK_mSL_SN_bEUlT_E_NS1_11comp_targetILNS1_3genE2ELNS1_11target_archE906ELNS1_3gpuE6ELNS1_3repE0EEENS1_30default_config_static_selectorELNS0_4arch9wavefront6targetE1EEEvT1_
                                        ; -- End function
	.section	.AMDGPU.csdata,"",@progbits
; Kernel info:
; codeLenInByte = 0
; NumSgprs: 6
; NumVgprs: 0
; NumAgprs: 0
; TotalNumVgprs: 0
; ScratchSize: 0
; MemoryBound: 0
; FloatMode: 240
; IeeeMode: 1
; LDSByteSize: 0 bytes/workgroup (compile time only)
; SGPRBlocks: 0
; VGPRBlocks: 0
; NumSGPRsForWavesPerEU: 6
; NumVGPRsForWavesPerEU: 1
; AccumOffset: 4
; Occupancy: 8
; WaveLimiterHint : 0
; COMPUTE_PGM_RSRC2:SCRATCH_EN: 0
; COMPUTE_PGM_RSRC2:USER_SGPR: 2
; COMPUTE_PGM_RSRC2:TRAP_HANDLER: 0
; COMPUTE_PGM_RSRC2:TGID_X_EN: 1
; COMPUTE_PGM_RSRC2:TGID_Y_EN: 0
; COMPUTE_PGM_RSRC2:TGID_Z_EN: 0
; COMPUTE_PGM_RSRC2:TIDIG_COMP_CNT: 0
; COMPUTE_PGM_RSRC3_GFX90A:ACCUM_OFFSET: 0
; COMPUTE_PGM_RSRC3_GFX90A:TG_SPLIT: 0
	.section	.text._ZN7rocprim17ROCPRIM_400000_NS6detail17trampoline_kernelINS0_14default_configENS1_25transform_config_selectorIiLb0EEEZNS1_14transform_implILb0ES3_S5_NS0_18transform_iteratorINS0_17counting_iteratorImlEEZNS1_24adjacent_difference_implIS3_Lb1ELb0EPiSB_N6thrust23THRUST_200600_302600_NS4plusIiEEEE10hipError_tPvRmT2_T3_mT4_P12ihipStream_tbEUlmE_iEESB_NS0_8identityIvEEEESG_SJ_SK_mSL_SN_bEUlT_E_NS1_11comp_targetILNS1_3genE10ELNS1_11target_archE1201ELNS1_3gpuE5ELNS1_3repE0EEENS1_30default_config_static_selectorELNS0_4arch9wavefront6targetE1EEEvT1_,"axG",@progbits,_ZN7rocprim17ROCPRIM_400000_NS6detail17trampoline_kernelINS0_14default_configENS1_25transform_config_selectorIiLb0EEEZNS1_14transform_implILb0ES3_S5_NS0_18transform_iteratorINS0_17counting_iteratorImlEEZNS1_24adjacent_difference_implIS3_Lb1ELb0EPiSB_N6thrust23THRUST_200600_302600_NS4plusIiEEEE10hipError_tPvRmT2_T3_mT4_P12ihipStream_tbEUlmE_iEESB_NS0_8identityIvEEEESG_SJ_SK_mSL_SN_bEUlT_E_NS1_11comp_targetILNS1_3genE10ELNS1_11target_archE1201ELNS1_3gpuE5ELNS1_3repE0EEENS1_30default_config_static_selectorELNS0_4arch9wavefront6targetE1EEEvT1_,comdat
	.protected	_ZN7rocprim17ROCPRIM_400000_NS6detail17trampoline_kernelINS0_14default_configENS1_25transform_config_selectorIiLb0EEEZNS1_14transform_implILb0ES3_S5_NS0_18transform_iteratorINS0_17counting_iteratorImlEEZNS1_24adjacent_difference_implIS3_Lb1ELb0EPiSB_N6thrust23THRUST_200600_302600_NS4plusIiEEEE10hipError_tPvRmT2_T3_mT4_P12ihipStream_tbEUlmE_iEESB_NS0_8identityIvEEEESG_SJ_SK_mSL_SN_bEUlT_E_NS1_11comp_targetILNS1_3genE10ELNS1_11target_archE1201ELNS1_3gpuE5ELNS1_3repE0EEENS1_30default_config_static_selectorELNS0_4arch9wavefront6targetE1EEEvT1_ ; -- Begin function _ZN7rocprim17ROCPRIM_400000_NS6detail17trampoline_kernelINS0_14default_configENS1_25transform_config_selectorIiLb0EEEZNS1_14transform_implILb0ES3_S5_NS0_18transform_iteratorINS0_17counting_iteratorImlEEZNS1_24adjacent_difference_implIS3_Lb1ELb0EPiSB_N6thrust23THRUST_200600_302600_NS4plusIiEEEE10hipError_tPvRmT2_T3_mT4_P12ihipStream_tbEUlmE_iEESB_NS0_8identityIvEEEESG_SJ_SK_mSL_SN_bEUlT_E_NS1_11comp_targetILNS1_3genE10ELNS1_11target_archE1201ELNS1_3gpuE5ELNS1_3repE0EEENS1_30default_config_static_selectorELNS0_4arch9wavefront6targetE1EEEvT1_
	.globl	_ZN7rocprim17ROCPRIM_400000_NS6detail17trampoline_kernelINS0_14default_configENS1_25transform_config_selectorIiLb0EEEZNS1_14transform_implILb0ES3_S5_NS0_18transform_iteratorINS0_17counting_iteratorImlEEZNS1_24adjacent_difference_implIS3_Lb1ELb0EPiSB_N6thrust23THRUST_200600_302600_NS4plusIiEEEE10hipError_tPvRmT2_T3_mT4_P12ihipStream_tbEUlmE_iEESB_NS0_8identityIvEEEESG_SJ_SK_mSL_SN_bEUlT_E_NS1_11comp_targetILNS1_3genE10ELNS1_11target_archE1201ELNS1_3gpuE5ELNS1_3repE0EEENS1_30default_config_static_selectorELNS0_4arch9wavefront6targetE1EEEvT1_
	.p2align	8
	.type	_ZN7rocprim17ROCPRIM_400000_NS6detail17trampoline_kernelINS0_14default_configENS1_25transform_config_selectorIiLb0EEEZNS1_14transform_implILb0ES3_S5_NS0_18transform_iteratorINS0_17counting_iteratorImlEEZNS1_24adjacent_difference_implIS3_Lb1ELb0EPiSB_N6thrust23THRUST_200600_302600_NS4plusIiEEEE10hipError_tPvRmT2_T3_mT4_P12ihipStream_tbEUlmE_iEESB_NS0_8identityIvEEEESG_SJ_SK_mSL_SN_bEUlT_E_NS1_11comp_targetILNS1_3genE10ELNS1_11target_archE1201ELNS1_3gpuE5ELNS1_3repE0EEENS1_30default_config_static_selectorELNS0_4arch9wavefront6targetE1EEEvT1_,@function
_ZN7rocprim17ROCPRIM_400000_NS6detail17trampoline_kernelINS0_14default_configENS1_25transform_config_selectorIiLb0EEEZNS1_14transform_implILb0ES3_S5_NS0_18transform_iteratorINS0_17counting_iteratorImlEEZNS1_24adjacent_difference_implIS3_Lb1ELb0EPiSB_N6thrust23THRUST_200600_302600_NS4plusIiEEEE10hipError_tPvRmT2_T3_mT4_P12ihipStream_tbEUlmE_iEESB_NS0_8identityIvEEEESG_SJ_SK_mSL_SN_bEUlT_E_NS1_11comp_targetILNS1_3genE10ELNS1_11target_archE1201ELNS1_3gpuE5ELNS1_3repE0EEENS1_30default_config_static_selectorELNS0_4arch9wavefront6targetE1EEEvT1_: ; @_ZN7rocprim17ROCPRIM_400000_NS6detail17trampoline_kernelINS0_14default_configENS1_25transform_config_selectorIiLb0EEEZNS1_14transform_implILb0ES3_S5_NS0_18transform_iteratorINS0_17counting_iteratorImlEEZNS1_24adjacent_difference_implIS3_Lb1ELb0EPiSB_N6thrust23THRUST_200600_302600_NS4plusIiEEEE10hipError_tPvRmT2_T3_mT4_P12ihipStream_tbEUlmE_iEESB_NS0_8identityIvEEEESG_SJ_SK_mSL_SN_bEUlT_E_NS1_11comp_targetILNS1_3genE10ELNS1_11target_archE1201ELNS1_3gpuE5ELNS1_3repE0EEENS1_30default_config_static_selectorELNS0_4arch9wavefront6targetE1EEEvT1_
; %bb.0:
	.section	.rodata,"a",@progbits
	.p2align	6, 0x0
	.amdhsa_kernel _ZN7rocprim17ROCPRIM_400000_NS6detail17trampoline_kernelINS0_14default_configENS1_25transform_config_selectorIiLb0EEEZNS1_14transform_implILb0ES3_S5_NS0_18transform_iteratorINS0_17counting_iteratorImlEEZNS1_24adjacent_difference_implIS3_Lb1ELb0EPiSB_N6thrust23THRUST_200600_302600_NS4plusIiEEEE10hipError_tPvRmT2_T3_mT4_P12ihipStream_tbEUlmE_iEESB_NS0_8identityIvEEEESG_SJ_SK_mSL_SN_bEUlT_E_NS1_11comp_targetILNS1_3genE10ELNS1_11target_archE1201ELNS1_3gpuE5ELNS1_3repE0EEENS1_30default_config_static_selectorELNS0_4arch9wavefront6targetE1EEEvT1_
		.amdhsa_group_segment_fixed_size 0
		.amdhsa_private_segment_fixed_size 0
		.amdhsa_kernarg_size 56
		.amdhsa_user_sgpr_count 2
		.amdhsa_user_sgpr_dispatch_ptr 0
		.amdhsa_user_sgpr_queue_ptr 0
		.amdhsa_user_sgpr_kernarg_segment_ptr 1
		.amdhsa_user_sgpr_dispatch_id 0
		.amdhsa_user_sgpr_kernarg_preload_length 0
		.amdhsa_user_sgpr_kernarg_preload_offset 0
		.amdhsa_user_sgpr_private_segment_size 0
		.amdhsa_uses_dynamic_stack 0
		.amdhsa_enable_private_segment 0
		.amdhsa_system_sgpr_workgroup_id_x 1
		.amdhsa_system_sgpr_workgroup_id_y 0
		.amdhsa_system_sgpr_workgroup_id_z 0
		.amdhsa_system_sgpr_workgroup_info 0
		.amdhsa_system_vgpr_workitem_id 0
		.amdhsa_next_free_vgpr 1
		.amdhsa_next_free_sgpr 0
		.amdhsa_accum_offset 4
		.amdhsa_reserve_vcc 0
		.amdhsa_float_round_mode_32 0
		.amdhsa_float_round_mode_16_64 0
		.amdhsa_float_denorm_mode_32 3
		.amdhsa_float_denorm_mode_16_64 3
		.amdhsa_dx10_clamp 1
		.amdhsa_ieee_mode 1
		.amdhsa_fp16_overflow 0
		.amdhsa_tg_split 0
		.amdhsa_exception_fp_ieee_invalid_op 0
		.amdhsa_exception_fp_denorm_src 0
		.amdhsa_exception_fp_ieee_div_zero 0
		.amdhsa_exception_fp_ieee_overflow 0
		.amdhsa_exception_fp_ieee_underflow 0
		.amdhsa_exception_fp_ieee_inexact 0
		.amdhsa_exception_int_div_zero 0
	.end_amdhsa_kernel
	.section	.text._ZN7rocprim17ROCPRIM_400000_NS6detail17trampoline_kernelINS0_14default_configENS1_25transform_config_selectorIiLb0EEEZNS1_14transform_implILb0ES3_S5_NS0_18transform_iteratorINS0_17counting_iteratorImlEEZNS1_24adjacent_difference_implIS3_Lb1ELb0EPiSB_N6thrust23THRUST_200600_302600_NS4plusIiEEEE10hipError_tPvRmT2_T3_mT4_P12ihipStream_tbEUlmE_iEESB_NS0_8identityIvEEEESG_SJ_SK_mSL_SN_bEUlT_E_NS1_11comp_targetILNS1_3genE10ELNS1_11target_archE1201ELNS1_3gpuE5ELNS1_3repE0EEENS1_30default_config_static_selectorELNS0_4arch9wavefront6targetE1EEEvT1_,"axG",@progbits,_ZN7rocprim17ROCPRIM_400000_NS6detail17trampoline_kernelINS0_14default_configENS1_25transform_config_selectorIiLb0EEEZNS1_14transform_implILb0ES3_S5_NS0_18transform_iteratorINS0_17counting_iteratorImlEEZNS1_24adjacent_difference_implIS3_Lb1ELb0EPiSB_N6thrust23THRUST_200600_302600_NS4plusIiEEEE10hipError_tPvRmT2_T3_mT4_P12ihipStream_tbEUlmE_iEESB_NS0_8identityIvEEEESG_SJ_SK_mSL_SN_bEUlT_E_NS1_11comp_targetILNS1_3genE10ELNS1_11target_archE1201ELNS1_3gpuE5ELNS1_3repE0EEENS1_30default_config_static_selectorELNS0_4arch9wavefront6targetE1EEEvT1_,comdat
.Lfunc_end140:
	.size	_ZN7rocprim17ROCPRIM_400000_NS6detail17trampoline_kernelINS0_14default_configENS1_25transform_config_selectorIiLb0EEEZNS1_14transform_implILb0ES3_S5_NS0_18transform_iteratorINS0_17counting_iteratorImlEEZNS1_24adjacent_difference_implIS3_Lb1ELb0EPiSB_N6thrust23THRUST_200600_302600_NS4plusIiEEEE10hipError_tPvRmT2_T3_mT4_P12ihipStream_tbEUlmE_iEESB_NS0_8identityIvEEEESG_SJ_SK_mSL_SN_bEUlT_E_NS1_11comp_targetILNS1_3genE10ELNS1_11target_archE1201ELNS1_3gpuE5ELNS1_3repE0EEENS1_30default_config_static_selectorELNS0_4arch9wavefront6targetE1EEEvT1_, .Lfunc_end140-_ZN7rocprim17ROCPRIM_400000_NS6detail17trampoline_kernelINS0_14default_configENS1_25transform_config_selectorIiLb0EEEZNS1_14transform_implILb0ES3_S5_NS0_18transform_iteratorINS0_17counting_iteratorImlEEZNS1_24adjacent_difference_implIS3_Lb1ELb0EPiSB_N6thrust23THRUST_200600_302600_NS4plusIiEEEE10hipError_tPvRmT2_T3_mT4_P12ihipStream_tbEUlmE_iEESB_NS0_8identityIvEEEESG_SJ_SK_mSL_SN_bEUlT_E_NS1_11comp_targetILNS1_3genE10ELNS1_11target_archE1201ELNS1_3gpuE5ELNS1_3repE0EEENS1_30default_config_static_selectorELNS0_4arch9wavefront6targetE1EEEvT1_
                                        ; -- End function
	.section	.AMDGPU.csdata,"",@progbits
; Kernel info:
; codeLenInByte = 0
; NumSgprs: 6
; NumVgprs: 0
; NumAgprs: 0
; TotalNumVgprs: 0
; ScratchSize: 0
; MemoryBound: 0
; FloatMode: 240
; IeeeMode: 1
; LDSByteSize: 0 bytes/workgroup (compile time only)
; SGPRBlocks: 0
; VGPRBlocks: 0
; NumSGPRsForWavesPerEU: 6
; NumVGPRsForWavesPerEU: 1
; AccumOffset: 4
; Occupancy: 8
; WaveLimiterHint : 0
; COMPUTE_PGM_RSRC2:SCRATCH_EN: 0
; COMPUTE_PGM_RSRC2:USER_SGPR: 2
; COMPUTE_PGM_RSRC2:TRAP_HANDLER: 0
; COMPUTE_PGM_RSRC2:TGID_X_EN: 1
; COMPUTE_PGM_RSRC2:TGID_Y_EN: 0
; COMPUTE_PGM_RSRC2:TGID_Z_EN: 0
; COMPUTE_PGM_RSRC2:TIDIG_COMP_CNT: 0
; COMPUTE_PGM_RSRC3_GFX90A:ACCUM_OFFSET: 0
; COMPUTE_PGM_RSRC3_GFX90A:TG_SPLIT: 0
	.section	.text._ZN7rocprim17ROCPRIM_400000_NS6detail17trampoline_kernelINS0_14default_configENS1_25transform_config_selectorIiLb0EEEZNS1_14transform_implILb0ES3_S5_NS0_18transform_iteratorINS0_17counting_iteratorImlEEZNS1_24adjacent_difference_implIS3_Lb1ELb0EPiSB_N6thrust23THRUST_200600_302600_NS4plusIiEEEE10hipError_tPvRmT2_T3_mT4_P12ihipStream_tbEUlmE_iEESB_NS0_8identityIvEEEESG_SJ_SK_mSL_SN_bEUlT_E_NS1_11comp_targetILNS1_3genE10ELNS1_11target_archE1200ELNS1_3gpuE4ELNS1_3repE0EEENS1_30default_config_static_selectorELNS0_4arch9wavefront6targetE1EEEvT1_,"axG",@progbits,_ZN7rocprim17ROCPRIM_400000_NS6detail17trampoline_kernelINS0_14default_configENS1_25transform_config_selectorIiLb0EEEZNS1_14transform_implILb0ES3_S5_NS0_18transform_iteratorINS0_17counting_iteratorImlEEZNS1_24adjacent_difference_implIS3_Lb1ELb0EPiSB_N6thrust23THRUST_200600_302600_NS4plusIiEEEE10hipError_tPvRmT2_T3_mT4_P12ihipStream_tbEUlmE_iEESB_NS0_8identityIvEEEESG_SJ_SK_mSL_SN_bEUlT_E_NS1_11comp_targetILNS1_3genE10ELNS1_11target_archE1200ELNS1_3gpuE4ELNS1_3repE0EEENS1_30default_config_static_selectorELNS0_4arch9wavefront6targetE1EEEvT1_,comdat
	.protected	_ZN7rocprim17ROCPRIM_400000_NS6detail17trampoline_kernelINS0_14default_configENS1_25transform_config_selectorIiLb0EEEZNS1_14transform_implILb0ES3_S5_NS0_18transform_iteratorINS0_17counting_iteratorImlEEZNS1_24adjacent_difference_implIS3_Lb1ELb0EPiSB_N6thrust23THRUST_200600_302600_NS4plusIiEEEE10hipError_tPvRmT2_T3_mT4_P12ihipStream_tbEUlmE_iEESB_NS0_8identityIvEEEESG_SJ_SK_mSL_SN_bEUlT_E_NS1_11comp_targetILNS1_3genE10ELNS1_11target_archE1200ELNS1_3gpuE4ELNS1_3repE0EEENS1_30default_config_static_selectorELNS0_4arch9wavefront6targetE1EEEvT1_ ; -- Begin function _ZN7rocprim17ROCPRIM_400000_NS6detail17trampoline_kernelINS0_14default_configENS1_25transform_config_selectorIiLb0EEEZNS1_14transform_implILb0ES3_S5_NS0_18transform_iteratorINS0_17counting_iteratorImlEEZNS1_24adjacent_difference_implIS3_Lb1ELb0EPiSB_N6thrust23THRUST_200600_302600_NS4plusIiEEEE10hipError_tPvRmT2_T3_mT4_P12ihipStream_tbEUlmE_iEESB_NS0_8identityIvEEEESG_SJ_SK_mSL_SN_bEUlT_E_NS1_11comp_targetILNS1_3genE10ELNS1_11target_archE1200ELNS1_3gpuE4ELNS1_3repE0EEENS1_30default_config_static_selectorELNS0_4arch9wavefront6targetE1EEEvT1_
	.globl	_ZN7rocprim17ROCPRIM_400000_NS6detail17trampoline_kernelINS0_14default_configENS1_25transform_config_selectorIiLb0EEEZNS1_14transform_implILb0ES3_S5_NS0_18transform_iteratorINS0_17counting_iteratorImlEEZNS1_24adjacent_difference_implIS3_Lb1ELb0EPiSB_N6thrust23THRUST_200600_302600_NS4plusIiEEEE10hipError_tPvRmT2_T3_mT4_P12ihipStream_tbEUlmE_iEESB_NS0_8identityIvEEEESG_SJ_SK_mSL_SN_bEUlT_E_NS1_11comp_targetILNS1_3genE10ELNS1_11target_archE1200ELNS1_3gpuE4ELNS1_3repE0EEENS1_30default_config_static_selectorELNS0_4arch9wavefront6targetE1EEEvT1_
	.p2align	8
	.type	_ZN7rocprim17ROCPRIM_400000_NS6detail17trampoline_kernelINS0_14default_configENS1_25transform_config_selectorIiLb0EEEZNS1_14transform_implILb0ES3_S5_NS0_18transform_iteratorINS0_17counting_iteratorImlEEZNS1_24adjacent_difference_implIS3_Lb1ELb0EPiSB_N6thrust23THRUST_200600_302600_NS4plusIiEEEE10hipError_tPvRmT2_T3_mT4_P12ihipStream_tbEUlmE_iEESB_NS0_8identityIvEEEESG_SJ_SK_mSL_SN_bEUlT_E_NS1_11comp_targetILNS1_3genE10ELNS1_11target_archE1200ELNS1_3gpuE4ELNS1_3repE0EEENS1_30default_config_static_selectorELNS0_4arch9wavefront6targetE1EEEvT1_,@function
_ZN7rocprim17ROCPRIM_400000_NS6detail17trampoline_kernelINS0_14default_configENS1_25transform_config_selectorIiLb0EEEZNS1_14transform_implILb0ES3_S5_NS0_18transform_iteratorINS0_17counting_iteratorImlEEZNS1_24adjacent_difference_implIS3_Lb1ELb0EPiSB_N6thrust23THRUST_200600_302600_NS4plusIiEEEE10hipError_tPvRmT2_T3_mT4_P12ihipStream_tbEUlmE_iEESB_NS0_8identityIvEEEESG_SJ_SK_mSL_SN_bEUlT_E_NS1_11comp_targetILNS1_3genE10ELNS1_11target_archE1200ELNS1_3gpuE4ELNS1_3repE0EEENS1_30default_config_static_selectorELNS0_4arch9wavefront6targetE1EEEvT1_: ; @_ZN7rocprim17ROCPRIM_400000_NS6detail17trampoline_kernelINS0_14default_configENS1_25transform_config_selectorIiLb0EEEZNS1_14transform_implILb0ES3_S5_NS0_18transform_iteratorINS0_17counting_iteratorImlEEZNS1_24adjacent_difference_implIS3_Lb1ELb0EPiSB_N6thrust23THRUST_200600_302600_NS4plusIiEEEE10hipError_tPvRmT2_T3_mT4_P12ihipStream_tbEUlmE_iEESB_NS0_8identityIvEEEESG_SJ_SK_mSL_SN_bEUlT_E_NS1_11comp_targetILNS1_3genE10ELNS1_11target_archE1200ELNS1_3gpuE4ELNS1_3repE0EEENS1_30default_config_static_selectorELNS0_4arch9wavefront6targetE1EEEvT1_
; %bb.0:
	.section	.rodata,"a",@progbits
	.p2align	6, 0x0
	.amdhsa_kernel _ZN7rocprim17ROCPRIM_400000_NS6detail17trampoline_kernelINS0_14default_configENS1_25transform_config_selectorIiLb0EEEZNS1_14transform_implILb0ES3_S5_NS0_18transform_iteratorINS0_17counting_iteratorImlEEZNS1_24adjacent_difference_implIS3_Lb1ELb0EPiSB_N6thrust23THRUST_200600_302600_NS4plusIiEEEE10hipError_tPvRmT2_T3_mT4_P12ihipStream_tbEUlmE_iEESB_NS0_8identityIvEEEESG_SJ_SK_mSL_SN_bEUlT_E_NS1_11comp_targetILNS1_3genE10ELNS1_11target_archE1200ELNS1_3gpuE4ELNS1_3repE0EEENS1_30default_config_static_selectorELNS0_4arch9wavefront6targetE1EEEvT1_
		.amdhsa_group_segment_fixed_size 0
		.amdhsa_private_segment_fixed_size 0
		.amdhsa_kernarg_size 56
		.amdhsa_user_sgpr_count 2
		.amdhsa_user_sgpr_dispatch_ptr 0
		.amdhsa_user_sgpr_queue_ptr 0
		.amdhsa_user_sgpr_kernarg_segment_ptr 1
		.amdhsa_user_sgpr_dispatch_id 0
		.amdhsa_user_sgpr_kernarg_preload_length 0
		.amdhsa_user_sgpr_kernarg_preload_offset 0
		.amdhsa_user_sgpr_private_segment_size 0
		.amdhsa_uses_dynamic_stack 0
		.amdhsa_enable_private_segment 0
		.amdhsa_system_sgpr_workgroup_id_x 1
		.amdhsa_system_sgpr_workgroup_id_y 0
		.amdhsa_system_sgpr_workgroup_id_z 0
		.amdhsa_system_sgpr_workgroup_info 0
		.amdhsa_system_vgpr_workitem_id 0
		.amdhsa_next_free_vgpr 1
		.amdhsa_next_free_sgpr 0
		.amdhsa_accum_offset 4
		.amdhsa_reserve_vcc 0
		.amdhsa_float_round_mode_32 0
		.amdhsa_float_round_mode_16_64 0
		.amdhsa_float_denorm_mode_32 3
		.amdhsa_float_denorm_mode_16_64 3
		.amdhsa_dx10_clamp 1
		.amdhsa_ieee_mode 1
		.amdhsa_fp16_overflow 0
		.amdhsa_tg_split 0
		.amdhsa_exception_fp_ieee_invalid_op 0
		.amdhsa_exception_fp_denorm_src 0
		.amdhsa_exception_fp_ieee_div_zero 0
		.amdhsa_exception_fp_ieee_overflow 0
		.amdhsa_exception_fp_ieee_underflow 0
		.amdhsa_exception_fp_ieee_inexact 0
		.amdhsa_exception_int_div_zero 0
	.end_amdhsa_kernel
	.section	.text._ZN7rocprim17ROCPRIM_400000_NS6detail17trampoline_kernelINS0_14default_configENS1_25transform_config_selectorIiLb0EEEZNS1_14transform_implILb0ES3_S5_NS0_18transform_iteratorINS0_17counting_iteratorImlEEZNS1_24adjacent_difference_implIS3_Lb1ELb0EPiSB_N6thrust23THRUST_200600_302600_NS4plusIiEEEE10hipError_tPvRmT2_T3_mT4_P12ihipStream_tbEUlmE_iEESB_NS0_8identityIvEEEESG_SJ_SK_mSL_SN_bEUlT_E_NS1_11comp_targetILNS1_3genE10ELNS1_11target_archE1200ELNS1_3gpuE4ELNS1_3repE0EEENS1_30default_config_static_selectorELNS0_4arch9wavefront6targetE1EEEvT1_,"axG",@progbits,_ZN7rocprim17ROCPRIM_400000_NS6detail17trampoline_kernelINS0_14default_configENS1_25transform_config_selectorIiLb0EEEZNS1_14transform_implILb0ES3_S5_NS0_18transform_iteratorINS0_17counting_iteratorImlEEZNS1_24adjacent_difference_implIS3_Lb1ELb0EPiSB_N6thrust23THRUST_200600_302600_NS4plusIiEEEE10hipError_tPvRmT2_T3_mT4_P12ihipStream_tbEUlmE_iEESB_NS0_8identityIvEEEESG_SJ_SK_mSL_SN_bEUlT_E_NS1_11comp_targetILNS1_3genE10ELNS1_11target_archE1200ELNS1_3gpuE4ELNS1_3repE0EEENS1_30default_config_static_selectorELNS0_4arch9wavefront6targetE1EEEvT1_,comdat
.Lfunc_end141:
	.size	_ZN7rocprim17ROCPRIM_400000_NS6detail17trampoline_kernelINS0_14default_configENS1_25transform_config_selectorIiLb0EEEZNS1_14transform_implILb0ES3_S5_NS0_18transform_iteratorINS0_17counting_iteratorImlEEZNS1_24adjacent_difference_implIS3_Lb1ELb0EPiSB_N6thrust23THRUST_200600_302600_NS4plusIiEEEE10hipError_tPvRmT2_T3_mT4_P12ihipStream_tbEUlmE_iEESB_NS0_8identityIvEEEESG_SJ_SK_mSL_SN_bEUlT_E_NS1_11comp_targetILNS1_3genE10ELNS1_11target_archE1200ELNS1_3gpuE4ELNS1_3repE0EEENS1_30default_config_static_selectorELNS0_4arch9wavefront6targetE1EEEvT1_, .Lfunc_end141-_ZN7rocprim17ROCPRIM_400000_NS6detail17trampoline_kernelINS0_14default_configENS1_25transform_config_selectorIiLb0EEEZNS1_14transform_implILb0ES3_S5_NS0_18transform_iteratorINS0_17counting_iteratorImlEEZNS1_24adjacent_difference_implIS3_Lb1ELb0EPiSB_N6thrust23THRUST_200600_302600_NS4plusIiEEEE10hipError_tPvRmT2_T3_mT4_P12ihipStream_tbEUlmE_iEESB_NS0_8identityIvEEEESG_SJ_SK_mSL_SN_bEUlT_E_NS1_11comp_targetILNS1_3genE10ELNS1_11target_archE1200ELNS1_3gpuE4ELNS1_3repE0EEENS1_30default_config_static_selectorELNS0_4arch9wavefront6targetE1EEEvT1_
                                        ; -- End function
	.section	.AMDGPU.csdata,"",@progbits
; Kernel info:
; codeLenInByte = 0
; NumSgprs: 6
; NumVgprs: 0
; NumAgprs: 0
; TotalNumVgprs: 0
; ScratchSize: 0
; MemoryBound: 0
; FloatMode: 240
; IeeeMode: 1
; LDSByteSize: 0 bytes/workgroup (compile time only)
; SGPRBlocks: 0
; VGPRBlocks: 0
; NumSGPRsForWavesPerEU: 6
; NumVGPRsForWavesPerEU: 1
; AccumOffset: 4
; Occupancy: 8
; WaveLimiterHint : 0
; COMPUTE_PGM_RSRC2:SCRATCH_EN: 0
; COMPUTE_PGM_RSRC2:USER_SGPR: 2
; COMPUTE_PGM_RSRC2:TRAP_HANDLER: 0
; COMPUTE_PGM_RSRC2:TGID_X_EN: 1
; COMPUTE_PGM_RSRC2:TGID_Y_EN: 0
; COMPUTE_PGM_RSRC2:TGID_Z_EN: 0
; COMPUTE_PGM_RSRC2:TIDIG_COMP_CNT: 0
; COMPUTE_PGM_RSRC3_GFX90A:ACCUM_OFFSET: 0
; COMPUTE_PGM_RSRC3_GFX90A:TG_SPLIT: 0
	.section	.text._ZN7rocprim17ROCPRIM_400000_NS6detail17trampoline_kernelINS0_14default_configENS1_25transform_config_selectorIiLb0EEEZNS1_14transform_implILb0ES3_S5_NS0_18transform_iteratorINS0_17counting_iteratorImlEEZNS1_24adjacent_difference_implIS3_Lb1ELb0EPiSB_N6thrust23THRUST_200600_302600_NS4plusIiEEEE10hipError_tPvRmT2_T3_mT4_P12ihipStream_tbEUlmE_iEESB_NS0_8identityIvEEEESG_SJ_SK_mSL_SN_bEUlT_E_NS1_11comp_targetILNS1_3genE9ELNS1_11target_archE1100ELNS1_3gpuE3ELNS1_3repE0EEENS1_30default_config_static_selectorELNS0_4arch9wavefront6targetE1EEEvT1_,"axG",@progbits,_ZN7rocprim17ROCPRIM_400000_NS6detail17trampoline_kernelINS0_14default_configENS1_25transform_config_selectorIiLb0EEEZNS1_14transform_implILb0ES3_S5_NS0_18transform_iteratorINS0_17counting_iteratorImlEEZNS1_24adjacent_difference_implIS3_Lb1ELb0EPiSB_N6thrust23THRUST_200600_302600_NS4plusIiEEEE10hipError_tPvRmT2_T3_mT4_P12ihipStream_tbEUlmE_iEESB_NS0_8identityIvEEEESG_SJ_SK_mSL_SN_bEUlT_E_NS1_11comp_targetILNS1_3genE9ELNS1_11target_archE1100ELNS1_3gpuE3ELNS1_3repE0EEENS1_30default_config_static_selectorELNS0_4arch9wavefront6targetE1EEEvT1_,comdat
	.protected	_ZN7rocprim17ROCPRIM_400000_NS6detail17trampoline_kernelINS0_14default_configENS1_25transform_config_selectorIiLb0EEEZNS1_14transform_implILb0ES3_S5_NS0_18transform_iteratorINS0_17counting_iteratorImlEEZNS1_24adjacent_difference_implIS3_Lb1ELb0EPiSB_N6thrust23THRUST_200600_302600_NS4plusIiEEEE10hipError_tPvRmT2_T3_mT4_P12ihipStream_tbEUlmE_iEESB_NS0_8identityIvEEEESG_SJ_SK_mSL_SN_bEUlT_E_NS1_11comp_targetILNS1_3genE9ELNS1_11target_archE1100ELNS1_3gpuE3ELNS1_3repE0EEENS1_30default_config_static_selectorELNS0_4arch9wavefront6targetE1EEEvT1_ ; -- Begin function _ZN7rocprim17ROCPRIM_400000_NS6detail17trampoline_kernelINS0_14default_configENS1_25transform_config_selectorIiLb0EEEZNS1_14transform_implILb0ES3_S5_NS0_18transform_iteratorINS0_17counting_iteratorImlEEZNS1_24adjacent_difference_implIS3_Lb1ELb0EPiSB_N6thrust23THRUST_200600_302600_NS4plusIiEEEE10hipError_tPvRmT2_T3_mT4_P12ihipStream_tbEUlmE_iEESB_NS0_8identityIvEEEESG_SJ_SK_mSL_SN_bEUlT_E_NS1_11comp_targetILNS1_3genE9ELNS1_11target_archE1100ELNS1_3gpuE3ELNS1_3repE0EEENS1_30default_config_static_selectorELNS0_4arch9wavefront6targetE1EEEvT1_
	.globl	_ZN7rocprim17ROCPRIM_400000_NS6detail17trampoline_kernelINS0_14default_configENS1_25transform_config_selectorIiLb0EEEZNS1_14transform_implILb0ES3_S5_NS0_18transform_iteratorINS0_17counting_iteratorImlEEZNS1_24adjacent_difference_implIS3_Lb1ELb0EPiSB_N6thrust23THRUST_200600_302600_NS4plusIiEEEE10hipError_tPvRmT2_T3_mT4_P12ihipStream_tbEUlmE_iEESB_NS0_8identityIvEEEESG_SJ_SK_mSL_SN_bEUlT_E_NS1_11comp_targetILNS1_3genE9ELNS1_11target_archE1100ELNS1_3gpuE3ELNS1_3repE0EEENS1_30default_config_static_selectorELNS0_4arch9wavefront6targetE1EEEvT1_
	.p2align	8
	.type	_ZN7rocprim17ROCPRIM_400000_NS6detail17trampoline_kernelINS0_14default_configENS1_25transform_config_selectorIiLb0EEEZNS1_14transform_implILb0ES3_S5_NS0_18transform_iteratorINS0_17counting_iteratorImlEEZNS1_24adjacent_difference_implIS3_Lb1ELb0EPiSB_N6thrust23THRUST_200600_302600_NS4plusIiEEEE10hipError_tPvRmT2_T3_mT4_P12ihipStream_tbEUlmE_iEESB_NS0_8identityIvEEEESG_SJ_SK_mSL_SN_bEUlT_E_NS1_11comp_targetILNS1_3genE9ELNS1_11target_archE1100ELNS1_3gpuE3ELNS1_3repE0EEENS1_30default_config_static_selectorELNS0_4arch9wavefront6targetE1EEEvT1_,@function
_ZN7rocprim17ROCPRIM_400000_NS6detail17trampoline_kernelINS0_14default_configENS1_25transform_config_selectorIiLb0EEEZNS1_14transform_implILb0ES3_S5_NS0_18transform_iteratorINS0_17counting_iteratorImlEEZNS1_24adjacent_difference_implIS3_Lb1ELb0EPiSB_N6thrust23THRUST_200600_302600_NS4plusIiEEEE10hipError_tPvRmT2_T3_mT4_P12ihipStream_tbEUlmE_iEESB_NS0_8identityIvEEEESG_SJ_SK_mSL_SN_bEUlT_E_NS1_11comp_targetILNS1_3genE9ELNS1_11target_archE1100ELNS1_3gpuE3ELNS1_3repE0EEENS1_30default_config_static_selectorELNS0_4arch9wavefront6targetE1EEEvT1_: ; @_ZN7rocprim17ROCPRIM_400000_NS6detail17trampoline_kernelINS0_14default_configENS1_25transform_config_selectorIiLb0EEEZNS1_14transform_implILb0ES3_S5_NS0_18transform_iteratorINS0_17counting_iteratorImlEEZNS1_24adjacent_difference_implIS3_Lb1ELb0EPiSB_N6thrust23THRUST_200600_302600_NS4plusIiEEEE10hipError_tPvRmT2_T3_mT4_P12ihipStream_tbEUlmE_iEESB_NS0_8identityIvEEEESG_SJ_SK_mSL_SN_bEUlT_E_NS1_11comp_targetILNS1_3genE9ELNS1_11target_archE1100ELNS1_3gpuE3ELNS1_3repE0EEENS1_30default_config_static_selectorELNS0_4arch9wavefront6targetE1EEEvT1_
; %bb.0:
	.section	.rodata,"a",@progbits
	.p2align	6, 0x0
	.amdhsa_kernel _ZN7rocprim17ROCPRIM_400000_NS6detail17trampoline_kernelINS0_14default_configENS1_25transform_config_selectorIiLb0EEEZNS1_14transform_implILb0ES3_S5_NS0_18transform_iteratorINS0_17counting_iteratorImlEEZNS1_24adjacent_difference_implIS3_Lb1ELb0EPiSB_N6thrust23THRUST_200600_302600_NS4plusIiEEEE10hipError_tPvRmT2_T3_mT4_P12ihipStream_tbEUlmE_iEESB_NS0_8identityIvEEEESG_SJ_SK_mSL_SN_bEUlT_E_NS1_11comp_targetILNS1_3genE9ELNS1_11target_archE1100ELNS1_3gpuE3ELNS1_3repE0EEENS1_30default_config_static_selectorELNS0_4arch9wavefront6targetE1EEEvT1_
		.amdhsa_group_segment_fixed_size 0
		.amdhsa_private_segment_fixed_size 0
		.amdhsa_kernarg_size 56
		.amdhsa_user_sgpr_count 2
		.amdhsa_user_sgpr_dispatch_ptr 0
		.amdhsa_user_sgpr_queue_ptr 0
		.amdhsa_user_sgpr_kernarg_segment_ptr 1
		.amdhsa_user_sgpr_dispatch_id 0
		.amdhsa_user_sgpr_kernarg_preload_length 0
		.amdhsa_user_sgpr_kernarg_preload_offset 0
		.amdhsa_user_sgpr_private_segment_size 0
		.amdhsa_uses_dynamic_stack 0
		.amdhsa_enable_private_segment 0
		.amdhsa_system_sgpr_workgroup_id_x 1
		.amdhsa_system_sgpr_workgroup_id_y 0
		.amdhsa_system_sgpr_workgroup_id_z 0
		.amdhsa_system_sgpr_workgroup_info 0
		.amdhsa_system_vgpr_workitem_id 0
		.amdhsa_next_free_vgpr 1
		.amdhsa_next_free_sgpr 0
		.amdhsa_accum_offset 4
		.amdhsa_reserve_vcc 0
		.amdhsa_float_round_mode_32 0
		.amdhsa_float_round_mode_16_64 0
		.amdhsa_float_denorm_mode_32 3
		.amdhsa_float_denorm_mode_16_64 3
		.amdhsa_dx10_clamp 1
		.amdhsa_ieee_mode 1
		.amdhsa_fp16_overflow 0
		.amdhsa_tg_split 0
		.amdhsa_exception_fp_ieee_invalid_op 0
		.amdhsa_exception_fp_denorm_src 0
		.amdhsa_exception_fp_ieee_div_zero 0
		.amdhsa_exception_fp_ieee_overflow 0
		.amdhsa_exception_fp_ieee_underflow 0
		.amdhsa_exception_fp_ieee_inexact 0
		.amdhsa_exception_int_div_zero 0
	.end_amdhsa_kernel
	.section	.text._ZN7rocprim17ROCPRIM_400000_NS6detail17trampoline_kernelINS0_14default_configENS1_25transform_config_selectorIiLb0EEEZNS1_14transform_implILb0ES3_S5_NS0_18transform_iteratorINS0_17counting_iteratorImlEEZNS1_24adjacent_difference_implIS3_Lb1ELb0EPiSB_N6thrust23THRUST_200600_302600_NS4plusIiEEEE10hipError_tPvRmT2_T3_mT4_P12ihipStream_tbEUlmE_iEESB_NS0_8identityIvEEEESG_SJ_SK_mSL_SN_bEUlT_E_NS1_11comp_targetILNS1_3genE9ELNS1_11target_archE1100ELNS1_3gpuE3ELNS1_3repE0EEENS1_30default_config_static_selectorELNS0_4arch9wavefront6targetE1EEEvT1_,"axG",@progbits,_ZN7rocprim17ROCPRIM_400000_NS6detail17trampoline_kernelINS0_14default_configENS1_25transform_config_selectorIiLb0EEEZNS1_14transform_implILb0ES3_S5_NS0_18transform_iteratorINS0_17counting_iteratorImlEEZNS1_24adjacent_difference_implIS3_Lb1ELb0EPiSB_N6thrust23THRUST_200600_302600_NS4plusIiEEEE10hipError_tPvRmT2_T3_mT4_P12ihipStream_tbEUlmE_iEESB_NS0_8identityIvEEEESG_SJ_SK_mSL_SN_bEUlT_E_NS1_11comp_targetILNS1_3genE9ELNS1_11target_archE1100ELNS1_3gpuE3ELNS1_3repE0EEENS1_30default_config_static_selectorELNS0_4arch9wavefront6targetE1EEEvT1_,comdat
.Lfunc_end142:
	.size	_ZN7rocprim17ROCPRIM_400000_NS6detail17trampoline_kernelINS0_14default_configENS1_25transform_config_selectorIiLb0EEEZNS1_14transform_implILb0ES3_S5_NS0_18transform_iteratorINS0_17counting_iteratorImlEEZNS1_24adjacent_difference_implIS3_Lb1ELb0EPiSB_N6thrust23THRUST_200600_302600_NS4plusIiEEEE10hipError_tPvRmT2_T3_mT4_P12ihipStream_tbEUlmE_iEESB_NS0_8identityIvEEEESG_SJ_SK_mSL_SN_bEUlT_E_NS1_11comp_targetILNS1_3genE9ELNS1_11target_archE1100ELNS1_3gpuE3ELNS1_3repE0EEENS1_30default_config_static_selectorELNS0_4arch9wavefront6targetE1EEEvT1_, .Lfunc_end142-_ZN7rocprim17ROCPRIM_400000_NS6detail17trampoline_kernelINS0_14default_configENS1_25transform_config_selectorIiLb0EEEZNS1_14transform_implILb0ES3_S5_NS0_18transform_iteratorINS0_17counting_iteratorImlEEZNS1_24adjacent_difference_implIS3_Lb1ELb0EPiSB_N6thrust23THRUST_200600_302600_NS4plusIiEEEE10hipError_tPvRmT2_T3_mT4_P12ihipStream_tbEUlmE_iEESB_NS0_8identityIvEEEESG_SJ_SK_mSL_SN_bEUlT_E_NS1_11comp_targetILNS1_3genE9ELNS1_11target_archE1100ELNS1_3gpuE3ELNS1_3repE0EEENS1_30default_config_static_selectorELNS0_4arch9wavefront6targetE1EEEvT1_
                                        ; -- End function
	.section	.AMDGPU.csdata,"",@progbits
; Kernel info:
; codeLenInByte = 0
; NumSgprs: 6
; NumVgprs: 0
; NumAgprs: 0
; TotalNumVgprs: 0
; ScratchSize: 0
; MemoryBound: 0
; FloatMode: 240
; IeeeMode: 1
; LDSByteSize: 0 bytes/workgroup (compile time only)
; SGPRBlocks: 0
; VGPRBlocks: 0
; NumSGPRsForWavesPerEU: 6
; NumVGPRsForWavesPerEU: 1
; AccumOffset: 4
; Occupancy: 8
; WaveLimiterHint : 0
; COMPUTE_PGM_RSRC2:SCRATCH_EN: 0
; COMPUTE_PGM_RSRC2:USER_SGPR: 2
; COMPUTE_PGM_RSRC2:TRAP_HANDLER: 0
; COMPUTE_PGM_RSRC2:TGID_X_EN: 1
; COMPUTE_PGM_RSRC2:TGID_Y_EN: 0
; COMPUTE_PGM_RSRC2:TGID_Z_EN: 0
; COMPUTE_PGM_RSRC2:TIDIG_COMP_CNT: 0
; COMPUTE_PGM_RSRC3_GFX90A:ACCUM_OFFSET: 0
; COMPUTE_PGM_RSRC3_GFX90A:TG_SPLIT: 0
	.section	.text._ZN7rocprim17ROCPRIM_400000_NS6detail17trampoline_kernelINS0_14default_configENS1_25transform_config_selectorIiLb0EEEZNS1_14transform_implILb0ES3_S5_NS0_18transform_iteratorINS0_17counting_iteratorImlEEZNS1_24adjacent_difference_implIS3_Lb1ELb0EPiSB_N6thrust23THRUST_200600_302600_NS4plusIiEEEE10hipError_tPvRmT2_T3_mT4_P12ihipStream_tbEUlmE_iEESB_NS0_8identityIvEEEESG_SJ_SK_mSL_SN_bEUlT_E_NS1_11comp_targetILNS1_3genE8ELNS1_11target_archE1030ELNS1_3gpuE2ELNS1_3repE0EEENS1_30default_config_static_selectorELNS0_4arch9wavefront6targetE1EEEvT1_,"axG",@progbits,_ZN7rocprim17ROCPRIM_400000_NS6detail17trampoline_kernelINS0_14default_configENS1_25transform_config_selectorIiLb0EEEZNS1_14transform_implILb0ES3_S5_NS0_18transform_iteratorINS0_17counting_iteratorImlEEZNS1_24adjacent_difference_implIS3_Lb1ELb0EPiSB_N6thrust23THRUST_200600_302600_NS4plusIiEEEE10hipError_tPvRmT2_T3_mT4_P12ihipStream_tbEUlmE_iEESB_NS0_8identityIvEEEESG_SJ_SK_mSL_SN_bEUlT_E_NS1_11comp_targetILNS1_3genE8ELNS1_11target_archE1030ELNS1_3gpuE2ELNS1_3repE0EEENS1_30default_config_static_selectorELNS0_4arch9wavefront6targetE1EEEvT1_,comdat
	.protected	_ZN7rocprim17ROCPRIM_400000_NS6detail17trampoline_kernelINS0_14default_configENS1_25transform_config_selectorIiLb0EEEZNS1_14transform_implILb0ES3_S5_NS0_18transform_iteratorINS0_17counting_iteratorImlEEZNS1_24adjacent_difference_implIS3_Lb1ELb0EPiSB_N6thrust23THRUST_200600_302600_NS4plusIiEEEE10hipError_tPvRmT2_T3_mT4_P12ihipStream_tbEUlmE_iEESB_NS0_8identityIvEEEESG_SJ_SK_mSL_SN_bEUlT_E_NS1_11comp_targetILNS1_3genE8ELNS1_11target_archE1030ELNS1_3gpuE2ELNS1_3repE0EEENS1_30default_config_static_selectorELNS0_4arch9wavefront6targetE1EEEvT1_ ; -- Begin function _ZN7rocprim17ROCPRIM_400000_NS6detail17trampoline_kernelINS0_14default_configENS1_25transform_config_selectorIiLb0EEEZNS1_14transform_implILb0ES3_S5_NS0_18transform_iteratorINS0_17counting_iteratorImlEEZNS1_24adjacent_difference_implIS3_Lb1ELb0EPiSB_N6thrust23THRUST_200600_302600_NS4plusIiEEEE10hipError_tPvRmT2_T3_mT4_P12ihipStream_tbEUlmE_iEESB_NS0_8identityIvEEEESG_SJ_SK_mSL_SN_bEUlT_E_NS1_11comp_targetILNS1_3genE8ELNS1_11target_archE1030ELNS1_3gpuE2ELNS1_3repE0EEENS1_30default_config_static_selectorELNS0_4arch9wavefront6targetE1EEEvT1_
	.globl	_ZN7rocprim17ROCPRIM_400000_NS6detail17trampoline_kernelINS0_14default_configENS1_25transform_config_selectorIiLb0EEEZNS1_14transform_implILb0ES3_S5_NS0_18transform_iteratorINS0_17counting_iteratorImlEEZNS1_24adjacent_difference_implIS3_Lb1ELb0EPiSB_N6thrust23THRUST_200600_302600_NS4plusIiEEEE10hipError_tPvRmT2_T3_mT4_P12ihipStream_tbEUlmE_iEESB_NS0_8identityIvEEEESG_SJ_SK_mSL_SN_bEUlT_E_NS1_11comp_targetILNS1_3genE8ELNS1_11target_archE1030ELNS1_3gpuE2ELNS1_3repE0EEENS1_30default_config_static_selectorELNS0_4arch9wavefront6targetE1EEEvT1_
	.p2align	8
	.type	_ZN7rocprim17ROCPRIM_400000_NS6detail17trampoline_kernelINS0_14default_configENS1_25transform_config_selectorIiLb0EEEZNS1_14transform_implILb0ES3_S5_NS0_18transform_iteratorINS0_17counting_iteratorImlEEZNS1_24adjacent_difference_implIS3_Lb1ELb0EPiSB_N6thrust23THRUST_200600_302600_NS4plusIiEEEE10hipError_tPvRmT2_T3_mT4_P12ihipStream_tbEUlmE_iEESB_NS0_8identityIvEEEESG_SJ_SK_mSL_SN_bEUlT_E_NS1_11comp_targetILNS1_3genE8ELNS1_11target_archE1030ELNS1_3gpuE2ELNS1_3repE0EEENS1_30default_config_static_selectorELNS0_4arch9wavefront6targetE1EEEvT1_,@function
_ZN7rocprim17ROCPRIM_400000_NS6detail17trampoline_kernelINS0_14default_configENS1_25transform_config_selectorIiLb0EEEZNS1_14transform_implILb0ES3_S5_NS0_18transform_iteratorINS0_17counting_iteratorImlEEZNS1_24adjacent_difference_implIS3_Lb1ELb0EPiSB_N6thrust23THRUST_200600_302600_NS4plusIiEEEE10hipError_tPvRmT2_T3_mT4_P12ihipStream_tbEUlmE_iEESB_NS0_8identityIvEEEESG_SJ_SK_mSL_SN_bEUlT_E_NS1_11comp_targetILNS1_3genE8ELNS1_11target_archE1030ELNS1_3gpuE2ELNS1_3repE0EEENS1_30default_config_static_selectorELNS0_4arch9wavefront6targetE1EEEvT1_: ; @_ZN7rocprim17ROCPRIM_400000_NS6detail17trampoline_kernelINS0_14default_configENS1_25transform_config_selectorIiLb0EEEZNS1_14transform_implILb0ES3_S5_NS0_18transform_iteratorINS0_17counting_iteratorImlEEZNS1_24adjacent_difference_implIS3_Lb1ELb0EPiSB_N6thrust23THRUST_200600_302600_NS4plusIiEEEE10hipError_tPvRmT2_T3_mT4_P12ihipStream_tbEUlmE_iEESB_NS0_8identityIvEEEESG_SJ_SK_mSL_SN_bEUlT_E_NS1_11comp_targetILNS1_3genE8ELNS1_11target_archE1030ELNS1_3gpuE2ELNS1_3repE0EEENS1_30default_config_static_selectorELNS0_4arch9wavefront6targetE1EEEvT1_
; %bb.0:
	.section	.rodata,"a",@progbits
	.p2align	6, 0x0
	.amdhsa_kernel _ZN7rocprim17ROCPRIM_400000_NS6detail17trampoline_kernelINS0_14default_configENS1_25transform_config_selectorIiLb0EEEZNS1_14transform_implILb0ES3_S5_NS0_18transform_iteratorINS0_17counting_iteratorImlEEZNS1_24adjacent_difference_implIS3_Lb1ELb0EPiSB_N6thrust23THRUST_200600_302600_NS4plusIiEEEE10hipError_tPvRmT2_T3_mT4_P12ihipStream_tbEUlmE_iEESB_NS0_8identityIvEEEESG_SJ_SK_mSL_SN_bEUlT_E_NS1_11comp_targetILNS1_3genE8ELNS1_11target_archE1030ELNS1_3gpuE2ELNS1_3repE0EEENS1_30default_config_static_selectorELNS0_4arch9wavefront6targetE1EEEvT1_
		.amdhsa_group_segment_fixed_size 0
		.amdhsa_private_segment_fixed_size 0
		.amdhsa_kernarg_size 56
		.amdhsa_user_sgpr_count 2
		.amdhsa_user_sgpr_dispatch_ptr 0
		.amdhsa_user_sgpr_queue_ptr 0
		.amdhsa_user_sgpr_kernarg_segment_ptr 1
		.amdhsa_user_sgpr_dispatch_id 0
		.amdhsa_user_sgpr_kernarg_preload_length 0
		.amdhsa_user_sgpr_kernarg_preload_offset 0
		.amdhsa_user_sgpr_private_segment_size 0
		.amdhsa_uses_dynamic_stack 0
		.amdhsa_enable_private_segment 0
		.amdhsa_system_sgpr_workgroup_id_x 1
		.amdhsa_system_sgpr_workgroup_id_y 0
		.amdhsa_system_sgpr_workgroup_id_z 0
		.amdhsa_system_sgpr_workgroup_info 0
		.amdhsa_system_vgpr_workitem_id 0
		.amdhsa_next_free_vgpr 1
		.amdhsa_next_free_sgpr 0
		.amdhsa_accum_offset 4
		.amdhsa_reserve_vcc 0
		.amdhsa_float_round_mode_32 0
		.amdhsa_float_round_mode_16_64 0
		.amdhsa_float_denorm_mode_32 3
		.amdhsa_float_denorm_mode_16_64 3
		.amdhsa_dx10_clamp 1
		.amdhsa_ieee_mode 1
		.amdhsa_fp16_overflow 0
		.amdhsa_tg_split 0
		.amdhsa_exception_fp_ieee_invalid_op 0
		.amdhsa_exception_fp_denorm_src 0
		.amdhsa_exception_fp_ieee_div_zero 0
		.amdhsa_exception_fp_ieee_overflow 0
		.amdhsa_exception_fp_ieee_underflow 0
		.amdhsa_exception_fp_ieee_inexact 0
		.amdhsa_exception_int_div_zero 0
	.end_amdhsa_kernel
	.section	.text._ZN7rocprim17ROCPRIM_400000_NS6detail17trampoline_kernelINS0_14default_configENS1_25transform_config_selectorIiLb0EEEZNS1_14transform_implILb0ES3_S5_NS0_18transform_iteratorINS0_17counting_iteratorImlEEZNS1_24adjacent_difference_implIS3_Lb1ELb0EPiSB_N6thrust23THRUST_200600_302600_NS4plusIiEEEE10hipError_tPvRmT2_T3_mT4_P12ihipStream_tbEUlmE_iEESB_NS0_8identityIvEEEESG_SJ_SK_mSL_SN_bEUlT_E_NS1_11comp_targetILNS1_3genE8ELNS1_11target_archE1030ELNS1_3gpuE2ELNS1_3repE0EEENS1_30default_config_static_selectorELNS0_4arch9wavefront6targetE1EEEvT1_,"axG",@progbits,_ZN7rocprim17ROCPRIM_400000_NS6detail17trampoline_kernelINS0_14default_configENS1_25transform_config_selectorIiLb0EEEZNS1_14transform_implILb0ES3_S5_NS0_18transform_iteratorINS0_17counting_iteratorImlEEZNS1_24adjacent_difference_implIS3_Lb1ELb0EPiSB_N6thrust23THRUST_200600_302600_NS4plusIiEEEE10hipError_tPvRmT2_T3_mT4_P12ihipStream_tbEUlmE_iEESB_NS0_8identityIvEEEESG_SJ_SK_mSL_SN_bEUlT_E_NS1_11comp_targetILNS1_3genE8ELNS1_11target_archE1030ELNS1_3gpuE2ELNS1_3repE0EEENS1_30default_config_static_selectorELNS0_4arch9wavefront6targetE1EEEvT1_,comdat
.Lfunc_end143:
	.size	_ZN7rocprim17ROCPRIM_400000_NS6detail17trampoline_kernelINS0_14default_configENS1_25transform_config_selectorIiLb0EEEZNS1_14transform_implILb0ES3_S5_NS0_18transform_iteratorINS0_17counting_iteratorImlEEZNS1_24adjacent_difference_implIS3_Lb1ELb0EPiSB_N6thrust23THRUST_200600_302600_NS4plusIiEEEE10hipError_tPvRmT2_T3_mT4_P12ihipStream_tbEUlmE_iEESB_NS0_8identityIvEEEESG_SJ_SK_mSL_SN_bEUlT_E_NS1_11comp_targetILNS1_3genE8ELNS1_11target_archE1030ELNS1_3gpuE2ELNS1_3repE0EEENS1_30default_config_static_selectorELNS0_4arch9wavefront6targetE1EEEvT1_, .Lfunc_end143-_ZN7rocprim17ROCPRIM_400000_NS6detail17trampoline_kernelINS0_14default_configENS1_25transform_config_selectorIiLb0EEEZNS1_14transform_implILb0ES3_S5_NS0_18transform_iteratorINS0_17counting_iteratorImlEEZNS1_24adjacent_difference_implIS3_Lb1ELb0EPiSB_N6thrust23THRUST_200600_302600_NS4plusIiEEEE10hipError_tPvRmT2_T3_mT4_P12ihipStream_tbEUlmE_iEESB_NS0_8identityIvEEEESG_SJ_SK_mSL_SN_bEUlT_E_NS1_11comp_targetILNS1_3genE8ELNS1_11target_archE1030ELNS1_3gpuE2ELNS1_3repE0EEENS1_30default_config_static_selectorELNS0_4arch9wavefront6targetE1EEEvT1_
                                        ; -- End function
	.section	.AMDGPU.csdata,"",@progbits
; Kernel info:
; codeLenInByte = 0
; NumSgprs: 6
; NumVgprs: 0
; NumAgprs: 0
; TotalNumVgprs: 0
; ScratchSize: 0
; MemoryBound: 0
; FloatMode: 240
; IeeeMode: 1
; LDSByteSize: 0 bytes/workgroup (compile time only)
; SGPRBlocks: 0
; VGPRBlocks: 0
; NumSGPRsForWavesPerEU: 6
; NumVGPRsForWavesPerEU: 1
; AccumOffset: 4
; Occupancy: 8
; WaveLimiterHint : 0
; COMPUTE_PGM_RSRC2:SCRATCH_EN: 0
; COMPUTE_PGM_RSRC2:USER_SGPR: 2
; COMPUTE_PGM_RSRC2:TRAP_HANDLER: 0
; COMPUTE_PGM_RSRC2:TGID_X_EN: 1
; COMPUTE_PGM_RSRC2:TGID_Y_EN: 0
; COMPUTE_PGM_RSRC2:TGID_Z_EN: 0
; COMPUTE_PGM_RSRC2:TIDIG_COMP_CNT: 0
; COMPUTE_PGM_RSRC3_GFX90A:ACCUM_OFFSET: 0
; COMPUTE_PGM_RSRC3_GFX90A:TG_SPLIT: 0
	.section	.text._ZN7rocprim17ROCPRIM_400000_NS6detail17trampoline_kernelINS0_14default_configENS1_35adjacent_difference_config_selectorILb1EiEEZNS1_24adjacent_difference_implIS3_Lb1ELb0EPiS7_N6thrust23THRUST_200600_302600_NS4plusIiEEEE10hipError_tPvRmT2_T3_mT4_P12ihipStream_tbEUlT_E_NS1_11comp_targetILNS1_3genE0ELNS1_11target_archE4294967295ELNS1_3gpuE0ELNS1_3repE0EEENS1_30default_config_static_selectorELNS0_4arch9wavefront6targetE1EEEvT1_,"axG",@progbits,_ZN7rocprim17ROCPRIM_400000_NS6detail17trampoline_kernelINS0_14default_configENS1_35adjacent_difference_config_selectorILb1EiEEZNS1_24adjacent_difference_implIS3_Lb1ELb0EPiS7_N6thrust23THRUST_200600_302600_NS4plusIiEEEE10hipError_tPvRmT2_T3_mT4_P12ihipStream_tbEUlT_E_NS1_11comp_targetILNS1_3genE0ELNS1_11target_archE4294967295ELNS1_3gpuE0ELNS1_3repE0EEENS1_30default_config_static_selectorELNS0_4arch9wavefront6targetE1EEEvT1_,comdat
	.protected	_ZN7rocprim17ROCPRIM_400000_NS6detail17trampoline_kernelINS0_14default_configENS1_35adjacent_difference_config_selectorILb1EiEEZNS1_24adjacent_difference_implIS3_Lb1ELb0EPiS7_N6thrust23THRUST_200600_302600_NS4plusIiEEEE10hipError_tPvRmT2_T3_mT4_P12ihipStream_tbEUlT_E_NS1_11comp_targetILNS1_3genE0ELNS1_11target_archE4294967295ELNS1_3gpuE0ELNS1_3repE0EEENS1_30default_config_static_selectorELNS0_4arch9wavefront6targetE1EEEvT1_ ; -- Begin function _ZN7rocprim17ROCPRIM_400000_NS6detail17trampoline_kernelINS0_14default_configENS1_35adjacent_difference_config_selectorILb1EiEEZNS1_24adjacent_difference_implIS3_Lb1ELb0EPiS7_N6thrust23THRUST_200600_302600_NS4plusIiEEEE10hipError_tPvRmT2_T3_mT4_P12ihipStream_tbEUlT_E_NS1_11comp_targetILNS1_3genE0ELNS1_11target_archE4294967295ELNS1_3gpuE0ELNS1_3repE0EEENS1_30default_config_static_selectorELNS0_4arch9wavefront6targetE1EEEvT1_
	.globl	_ZN7rocprim17ROCPRIM_400000_NS6detail17trampoline_kernelINS0_14default_configENS1_35adjacent_difference_config_selectorILb1EiEEZNS1_24adjacent_difference_implIS3_Lb1ELb0EPiS7_N6thrust23THRUST_200600_302600_NS4plusIiEEEE10hipError_tPvRmT2_T3_mT4_P12ihipStream_tbEUlT_E_NS1_11comp_targetILNS1_3genE0ELNS1_11target_archE4294967295ELNS1_3gpuE0ELNS1_3repE0EEENS1_30default_config_static_selectorELNS0_4arch9wavefront6targetE1EEEvT1_
	.p2align	8
	.type	_ZN7rocprim17ROCPRIM_400000_NS6detail17trampoline_kernelINS0_14default_configENS1_35adjacent_difference_config_selectorILb1EiEEZNS1_24adjacent_difference_implIS3_Lb1ELb0EPiS7_N6thrust23THRUST_200600_302600_NS4plusIiEEEE10hipError_tPvRmT2_T3_mT4_P12ihipStream_tbEUlT_E_NS1_11comp_targetILNS1_3genE0ELNS1_11target_archE4294967295ELNS1_3gpuE0ELNS1_3repE0EEENS1_30default_config_static_selectorELNS0_4arch9wavefront6targetE1EEEvT1_,@function
_ZN7rocprim17ROCPRIM_400000_NS6detail17trampoline_kernelINS0_14default_configENS1_35adjacent_difference_config_selectorILb1EiEEZNS1_24adjacent_difference_implIS3_Lb1ELb0EPiS7_N6thrust23THRUST_200600_302600_NS4plusIiEEEE10hipError_tPvRmT2_T3_mT4_P12ihipStream_tbEUlT_E_NS1_11comp_targetILNS1_3genE0ELNS1_11target_archE4294967295ELNS1_3gpuE0ELNS1_3repE0EEENS1_30default_config_static_selectorELNS0_4arch9wavefront6targetE1EEEvT1_: ; @_ZN7rocprim17ROCPRIM_400000_NS6detail17trampoline_kernelINS0_14default_configENS1_35adjacent_difference_config_selectorILb1EiEEZNS1_24adjacent_difference_implIS3_Lb1ELb0EPiS7_N6thrust23THRUST_200600_302600_NS4plusIiEEEE10hipError_tPvRmT2_T3_mT4_P12ihipStream_tbEUlT_E_NS1_11comp_targetILNS1_3genE0ELNS1_11target_archE4294967295ELNS1_3gpuE0ELNS1_3repE0EEENS1_30default_config_static_selectorELNS0_4arch9wavefront6targetE1EEEvT1_
; %bb.0:
	.section	.rodata,"a",@progbits
	.p2align	6, 0x0
	.amdhsa_kernel _ZN7rocprim17ROCPRIM_400000_NS6detail17trampoline_kernelINS0_14default_configENS1_35adjacent_difference_config_selectorILb1EiEEZNS1_24adjacent_difference_implIS3_Lb1ELb0EPiS7_N6thrust23THRUST_200600_302600_NS4plusIiEEEE10hipError_tPvRmT2_T3_mT4_P12ihipStream_tbEUlT_E_NS1_11comp_targetILNS1_3genE0ELNS1_11target_archE4294967295ELNS1_3gpuE0ELNS1_3repE0EEENS1_30default_config_static_selectorELNS0_4arch9wavefront6targetE1EEEvT1_
		.amdhsa_group_segment_fixed_size 0
		.amdhsa_private_segment_fixed_size 0
		.amdhsa_kernarg_size 56
		.amdhsa_user_sgpr_count 2
		.amdhsa_user_sgpr_dispatch_ptr 0
		.amdhsa_user_sgpr_queue_ptr 0
		.amdhsa_user_sgpr_kernarg_segment_ptr 1
		.amdhsa_user_sgpr_dispatch_id 0
		.amdhsa_user_sgpr_kernarg_preload_length 0
		.amdhsa_user_sgpr_kernarg_preload_offset 0
		.amdhsa_user_sgpr_private_segment_size 0
		.amdhsa_uses_dynamic_stack 0
		.amdhsa_enable_private_segment 0
		.amdhsa_system_sgpr_workgroup_id_x 1
		.amdhsa_system_sgpr_workgroup_id_y 0
		.amdhsa_system_sgpr_workgroup_id_z 0
		.amdhsa_system_sgpr_workgroup_info 0
		.amdhsa_system_vgpr_workitem_id 0
		.amdhsa_next_free_vgpr 1
		.amdhsa_next_free_sgpr 0
		.amdhsa_accum_offset 4
		.amdhsa_reserve_vcc 0
		.amdhsa_float_round_mode_32 0
		.amdhsa_float_round_mode_16_64 0
		.amdhsa_float_denorm_mode_32 3
		.amdhsa_float_denorm_mode_16_64 3
		.amdhsa_dx10_clamp 1
		.amdhsa_ieee_mode 1
		.amdhsa_fp16_overflow 0
		.amdhsa_tg_split 0
		.amdhsa_exception_fp_ieee_invalid_op 0
		.amdhsa_exception_fp_denorm_src 0
		.amdhsa_exception_fp_ieee_div_zero 0
		.amdhsa_exception_fp_ieee_overflow 0
		.amdhsa_exception_fp_ieee_underflow 0
		.amdhsa_exception_fp_ieee_inexact 0
		.amdhsa_exception_int_div_zero 0
	.end_amdhsa_kernel
	.section	.text._ZN7rocprim17ROCPRIM_400000_NS6detail17trampoline_kernelINS0_14default_configENS1_35adjacent_difference_config_selectorILb1EiEEZNS1_24adjacent_difference_implIS3_Lb1ELb0EPiS7_N6thrust23THRUST_200600_302600_NS4plusIiEEEE10hipError_tPvRmT2_T3_mT4_P12ihipStream_tbEUlT_E_NS1_11comp_targetILNS1_3genE0ELNS1_11target_archE4294967295ELNS1_3gpuE0ELNS1_3repE0EEENS1_30default_config_static_selectorELNS0_4arch9wavefront6targetE1EEEvT1_,"axG",@progbits,_ZN7rocprim17ROCPRIM_400000_NS6detail17trampoline_kernelINS0_14default_configENS1_35adjacent_difference_config_selectorILb1EiEEZNS1_24adjacent_difference_implIS3_Lb1ELb0EPiS7_N6thrust23THRUST_200600_302600_NS4plusIiEEEE10hipError_tPvRmT2_T3_mT4_P12ihipStream_tbEUlT_E_NS1_11comp_targetILNS1_3genE0ELNS1_11target_archE4294967295ELNS1_3gpuE0ELNS1_3repE0EEENS1_30default_config_static_selectorELNS0_4arch9wavefront6targetE1EEEvT1_,comdat
.Lfunc_end144:
	.size	_ZN7rocprim17ROCPRIM_400000_NS6detail17trampoline_kernelINS0_14default_configENS1_35adjacent_difference_config_selectorILb1EiEEZNS1_24adjacent_difference_implIS3_Lb1ELb0EPiS7_N6thrust23THRUST_200600_302600_NS4plusIiEEEE10hipError_tPvRmT2_T3_mT4_P12ihipStream_tbEUlT_E_NS1_11comp_targetILNS1_3genE0ELNS1_11target_archE4294967295ELNS1_3gpuE0ELNS1_3repE0EEENS1_30default_config_static_selectorELNS0_4arch9wavefront6targetE1EEEvT1_, .Lfunc_end144-_ZN7rocprim17ROCPRIM_400000_NS6detail17trampoline_kernelINS0_14default_configENS1_35adjacent_difference_config_selectorILb1EiEEZNS1_24adjacent_difference_implIS3_Lb1ELb0EPiS7_N6thrust23THRUST_200600_302600_NS4plusIiEEEE10hipError_tPvRmT2_T3_mT4_P12ihipStream_tbEUlT_E_NS1_11comp_targetILNS1_3genE0ELNS1_11target_archE4294967295ELNS1_3gpuE0ELNS1_3repE0EEENS1_30default_config_static_selectorELNS0_4arch9wavefront6targetE1EEEvT1_
                                        ; -- End function
	.section	.AMDGPU.csdata,"",@progbits
; Kernel info:
; codeLenInByte = 0
; NumSgprs: 6
; NumVgprs: 0
; NumAgprs: 0
; TotalNumVgprs: 0
; ScratchSize: 0
; MemoryBound: 0
; FloatMode: 240
; IeeeMode: 1
; LDSByteSize: 0 bytes/workgroup (compile time only)
; SGPRBlocks: 0
; VGPRBlocks: 0
; NumSGPRsForWavesPerEU: 6
; NumVGPRsForWavesPerEU: 1
; AccumOffset: 4
; Occupancy: 8
; WaveLimiterHint : 0
; COMPUTE_PGM_RSRC2:SCRATCH_EN: 0
; COMPUTE_PGM_RSRC2:USER_SGPR: 2
; COMPUTE_PGM_RSRC2:TRAP_HANDLER: 0
; COMPUTE_PGM_RSRC2:TGID_X_EN: 1
; COMPUTE_PGM_RSRC2:TGID_Y_EN: 0
; COMPUTE_PGM_RSRC2:TGID_Z_EN: 0
; COMPUTE_PGM_RSRC2:TIDIG_COMP_CNT: 0
; COMPUTE_PGM_RSRC3_GFX90A:ACCUM_OFFSET: 0
; COMPUTE_PGM_RSRC3_GFX90A:TG_SPLIT: 0
	.section	.text._ZN7rocprim17ROCPRIM_400000_NS6detail17trampoline_kernelINS0_14default_configENS1_35adjacent_difference_config_selectorILb1EiEEZNS1_24adjacent_difference_implIS3_Lb1ELb0EPiS7_N6thrust23THRUST_200600_302600_NS4plusIiEEEE10hipError_tPvRmT2_T3_mT4_P12ihipStream_tbEUlT_E_NS1_11comp_targetILNS1_3genE10ELNS1_11target_archE1201ELNS1_3gpuE5ELNS1_3repE0EEENS1_30default_config_static_selectorELNS0_4arch9wavefront6targetE1EEEvT1_,"axG",@progbits,_ZN7rocprim17ROCPRIM_400000_NS6detail17trampoline_kernelINS0_14default_configENS1_35adjacent_difference_config_selectorILb1EiEEZNS1_24adjacent_difference_implIS3_Lb1ELb0EPiS7_N6thrust23THRUST_200600_302600_NS4plusIiEEEE10hipError_tPvRmT2_T3_mT4_P12ihipStream_tbEUlT_E_NS1_11comp_targetILNS1_3genE10ELNS1_11target_archE1201ELNS1_3gpuE5ELNS1_3repE0EEENS1_30default_config_static_selectorELNS0_4arch9wavefront6targetE1EEEvT1_,comdat
	.protected	_ZN7rocprim17ROCPRIM_400000_NS6detail17trampoline_kernelINS0_14default_configENS1_35adjacent_difference_config_selectorILb1EiEEZNS1_24adjacent_difference_implIS3_Lb1ELb0EPiS7_N6thrust23THRUST_200600_302600_NS4plusIiEEEE10hipError_tPvRmT2_T3_mT4_P12ihipStream_tbEUlT_E_NS1_11comp_targetILNS1_3genE10ELNS1_11target_archE1201ELNS1_3gpuE5ELNS1_3repE0EEENS1_30default_config_static_selectorELNS0_4arch9wavefront6targetE1EEEvT1_ ; -- Begin function _ZN7rocprim17ROCPRIM_400000_NS6detail17trampoline_kernelINS0_14default_configENS1_35adjacent_difference_config_selectorILb1EiEEZNS1_24adjacent_difference_implIS3_Lb1ELb0EPiS7_N6thrust23THRUST_200600_302600_NS4plusIiEEEE10hipError_tPvRmT2_T3_mT4_P12ihipStream_tbEUlT_E_NS1_11comp_targetILNS1_3genE10ELNS1_11target_archE1201ELNS1_3gpuE5ELNS1_3repE0EEENS1_30default_config_static_selectorELNS0_4arch9wavefront6targetE1EEEvT1_
	.globl	_ZN7rocprim17ROCPRIM_400000_NS6detail17trampoline_kernelINS0_14default_configENS1_35adjacent_difference_config_selectorILb1EiEEZNS1_24adjacent_difference_implIS3_Lb1ELb0EPiS7_N6thrust23THRUST_200600_302600_NS4plusIiEEEE10hipError_tPvRmT2_T3_mT4_P12ihipStream_tbEUlT_E_NS1_11comp_targetILNS1_3genE10ELNS1_11target_archE1201ELNS1_3gpuE5ELNS1_3repE0EEENS1_30default_config_static_selectorELNS0_4arch9wavefront6targetE1EEEvT1_
	.p2align	8
	.type	_ZN7rocprim17ROCPRIM_400000_NS6detail17trampoline_kernelINS0_14default_configENS1_35adjacent_difference_config_selectorILb1EiEEZNS1_24adjacent_difference_implIS3_Lb1ELb0EPiS7_N6thrust23THRUST_200600_302600_NS4plusIiEEEE10hipError_tPvRmT2_T3_mT4_P12ihipStream_tbEUlT_E_NS1_11comp_targetILNS1_3genE10ELNS1_11target_archE1201ELNS1_3gpuE5ELNS1_3repE0EEENS1_30default_config_static_selectorELNS0_4arch9wavefront6targetE1EEEvT1_,@function
_ZN7rocprim17ROCPRIM_400000_NS6detail17trampoline_kernelINS0_14default_configENS1_35adjacent_difference_config_selectorILb1EiEEZNS1_24adjacent_difference_implIS3_Lb1ELb0EPiS7_N6thrust23THRUST_200600_302600_NS4plusIiEEEE10hipError_tPvRmT2_T3_mT4_P12ihipStream_tbEUlT_E_NS1_11comp_targetILNS1_3genE10ELNS1_11target_archE1201ELNS1_3gpuE5ELNS1_3repE0EEENS1_30default_config_static_selectorELNS0_4arch9wavefront6targetE1EEEvT1_: ; @_ZN7rocprim17ROCPRIM_400000_NS6detail17trampoline_kernelINS0_14default_configENS1_35adjacent_difference_config_selectorILb1EiEEZNS1_24adjacent_difference_implIS3_Lb1ELb0EPiS7_N6thrust23THRUST_200600_302600_NS4plusIiEEEE10hipError_tPvRmT2_T3_mT4_P12ihipStream_tbEUlT_E_NS1_11comp_targetILNS1_3genE10ELNS1_11target_archE1201ELNS1_3gpuE5ELNS1_3repE0EEENS1_30default_config_static_selectorELNS0_4arch9wavefront6targetE1EEEvT1_
; %bb.0:
	.section	.rodata,"a",@progbits
	.p2align	6, 0x0
	.amdhsa_kernel _ZN7rocprim17ROCPRIM_400000_NS6detail17trampoline_kernelINS0_14default_configENS1_35adjacent_difference_config_selectorILb1EiEEZNS1_24adjacent_difference_implIS3_Lb1ELb0EPiS7_N6thrust23THRUST_200600_302600_NS4plusIiEEEE10hipError_tPvRmT2_T3_mT4_P12ihipStream_tbEUlT_E_NS1_11comp_targetILNS1_3genE10ELNS1_11target_archE1201ELNS1_3gpuE5ELNS1_3repE0EEENS1_30default_config_static_selectorELNS0_4arch9wavefront6targetE1EEEvT1_
		.amdhsa_group_segment_fixed_size 0
		.amdhsa_private_segment_fixed_size 0
		.amdhsa_kernarg_size 56
		.amdhsa_user_sgpr_count 2
		.amdhsa_user_sgpr_dispatch_ptr 0
		.amdhsa_user_sgpr_queue_ptr 0
		.amdhsa_user_sgpr_kernarg_segment_ptr 1
		.amdhsa_user_sgpr_dispatch_id 0
		.amdhsa_user_sgpr_kernarg_preload_length 0
		.amdhsa_user_sgpr_kernarg_preload_offset 0
		.amdhsa_user_sgpr_private_segment_size 0
		.amdhsa_uses_dynamic_stack 0
		.amdhsa_enable_private_segment 0
		.amdhsa_system_sgpr_workgroup_id_x 1
		.amdhsa_system_sgpr_workgroup_id_y 0
		.amdhsa_system_sgpr_workgroup_id_z 0
		.amdhsa_system_sgpr_workgroup_info 0
		.amdhsa_system_vgpr_workitem_id 0
		.amdhsa_next_free_vgpr 1
		.amdhsa_next_free_sgpr 0
		.amdhsa_accum_offset 4
		.amdhsa_reserve_vcc 0
		.amdhsa_float_round_mode_32 0
		.amdhsa_float_round_mode_16_64 0
		.amdhsa_float_denorm_mode_32 3
		.amdhsa_float_denorm_mode_16_64 3
		.amdhsa_dx10_clamp 1
		.amdhsa_ieee_mode 1
		.amdhsa_fp16_overflow 0
		.amdhsa_tg_split 0
		.amdhsa_exception_fp_ieee_invalid_op 0
		.amdhsa_exception_fp_denorm_src 0
		.amdhsa_exception_fp_ieee_div_zero 0
		.amdhsa_exception_fp_ieee_overflow 0
		.amdhsa_exception_fp_ieee_underflow 0
		.amdhsa_exception_fp_ieee_inexact 0
		.amdhsa_exception_int_div_zero 0
	.end_amdhsa_kernel
	.section	.text._ZN7rocprim17ROCPRIM_400000_NS6detail17trampoline_kernelINS0_14default_configENS1_35adjacent_difference_config_selectorILb1EiEEZNS1_24adjacent_difference_implIS3_Lb1ELb0EPiS7_N6thrust23THRUST_200600_302600_NS4plusIiEEEE10hipError_tPvRmT2_T3_mT4_P12ihipStream_tbEUlT_E_NS1_11comp_targetILNS1_3genE10ELNS1_11target_archE1201ELNS1_3gpuE5ELNS1_3repE0EEENS1_30default_config_static_selectorELNS0_4arch9wavefront6targetE1EEEvT1_,"axG",@progbits,_ZN7rocprim17ROCPRIM_400000_NS6detail17trampoline_kernelINS0_14default_configENS1_35adjacent_difference_config_selectorILb1EiEEZNS1_24adjacent_difference_implIS3_Lb1ELb0EPiS7_N6thrust23THRUST_200600_302600_NS4plusIiEEEE10hipError_tPvRmT2_T3_mT4_P12ihipStream_tbEUlT_E_NS1_11comp_targetILNS1_3genE10ELNS1_11target_archE1201ELNS1_3gpuE5ELNS1_3repE0EEENS1_30default_config_static_selectorELNS0_4arch9wavefront6targetE1EEEvT1_,comdat
.Lfunc_end145:
	.size	_ZN7rocprim17ROCPRIM_400000_NS6detail17trampoline_kernelINS0_14default_configENS1_35adjacent_difference_config_selectorILb1EiEEZNS1_24adjacent_difference_implIS3_Lb1ELb0EPiS7_N6thrust23THRUST_200600_302600_NS4plusIiEEEE10hipError_tPvRmT2_T3_mT4_P12ihipStream_tbEUlT_E_NS1_11comp_targetILNS1_3genE10ELNS1_11target_archE1201ELNS1_3gpuE5ELNS1_3repE0EEENS1_30default_config_static_selectorELNS0_4arch9wavefront6targetE1EEEvT1_, .Lfunc_end145-_ZN7rocprim17ROCPRIM_400000_NS6detail17trampoline_kernelINS0_14default_configENS1_35adjacent_difference_config_selectorILb1EiEEZNS1_24adjacent_difference_implIS3_Lb1ELb0EPiS7_N6thrust23THRUST_200600_302600_NS4plusIiEEEE10hipError_tPvRmT2_T3_mT4_P12ihipStream_tbEUlT_E_NS1_11comp_targetILNS1_3genE10ELNS1_11target_archE1201ELNS1_3gpuE5ELNS1_3repE0EEENS1_30default_config_static_selectorELNS0_4arch9wavefront6targetE1EEEvT1_
                                        ; -- End function
	.section	.AMDGPU.csdata,"",@progbits
; Kernel info:
; codeLenInByte = 0
; NumSgprs: 6
; NumVgprs: 0
; NumAgprs: 0
; TotalNumVgprs: 0
; ScratchSize: 0
; MemoryBound: 0
; FloatMode: 240
; IeeeMode: 1
; LDSByteSize: 0 bytes/workgroup (compile time only)
; SGPRBlocks: 0
; VGPRBlocks: 0
; NumSGPRsForWavesPerEU: 6
; NumVGPRsForWavesPerEU: 1
; AccumOffset: 4
; Occupancy: 8
; WaveLimiterHint : 0
; COMPUTE_PGM_RSRC2:SCRATCH_EN: 0
; COMPUTE_PGM_RSRC2:USER_SGPR: 2
; COMPUTE_PGM_RSRC2:TRAP_HANDLER: 0
; COMPUTE_PGM_RSRC2:TGID_X_EN: 1
; COMPUTE_PGM_RSRC2:TGID_Y_EN: 0
; COMPUTE_PGM_RSRC2:TGID_Z_EN: 0
; COMPUTE_PGM_RSRC2:TIDIG_COMP_CNT: 0
; COMPUTE_PGM_RSRC3_GFX90A:ACCUM_OFFSET: 0
; COMPUTE_PGM_RSRC3_GFX90A:TG_SPLIT: 0
	.section	.text._ZN7rocprim17ROCPRIM_400000_NS6detail17trampoline_kernelINS0_14default_configENS1_35adjacent_difference_config_selectorILb1EiEEZNS1_24adjacent_difference_implIS3_Lb1ELb0EPiS7_N6thrust23THRUST_200600_302600_NS4plusIiEEEE10hipError_tPvRmT2_T3_mT4_P12ihipStream_tbEUlT_E_NS1_11comp_targetILNS1_3genE5ELNS1_11target_archE942ELNS1_3gpuE9ELNS1_3repE0EEENS1_30default_config_static_selectorELNS0_4arch9wavefront6targetE1EEEvT1_,"axG",@progbits,_ZN7rocprim17ROCPRIM_400000_NS6detail17trampoline_kernelINS0_14default_configENS1_35adjacent_difference_config_selectorILb1EiEEZNS1_24adjacent_difference_implIS3_Lb1ELb0EPiS7_N6thrust23THRUST_200600_302600_NS4plusIiEEEE10hipError_tPvRmT2_T3_mT4_P12ihipStream_tbEUlT_E_NS1_11comp_targetILNS1_3genE5ELNS1_11target_archE942ELNS1_3gpuE9ELNS1_3repE0EEENS1_30default_config_static_selectorELNS0_4arch9wavefront6targetE1EEEvT1_,comdat
	.protected	_ZN7rocprim17ROCPRIM_400000_NS6detail17trampoline_kernelINS0_14default_configENS1_35adjacent_difference_config_selectorILb1EiEEZNS1_24adjacent_difference_implIS3_Lb1ELb0EPiS7_N6thrust23THRUST_200600_302600_NS4plusIiEEEE10hipError_tPvRmT2_T3_mT4_P12ihipStream_tbEUlT_E_NS1_11comp_targetILNS1_3genE5ELNS1_11target_archE942ELNS1_3gpuE9ELNS1_3repE0EEENS1_30default_config_static_selectorELNS0_4arch9wavefront6targetE1EEEvT1_ ; -- Begin function _ZN7rocprim17ROCPRIM_400000_NS6detail17trampoline_kernelINS0_14default_configENS1_35adjacent_difference_config_selectorILb1EiEEZNS1_24adjacent_difference_implIS3_Lb1ELb0EPiS7_N6thrust23THRUST_200600_302600_NS4plusIiEEEE10hipError_tPvRmT2_T3_mT4_P12ihipStream_tbEUlT_E_NS1_11comp_targetILNS1_3genE5ELNS1_11target_archE942ELNS1_3gpuE9ELNS1_3repE0EEENS1_30default_config_static_selectorELNS0_4arch9wavefront6targetE1EEEvT1_
	.globl	_ZN7rocprim17ROCPRIM_400000_NS6detail17trampoline_kernelINS0_14default_configENS1_35adjacent_difference_config_selectorILb1EiEEZNS1_24adjacent_difference_implIS3_Lb1ELb0EPiS7_N6thrust23THRUST_200600_302600_NS4plusIiEEEE10hipError_tPvRmT2_T3_mT4_P12ihipStream_tbEUlT_E_NS1_11comp_targetILNS1_3genE5ELNS1_11target_archE942ELNS1_3gpuE9ELNS1_3repE0EEENS1_30default_config_static_selectorELNS0_4arch9wavefront6targetE1EEEvT1_
	.p2align	8
	.type	_ZN7rocprim17ROCPRIM_400000_NS6detail17trampoline_kernelINS0_14default_configENS1_35adjacent_difference_config_selectorILb1EiEEZNS1_24adjacent_difference_implIS3_Lb1ELb0EPiS7_N6thrust23THRUST_200600_302600_NS4plusIiEEEE10hipError_tPvRmT2_T3_mT4_P12ihipStream_tbEUlT_E_NS1_11comp_targetILNS1_3genE5ELNS1_11target_archE942ELNS1_3gpuE9ELNS1_3repE0EEENS1_30default_config_static_selectorELNS0_4arch9wavefront6targetE1EEEvT1_,@function
_ZN7rocprim17ROCPRIM_400000_NS6detail17trampoline_kernelINS0_14default_configENS1_35adjacent_difference_config_selectorILb1EiEEZNS1_24adjacent_difference_implIS3_Lb1ELb0EPiS7_N6thrust23THRUST_200600_302600_NS4plusIiEEEE10hipError_tPvRmT2_T3_mT4_P12ihipStream_tbEUlT_E_NS1_11comp_targetILNS1_3genE5ELNS1_11target_archE942ELNS1_3gpuE9ELNS1_3repE0EEENS1_30default_config_static_selectorELNS0_4arch9wavefront6targetE1EEEvT1_: ; @_ZN7rocprim17ROCPRIM_400000_NS6detail17trampoline_kernelINS0_14default_configENS1_35adjacent_difference_config_selectorILb1EiEEZNS1_24adjacent_difference_implIS3_Lb1ELb0EPiS7_N6thrust23THRUST_200600_302600_NS4plusIiEEEE10hipError_tPvRmT2_T3_mT4_P12ihipStream_tbEUlT_E_NS1_11comp_targetILNS1_3genE5ELNS1_11target_archE942ELNS1_3gpuE9ELNS1_3repE0EEENS1_30default_config_static_selectorELNS0_4arch9wavefront6targetE1EEEvT1_
; %bb.0:
	s_load_dwordx8 s[4:11], s[0:1], 0x0
	s_load_dwordx4 s[12:15], s[0:1], 0x28
	s_mov_b32 s0, 0x59999780
	s_movk_i32 s16, 0xa00
	s_mov_b32 s3, 0
	s_waitcnt lgkmcnt(0)
	s_lshl_b64 s[6:7], s[6:7], 2
	s_add_u32 s26, s4, s6
	s_addc_u32 s27, s5, s7
	s_add_u32 s0, 0xe0, s0
	s_addc_u32 s5, 0, 0
	v_add_co_u32_e64 v1, s[0:1], s0, 2.0
	s_cmp_lg_u64 s[0:1], 0
	s_addc_u32 s0, s5, 0x199999
	v_readfirstlane_b32 s5, v1
	s_mul_hi_u32 s17, s5, 0xfffff600
	s_mul_i32 s1, s0, 0xfffff600
	s_sub_i32 s17, s17, s5
	s_add_i32 s17, s17, s1
	s_mul_i32 s19, s5, 0xfffff600
	s_mul_hi_u32 s1, s5, s17
	s_mul_i32 s18, s5, s17
	s_mul_hi_u32 s5, s5, s19
	s_add_u32 s5, s5, s18
	s_addc_u32 s1, 0, s1
	s_mul_hi_u32 s20, s0, s19
	s_mul_i32 s19, s0, s19
	s_add_u32 s5, s5, s19
	s_mul_hi_u32 s18, s0, s17
	s_addc_u32 s1, s1, s20
	s_addc_u32 s5, s18, 0
	s_mul_i32 s17, s0, s17
	s_add_u32 s1, s1, s17
	s_addc_u32 s5, 0, s5
	v_add_co_u32_e32 v1, vcc, s1, v1
	s_cmp_lg_u64 vcc, 0
	s_addc_u32 s0, s0, s5
	v_readfirstlane_b32 s17, v1
	s_mul_i32 s5, s10, s0
	s_mul_hi_u32 s18, s10, s17
	s_mul_hi_u32 s1, s10, s0
	s_add_u32 s5, s18, s5
	s_addc_u32 s1, 0, s1
	s_mul_hi_u32 s19, s11, s17
	s_mul_i32 s17, s11, s17
	s_add_u32 s5, s5, s17
	s_mul_hi_u32 s18, s11, s0
	s_addc_u32 s1, s1, s19
	s_addc_u32 s5, s18, 0
	s_mul_i32 s0, s11, s0
	s_add_u32 s0, s1, s0
	s_addc_u32 s1, 0, s5
	s_add_u32 s5, s0, 1
	s_addc_u32 s17, s1, 0
	s_add_u32 s18, s0, 2
	s_mul_i32 s20, s1, 0xa00
	s_mul_hi_u32 s21, s0, 0xa00
	s_addc_u32 s19, s1, 0
	s_add_i32 s21, s21, s20
	s_mul_i32 s20, s0, 0xa00
	v_mov_b32_e32 v1, s20
	v_sub_co_u32_e32 v1, vcc, s10, v1
	s_cmp_lg_u64 vcc, 0
	s_subb_u32 s20, s11, s21
	v_subrev_co_u32_e32 v2, vcc, s16, v1
	s_cmp_lg_u64 vcc, 0
	s_subb_u32 s16, s20, 0
	v_readfirstlane_b32 s21, v2
	s_cmpk_gt_u32 s21, 0x9ff
	s_cselect_b32 s21, -1, 0
	s_cmp_eq_u32 s16, 0
	s_cselect_b32 s16, s21, -1
	s_cmp_lg_u32 s16, 0
	s_cselect_b32 s16, s19, s17
	v_readfirstlane_b32 s17, v1
	s_cselect_b32 s5, s18, s5
	s_cmpk_gt_u32 s17, 0x9ff
	s_cselect_b32 s17, -1, 0
	s_cmp_eq_u32 s20, 0
	s_cselect_b32 s17, s17, -1
	s_cmp_lg_u32 s17, 0
	s_cselect_b32 s17, s16, s1
	s_cselect_b32 s5, s5, s0
	s_mul_i32 s0, s17, 0xa00
	s_mul_hi_u32 s1, s5, 0xa00
	s_add_i32 s1, s1, s0
	s_mul_i32 s0, s5, 0xa00
	s_sub_u32 s0, s10, s0
	s_subb_u32 s1, s11, s1
	s_cmp_lg_u64 s[0:1], 0
	s_cselect_b64 s[0:1], -1, 0
	v_cndmask_b32_e64 v1, 0, 1, s[0:1]
	s_mul_i32 s4, s2, 0xa00
	v_readfirstlane_b32 s0, v1
	s_add_u32 s16, s5, s0
	s_addc_u32 s17, s17, 0
	s_add_u32 s18, s14, s2
	s_addc_u32 s19, s15, 0
	s_add_u32 s20, s16, -1
	s_addc_u32 s21, s17, -1
	v_mov_b64_e32 v[2:3], s[20:21]
	v_cmp_ge_u64_e64 s[0:1], s[18:19], v[2:3]
	s_mov_b64 s[22:23], -1
	s_and_b64 vcc, exec, s[0:1]
	s_mul_i32 s11, s20, 0xfffff600
	s_cbranch_vccz .LBB146_12
; %bb.1:
	s_mov_b32 s5, s3
	s_add_i32 s28, s11, s10
	s_lshl_b64 s[22:23], s[4:5], 2
	s_add_u32 s22, s26, s22
	s_addc_u32 s23, s27, s23
	v_cmp_gt_u32_e32 vcc, s28, v0
                                        ; implicit-def: $vgpr2_vgpr3_vgpr4_vgpr5_vgpr6
	s_and_saveexec_b64 s[24:25], vcc
	s_cbranch_execz .LBB146_3
; %bb.2:
	v_lshlrev_b32_e32 v1, 2, v0
	global_load_dword v2, v1, s[22:23]
.LBB146_3:
	s_or_b64 exec, exec, s[24:25]
	v_or_b32_e32 v1, 0x200, v0
	v_cmp_gt_u32_e32 vcc, s28, v1
	s_and_saveexec_b64 s[24:25], vcc
	s_cbranch_execz .LBB146_5
; %bb.4:
	v_lshlrev_b32_e32 v1, 2, v0
	global_load_dword v3, v1, s[22:23] offset:2048
.LBB146_5:
	s_or_b64 exec, exec, s[24:25]
	v_or_b32_e32 v1, 0x400, v0
	v_cmp_gt_u32_e32 vcc, s28, v1
	s_and_saveexec_b64 s[24:25], vcc
	s_cbranch_execz .LBB146_7
; %bb.6:
	v_lshlrev_b32_e32 v1, 2, v1
	global_load_dword v4, v1, s[22:23]
.LBB146_7:
	s_or_b64 exec, exec, s[24:25]
	v_or_b32_e32 v1, 0x600, v0
	v_cmp_gt_u32_e32 vcc, s28, v1
	s_and_saveexec_b64 s[24:25], vcc
	s_cbranch_execz .LBB146_9
; %bb.8:
	v_lshlrev_b32_e32 v1, 2, v1
	global_load_dword v5, v1, s[22:23]
.LBB146_9:
	;; [unrolled: 9-line block ×3, first 2 shown]
	s_or_b64 exec, exec, s[24:25]
	v_lshlrev_b32_e32 v1, 2, v0
	s_mov_b64 s[22:23], 0
	s_waitcnt vmcnt(0)
	ds_write2st64_b32 v1, v2, v3 offset1:8
	ds_write2st64_b32 v1, v4, v5 offset0:16 offset1:24
	ds_write_b32 v1, v6 offset:8192
	s_waitcnt lgkmcnt(0)
	s_barrier
.LBB146_12:
	s_and_b64 vcc, exec, s[22:23]
	v_lshlrev_b32_e32 v20, 2, v0
	s_cbranch_vccz .LBB146_14
; %bb.13:
	s_mov_b32 s5, 0
	s_lshl_b64 s[22:23], s[4:5], 2
	s_add_u32 s22, s26, s22
	s_addc_u32 s23, s27, s23
	v_mov_b32_e32 v21, 0
	v_lshl_add_u64 v[2:3], s[22:23], 0, v[20:21]
	v_add_co_u32_e32 v4, vcc, 0x1000, v2
	global_load_dword v1, v20, s[22:23]
	global_load_dword v6, v20, s[22:23] offset:2048
	v_addc_co_u32_e32 v5, vcc, 0, v3, vcc
	global_load_dword v7, v[4:5], off
	global_load_dword v8, v[4:5], off offset:2048
	v_add_co_u32_e32 v2, vcc, 0x2000, v2
	s_nop 1
	v_addc_co_u32_e32 v3, vcc, 0, v3, vcc
	global_load_dword v2, v[2:3], off
	s_waitcnt vmcnt(3)
	ds_write2st64_b32 v20, v1, v6 offset1:8
	s_waitcnt vmcnt(1)
	ds_write2st64_b32 v20, v7, v8 offset0:16 offset1:24
	s_waitcnt vmcnt(0)
	ds_write_b32 v20, v2 offset:8192
	s_waitcnt lgkmcnt(0)
	s_barrier
.LBB146_14:
	v_mul_u32_u24_e32 v1, 5, v0
	v_lshlrev_b32_e32 v1, 2, v1
	ds_read_b32 v2, v1
	ds_read2_b32 v[22:23], v1 offset0:1 offset1:2
	ds_read2_b32 v[24:25], v1 offset0:3 offset1:4
	s_cmp_eq_u64 s[18:19], 0
	s_waitcnt lgkmcnt(0)
	s_barrier
	s_cbranch_scc1 .LBB146_19
; %bb.15:
	s_lshl_b64 s[14:15], s[14:15], 2
	s_add_u32 s5, s12, s14
	s_addc_u32 s12, s13, s15
	s_lshl_b64 s[2:3], s[2:3], 2
	s_add_u32 s2, s5, s2
	s_addc_u32 s3, s12, s3
	s_add_u32 s2, s2, -4
	s_addc_u32 s3, s3, -1
	s_load_dword s5, s[2:3], 0x0
	s_cmp_eq_u64 s[18:19], s[20:21]
	s_cbranch_scc1 .LBB146_20
; %bb.16:
	v_cmp_ne_u32_e32 vcc, 0, v0
	s_waitcnt lgkmcnt(0)
	v_mov_b32_e32 v1, s5
	ds_write_b32 v20, v25
	s_waitcnt lgkmcnt(0)
	s_barrier
	s_and_saveexec_b64 s[2:3], vcc
	s_cbranch_execz .LBB146_18
; %bb.17:
	v_add_u32_e32 v1, -4, v20
	ds_read_b32 v1, v1
.LBB146_18:
	s_or_b64 exec, exec, s[2:3]
	v_add_u32_e32 v8, v25, v24
	v_add_u32_e32 v9, v24, v23
	;; [unrolled: 1-line block ×4, first 2 shown]
	s_cbranch_execz .LBB146_21
	s_branch .LBB146_24
.LBB146_19:
                                        ; implicit-def: $vgpr14_vgpr15_vgpr16_vgpr17_vgpr18
                                        ; implicit-def: $vgpr10_vgpr11_vgpr12_vgpr13_vgpr14
	s_mov_b64 s[12:13], 0
                                        ; implicit-def: $vgpr6_vgpr7_vgpr8_vgpr9_vgpr10
                                        ; implicit-def: $vgpr1
                                        ; implicit-def: $vgpr4_vgpr5_vgpr6_vgpr7_vgpr8
	s_branch .LBB146_25
.LBB146_20:
                                        ; implicit-def: $vgpr14_vgpr15_vgpr16_vgpr17_vgpr18
                                        ; implicit-def: $vgpr10_vgpr11_vgpr12_vgpr13_vgpr14
                                        ; implicit-def: $vgpr1
                                        ; implicit-def: $vgpr6_vgpr7_vgpr8_vgpr9_vgpr10
                                        ; implicit-def: $vgpr4_vgpr5_vgpr6_vgpr7_vgpr8
.LBB146_21:
	s_waitcnt lgkmcnt(0)
	v_mul_u32_u24_e32 v1, 5, v0
	v_cmp_ne_u32_e32 vcc, 0, v0
	v_mov_b32_e32 v3, s5
	ds_write_b32 v20, v25
	s_waitcnt lgkmcnt(0)
	s_barrier
	s_and_saveexec_b64 s[2:3], vcc
	s_cbranch_execz .LBB146_23
; %bb.22:
	v_add_u32_e32 v3, -4, v20
	ds_read_b32 v3, v3
.LBB146_23:
	s_or_b64 exec, exec, s[2:3]
	s_mul_i32 s2, s18, 0xfffff600
	s_add_i32 s2, s2, s10
	v_add_u32_e32 v4, 4, v1
	v_add_u32_e32 v5, v25, v24
	v_cmp_gt_u32_e32 vcc, s2, v4
	v_add_u32_e32 v4, 3, v1
	s_nop 0
	v_cndmask_b32_e32 v8, v25, v5, vcc
	v_add_u32_e32 v5, v24, v23
	v_cmp_gt_u32_e32 vcc, s2, v4
	v_add_u32_e32 v4, 2, v1
	s_nop 0
	v_cndmask_b32_e32 v9, v24, v5, vcc
	;; [unrolled: 5-line block ×3, first 2 shown]
	v_add_u32_e32 v5, v22, v2
	v_cmp_gt_u32_e32 vcc, s2, v4
	s_nop 1
	v_cndmask_b32_e32 v15, v22, v5, vcc
	v_cmp_gt_u32_e32 vcc, s2, v1
	s_waitcnt lgkmcnt(0)
	s_nop 0
	v_cndmask_b32_e32 v1, 0, v3, vcc
.LBB146_24:
	s_mov_b64 s[12:13], -1
	s_cbranch_execnz .LBB146_33
.LBB146_25:
	s_cmp_lg_u64 s[16:17], 1
	v_add_u32_e32 v9, v24, v23
	v_add_u32_e32 v8, v25, v24
	;; [unrolled: 1-line block ×4, first 2 shown]
	v_cmp_ne_u32_e32 vcc, 0, v0
	s_cbranch_scc0 .LBB146_29
; %bb.26:
	ds_write_b32 v20, v25
	s_waitcnt lgkmcnt(0)
	s_barrier
	s_waitcnt lgkmcnt(0)
                                        ; implicit-def: $vgpr1
	s_and_saveexec_b64 s[2:3], vcc
	s_cbranch_execz .LBB146_28
; %bb.27:
	v_add_u32_e32 v1, -4, v20
	ds_read_b32 v1, v1
	s_or_b64 s[12:13], s[12:13], exec
.LBB146_28:
	s_or_b64 exec, exec, s[2:3]
	s_branch .LBB146_33
.LBB146_29:
                                        ; implicit-def: $vgpr1
	s_cbranch_execz .LBB146_33
; %bb.30:
	v_mad_u32_u24 v3, v0, 5, 4
	v_cmp_gt_u32_e32 vcc, s10, v3
	v_mad_u32_u24 v3, v0, 5, 3
	s_waitcnt lgkmcnt(0)
	v_mul_u32_u24_e32 v1, 5, v0
	v_cndmask_b32_e32 v8, v25, v8, vcc
	v_cmp_gt_u32_e32 vcc, s10, v3
	v_mad_u32_u24 v3, v0, 5, 2
	v_cmp_gt_u32_e64 s[2:3], s10, v1
	v_cndmask_b32_e32 v9, v24, v9, vcc
	v_cmp_gt_u32_e32 vcc, s10, v3
	v_mad_u32_u24 v3, v0, 5, 1
	ds_write_b32 v20, v25
	v_cndmask_b32_e32 v12, v23, v12, vcc
	v_cmp_gt_u32_e32 vcc, s10, v3
	s_waitcnt lgkmcnt(0)
	s_barrier
	v_cndmask_b32_e32 v15, v22, v15, vcc
	v_cmp_ne_u32_e32 vcc, 0, v0
	s_and_b64 s[14:15], vcc, s[2:3]
	s_waitcnt lgkmcnt(0)
                                        ; implicit-def: $vgpr1
	s_and_saveexec_b64 s[2:3], s[14:15]
	s_cbranch_execz .LBB146_32
; %bb.31:
	v_add_u32_e32 v1, -4, v20
	ds_read_b32 v1, v1
	s_or_b64 s[12:13], s[12:13], exec
.LBB146_32:
	s_or_b64 exec, exec, s[2:3]
.LBB146_33:
	s_and_saveexec_b64 s[2:3], s[12:13]
	s_cbranch_execz .LBB146_35
; %bb.34:
	s_waitcnt lgkmcnt(0)
	v_add_u32_e32 v2, v1, v2
.LBB146_35:
	s_or_b64 exec, exec, s[2:3]
	s_add_u32 s6, s8, s6
	s_addc_u32 s7, s9, s7
	s_and_b64 vcc, exec, s[0:1]
	s_waitcnt lgkmcnt(0)
	v_mul_u32_u24_e32 v1, 20, v0
	v_lshlrev_b32_e32 v3, 4, v0
	s_barrier
	s_cbranch_vccz .LBB146_45
; %bb.36:
	v_sub_u32_e32 v4, v1, v3
	s_mov_b32 s5, 0
	ds_write2_b32 v1, v2, v15 offset1:1
	ds_write2_b32 v1, v12, v9 offset0:2 offset1:3
	ds_write_b32 v1, v8 offset:16
	s_waitcnt lgkmcnt(0)
	s_barrier
	ds_read2st64_b32 v[10:11], v4 offset0:8 offset1:16
	ds_read2st64_b32 v[4:5], v4 offset0:24 offset1:32
	s_add_i32 s11, s11, s10
	s_lshl_b64 s[0:1], s[4:5], 2
	s_add_u32 s0, s6, s0
	s_addc_u32 s1, s7, s1
	v_mov_b32_e32 v21, 0
	v_lshl_add_u64 v[6:7], s[0:1], 0, v[20:21]
	v_cmp_gt_u32_e32 vcc, s11, v0
	s_and_saveexec_b64 s[0:1], vcc
	s_cbranch_execz .LBB146_38
; %bb.37:
	v_sub_u32_e32 v13, 0, v3
	v_add_u32_e32 v13, v1, v13
	ds_read_b32 v13, v13
	s_waitcnt lgkmcnt(0)
	global_store_dword v[6:7], v13, off
.LBB146_38:
	s_or_b64 exec, exec, s[0:1]
	v_or_b32_e32 v13, 0x200, v0
	v_cmp_gt_u32_e32 vcc, s11, v13
	s_and_saveexec_b64 s[0:1], vcc
	s_cbranch_execz .LBB146_40
; %bb.39:
	s_waitcnt lgkmcnt(1)
	global_store_dword v[6:7], v10, off offset:2048
.LBB146_40:
	s_or_b64 exec, exec, s[0:1]
	s_waitcnt lgkmcnt(1)
	v_or_b32_e32 v10, 0x400, v0
	v_cmp_gt_u32_e32 vcc, s11, v10
	s_and_saveexec_b64 s[0:1], vcc
	s_cbranch_execz .LBB146_42
; %bb.41:
	v_add_co_u32_e32 v16, vcc, 0x1000, v6
	s_nop 1
	v_addc_co_u32_e32 v17, vcc, 0, v7, vcc
	global_store_dword v[16:17], v11, off
.LBB146_42:
	s_or_b64 exec, exec, s[0:1]
	v_or_b32_e32 v10, 0x600, v0
	v_cmp_gt_u32_e32 vcc, s11, v10
	s_and_saveexec_b64 s[0:1], vcc
	s_cbranch_execz .LBB146_44
; %bb.43:
	v_add_co_u32_e32 v10, vcc, 0x1000, v6
	s_nop 1
	v_addc_co_u32_e32 v11, vcc, 0, v7, vcc
	s_waitcnt lgkmcnt(0)
	global_store_dword v[10:11], v4, off offset:2048
.LBB146_44:
	s_or_b64 exec, exec, s[0:1]
	v_or_b32_e32 v0, 0x800, v0
	v_cmp_gt_u32_e64 s[0:1], s11, v0
	s_branch .LBB146_47
.LBB146_45:
	s_mov_b64 s[0:1], 0
                                        ; implicit-def: $vgpr5
                                        ; implicit-def: $vgpr6_vgpr7
	s_cbranch_execz .LBB146_47
; %bb.46:
	s_mov_b32 s5, 0
	s_lshl_b64 s[2:3], s[4:5], 2
	s_waitcnt lgkmcnt(0)
	v_sub_u32_e32 v4, v1, v3
	s_add_u32 s2, s6, s2
	ds_write2_b32 v1, v2, v15 offset1:1
	ds_write2_b32 v1, v12, v9 offset0:2 offset1:3
	ds_write_b32 v1, v8 offset:16
	s_waitcnt lgkmcnt(0)
	s_barrier
	ds_read2st64_b32 v[0:1], v4 offset1:8
	ds_read2st64_b32 v[2:3], v4 offset0:16 offset1:24
	ds_read_b32 v5, v4 offset:8192
	s_addc_u32 s3, s7, s3
	v_mov_b32_e32 v21, 0
	v_lshl_add_u64 v[6:7], s[2:3], 0, v[20:21]
	s_waitcnt lgkmcnt(2)
	global_store_dword v20, v0, s[2:3]
	global_store_dword v20, v1, s[2:3] offset:2048
	v_add_co_u32_e32 v0, vcc, 0x1000, v6
	s_or_b64 s[0:1], s[0:1], exec
	s_nop 0
	v_addc_co_u32_e32 v1, vcc, 0, v7, vcc
	s_waitcnt lgkmcnt(1)
	global_store_dword v[0:1], v2, off
	global_store_dword v[0:1], v3, off offset:2048
.LBB146_47:
	s_and_saveexec_b64 s[2:3], s[0:1]
	s_cbranch_execnz .LBB146_49
; %bb.48:
	s_endpgm
.LBB146_49:
	v_add_co_u32_e32 v0, vcc, 0x2000, v6
	s_nop 1
	v_addc_co_u32_e32 v1, vcc, 0, v7, vcc
	s_waitcnt lgkmcnt(0)
	global_store_dword v[0:1], v5, off
	s_endpgm
	.section	.rodata,"a",@progbits
	.p2align	6, 0x0
	.amdhsa_kernel _ZN7rocprim17ROCPRIM_400000_NS6detail17trampoline_kernelINS0_14default_configENS1_35adjacent_difference_config_selectorILb1EiEEZNS1_24adjacent_difference_implIS3_Lb1ELb0EPiS7_N6thrust23THRUST_200600_302600_NS4plusIiEEEE10hipError_tPvRmT2_T3_mT4_P12ihipStream_tbEUlT_E_NS1_11comp_targetILNS1_3genE5ELNS1_11target_archE942ELNS1_3gpuE9ELNS1_3repE0EEENS1_30default_config_static_selectorELNS0_4arch9wavefront6targetE1EEEvT1_
		.amdhsa_group_segment_fixed_size 10240
		.amdhsa_private_segment_fixed_size 0
		.amdhsa_kernarg_size 56
		.amdhsa_user_sgpr_count 2
		.amdhsa_user_sgpr_dispatch_ptr 0
		.amdhsa_user_sgpr_queue_ptr 0
		.amdhsa_user_sgpr_kernarg_segment_ptr 1
		.amdhsa_user_sgpr_dispatch_id 0
		.amdhsa_user_sgpr_kernarg_preload_length 0
		.amdhsa_user_sgpr_kernarg_preload_offset 0
		.amdhsa_user_sgpr_private_segment_size 0
		.amdhsa_uses_dynamic_stack 0
		.amdhsa_enable_private_segment 0
		.amdhsa_system_sgpr_workgroup_id_x 1
		.amdhsa_system_sgpr_workgroup_id_y 0
		.amdhsa_system_sgpr_workgroup_id_z 0
		.amdhsa_system_sgpr_workgroup_info 0
		.amdhsa_system_vgpr_workitem_id 0
		.amdhsa_next_free_vgpr 26
		.amdhsa_next_free_sgpr 29
		.amdhsa_accum_offset 28
		.amdhsa_reserve_vcc 1
		.amdhsa_float_round_mode_32 0
		.amdhsa_float_round_mode_16_64 0
		.amdhsa_float_denorm_mode_32 3
		.amdhsa_float_denorm_mode_16_64 3
		.amdhsa_dx10_clamp 1
		.amdhsa_ieee_mode 1
		.amdhsa_fp16_overflow 0
		.amdhsa_tg_split 0
		.amdhsa_exception_fp_ieee_invalid_op 0
		.amdhsa_exception_fp_denorm_src 0
		.amdhsa_exception_fp_ieee_div_zero 0
		.amdhsa_exception_fp_ieee_overflow 0
		.amdhsa_exception_fp_ieee_underflow 0
		.amdhsa_exception_fp_ieee_inexact 0
		.amdhsa_exception_int_div_zero 0
	.end_amdhsa_kernel
	.section	.text._ZN7rocprim17ROCPRIM_400000_NS6detail17trampoline_kernelINS0_14default_configENS1_35adjacent_difference_config_selectorILb1EiEEZNS1_24adjacent_difference_implIS3_Lb1ELb0EPiS7_N6thrust23THRUST_200600_302600_NS4plusIiEEEE10hipError_tPvRmT2_T3_mT4_P12ihipStream_tbEUlT_E_NS1_11comp_targetILNS1_3genE5ELNS1_11target_archE942ELNS1_3gpuE9ELNS1_3repE0EEENS1_30default_config_static_selectorELNS0_4arch9wavefront6targetE1EEEvT1_,"axG",@progbits,_ZN7rocprim17ROCPRIM_400000_NS6detail17trampoline_kernelINS0_14default_configENS1_35adjacent_difference_config_selectorILb1EiEEZNS1_24adjacent_difference_implIS3_Lb1ELb0EPiS7_N6thrust23THRUST_200600_302600_NS4plusIiEEEE10hipError_tPvRmT2_T3_mT4_P12ihipStream_tbEUlT_E_NS1_11comp_targetILNS1_3genE5ELNS1_11target_archE942ELNS1_3gpuE9ELNS1_3repE0EEENS1_30default_config_static_selectorELNS0_4arch9wavefront6targetE1EEEvT1_,comdat
.Lfunc_end146:
	.size	_ZN7rocprim17ROCPRIM_400000_NS6detail17trampoline_kernelINS0_14default_configENS1_35adjacent_difference_config_selectorILb1EiEEZNS1_24adjacent_difference_implIS3_Lb1ELb0EPiS7_N6thrust23THRUST_200600_302600_NS4plusIiEEEE10hipError_tPvRmT2_T3_mT4_P12ihipStream_tbEUlT_E_NS1_11comp_targetILNS1_3genE5ELNS1_11target_archE942ELNS1_3gpuE9ELNS1_3repE0EEENS1_30default_config_static_selectorELNS0_4arch9wavefront6targetE1EEEvT1_, .Lfunc_end146-_ZN7rocprim17ROCPRIM_400000_NS6detail17trampoline_kernelINS0_14default_configENS1_35adjacent_difference_config_selectorILb1EiEEZNS1_24adjacent_difference_implIS3_Lb1ELb0EPiS7_N6thrust23THRUST_200600_302600_NS4plusIiEEEE10hipError_tPvRmT2_T3_mT4_P12ihipStream_tbEUlT_E_NS1_11comp_targetILNS1_3genE5ELNS1_11target_archE942ELNS1_3gpuE9ELNS1_3repE0EEENS1_30default_config_static_selectorELNS0_4arch9wavefront6targetE1EEEvT1_
                                        ; -- End function
	.section	.AMDGPU.csdata,"",@progbits
; Kernel info:
; codeLenInByte = 2004
; NumSgprs: 35
; NumVgprs: 26
; NumAgprs: 0
; TotalNumVgprs: 26
; ScratchSize: 0
; MemoryBound: 0
; FloatMode: 240
; IeeeMode: 1
; LDSByteSize: 10240 bytes/workgroup (compile time only)
; SGPRBlocks: 4
; VGPRBlocks: 3
; NumSGPRsForWavesPerEU: 35
; NumVGPRsForWavesPerEU: 26
; AccumOffset: 28
; Occupancy: 8
; WaveLimiterHint : 1
; COMPUTE_PGM_RSRC2:SCRATCH_EN: 0
; COMPUTE_PGM_RSRC2:USER_SGPR: 2
; COMPUTE_PGM_RSRC2:TRAP_HANDLER: 0
; COMPUTE_PGM_RSRC2:TGID_X_EN: 1
; COMPUTE_PGM_RSRC2:TGID_Y_EN: 0
; COMPUTE_PGM_RSRC2:TGID_Z_EN: 0
; COMPUTE_PGM_RSRC2:TIDIG_COMP_CNT: 0
; COMPUTE_PGM_RSRC3_GFX90A:ACCUM_OFFSET: 6
; COMPUTE_PGM_RSRC3_GFX90A:TG_SPLIT: 0
	.section	.text._ZN7rocprim17ROCPRIM_400000_NS6detail17trampoline_kernelINS0_14default_configENS1_35adjacent_difference_config_selectorILb1EiEEZNS1_24adjacent_difference_implIS3_Lb1ELb0EPiS7_N6thrust23THRUST_200600_302600_NS4plusIiEEEE10hipError_tPvRmT2_T3_mT4_P12ihipStream_tbEUlT_E_NS1_11comp_targetILNS1_3genE4ELNS1_11target_archE910ELNS1_3gpuE8ELNS1_3repE0EEENS1_30default_config_static_selectorELNS0_4arch9wavefront6targetE1EEEvT1_,"axG",@progbits,_ZN7rocprim17ROCPRIM_400000_NS6detail17trampoline_kernelINS0_14default_configENS1_35adjacent_difference_config_selectorILb1EiEEZNS1_24adjacent_difference_implIS3_Lb1ELb0EPiS7_N6thrust23THRUST_200600_302600_NS4plusIiEEEE10hipError_tPvRmT2_T3_mT4_P12ihipStream_tbEUlT_E_NS1_11comp_targetILNS1_3genE4ELNS1_11target_archE910ELNS1_3gpuE8ELNS1_3repE0EEENS1_30default_config_static_selectorELNS0_4arch9wavefront6targetE1EEEvT1_,comdat
	.protected	_ZN7rocprim17ROCPRIM_400000_NS6detail17trampoline_kernelINS0_14default_configENS1_35adjacent_difference_config_selectorILb1EiEEZNS1_24adjacent_difference_implIS3_Lb1ELb0EPiS7_N6thrust23THRUST_200600_302600_NS4plusIiEEEE10hipError_tPvRmT2_T3_mT4_P12ihipStream_tbEUlT_E_NS1_11comp_targetILNS1_3genE4ELNS1_11target_archE910ELNS1_3gpuE8ELNS1_3repE0EEENS1_30default_config_static_selectorELNS0_4arch9wavefront6targetE1EEEvT1_ ; -- Begin function _ZN7rocprim17ROCPRIM_400000_NS6detail17trampoline_kernelINS0_14default_configENS1_35adjacent_difference_config_selectorILb1EiEEZNS1_24adjacent_difference_implIS3_Lb1ELb0EPiS7_N6thrust23THRUST_200600_302600_NS4plusIiEEEE10hipError_tPvRmT2_T3_mT4_P12ihipStream_tbEUlT_E_NS1_11comp_targetILNS1_3genE4ELNS1_11target_archE910ELNS1_3gpuE8ELNS1_3repE0EEENS1_30default_config_static_selectorELNS0_4arch9wavefront6targetE1EEEvT1_
	.globl	_ZN7rocprim17ROCPRIM_400000_NS6detail17trampoline_kernelINS0_14default_configENS1_35adjacent_difference_config_selectorILb1EiEEZNS1_24adjacent_difference_implIS3_Lb1ELb0EPiS7_N6thrust23THRUST_200600_302600_NS4plusIiEEEE10hipError_tPvRmT2_T3_mT4_P12ihipStream_tbEUlT_E_NS1_11comp_targetILNS1_3genE4ELNS1_11target_archE910ELNS1_3gpuE8ELNS1_3repE0EEENS1_30default_config_static_selectorELNS0_4arch9wavefront6targetE1EEEvT1_
	.p2align	8
	.type	_ZN7rocprim17ROCPRIM_400000_NS6detail17trampoline_kernelINS0_14default_configENS1_35adjacent_difference_config_selectorILb1EiEEZNS1_24adjacent_difference_implIS3_Lb1ELb0EPiS7_N6thrust23THRUST_200600_302600_NS4plusIiEEEE10hipError_tPvRmT2_T3_mT4_P12ihipStream_tbEUlT_E_NS1_11comp_targetILNS1_3genE4ELNS1_11target_archE910ELNS1_3gpuE8ELNS1_3repE0EEENS1_30default_config_static_selectorELNS0_4arch9wavefront6targetE1EEEvT1_,@function
_ZN7rocprim17ROCPRIM_400000_NS6detail17trampoline_kernelINS0_14default_configENS1_35adjacent_difference_config_selectorILb1EiEEZNS1_24adjacent_difference_implIS3_Lb1ELb0EPiS7_N6thrust23THRUST_200600_302600_NS4plusIiEEEE10hipError_tPvRmT2_T3_mT4_P12ihipStream_tbEUlT_E_NS1_11comp_targetILNS1_3genE4ELNS1_11target_archE910ELNS1_3gpuE8ELNS1_3repE0EEENS1_30default_config_static_selectorELNS0_4arch9wavefront6targetE1EEEvT1_: ; @_ZN7rocprim17ROCPRIM_400000_NS6detail17trampoline_kernelINS0_14default_configENS1_35adjacent_difference_config_selectorILb1EiEEZNS1_24adjacent_difference_implIS3_Lb1ELb0EPiS7_N6thrust23THRUST_200600_302600_NS4plusIiEEEE10hipError_tPvRmT2_T3_mT4_P12ihipStream_tbEUlT_E_NS1_11comp_targetILNS1_3genE4ELNS1_11target_archE910ELNS1_3gpuE8ELNS1_3repE0EEENS1_30default_config_static_selectorELNS0_4arch9wavefront6targetE1EEEvT1_
; %bb.0:
	.section	.rodata,"a",@progbits
	.p2align	6, 0x0
	.amdhsa_kernel _ZN7rocprim17ROCPRIM_400000_NS6detail17trampoline_kernelINS0_14default_configENS1_35adjacent_difference_config_selectorILb1EiEEZNS1_24adjacent_difference_implIS3_Lb1ELb0EPiS7_N6thrust23THRUST_200600_302600_NS4plusIiEEEE10hipError_tPvRmT2_T3_mT4_P12ihipStream_tbEUlT_E_NS1_11comp_targetILNS1_3genE4ELNS1_11target_archE910ELNS1_3gpuE8ELNS1_3repE0EEENS1_30default_config_static_selectorELNS0_4arch9wavefront6targetE1EEEvT1_
		.amdhsa_group_segment_fixed_size 0
		.amdhsa_private_segment_fixed_size 0
		.amdhsa_kernarg_size 56
		.amdhsa_user_sgpr_count 2
		.amdhsa_user_sgpr_dispatch_ptr 0
		.amdhsa_user_sgpr_queue_ptr 0
		.amdhsa_user_sgpr_kernarg_segment_ptr 1
		.amdhsa_user_sgpr_dispatch_id 0
		.amdhsa_user_sgpr_kernarg_preload_length 0
		.amdhsa_user_sgpr_kernarg_preload_offset 0
		.amdhsa_user_sgpr_private_segment_size 0
		.amdhsa_uses_dynamic_stack 0
		.amdhsa_enable_private_segment 0
		.amdhsa_system_sgpr_workgroup_id_x 1
		.amdhsa_system_sgpr_workgroup_id_y 0
		.amdhsa_system_sgpr_workgroup_id_z 0
		.amdhsa_system_sgpr_workgroup_info 0
		.amdhsa_system_vgpr_workitem_id 0
		.amdhsa_next_free_vgpr 1
		.amdhsa_next_free_sgpr 0
		.amdhsa_accum_offset 4
		.amdhsa_reserve_vcc 0
		.amdhsa_float_round_mode_32 0
		.amdhsa_float_round_mode_16_64 0
		.amdhsa_float_denorm_mode_32 3
		.amdhsa_float_denorm_mode_16_64 3
		.amdhsa_dx10_clamp 1
		.amdhsa_ieee_mode 1
		.amdhsa_fp16_overflow 0
		.amdhsa_tg_split 0
		.amdhsa_exception_fp_ieee_invalid_op 0
		.amdhsa_exception_fp_denorm_src 0
		.amdhsa_exception_fp_ieee_div_zero 0
		.amdhsa_exception_fp_ieee_overflow 0
		.amdhsa_exception_fp_ieee_underflow 0
		.amdhsa_exception_fp_ieee_inexact 0
		.amdhsa_exception_int_div_zero 0
	.end_amdhsa_kernel
	.section	.text._ZN7rocprim17ROCPRIM_400000_NS6detail17trampoline_kernelINS0_14default_configENS1_35adjacent_difference_config_selectorILb1EiEEZNS1_24adjacent_difference_implIS3_Lb1ELb0EPiS7_N6thrust23THRUST_200600_302600_NS4plusIiEEEE10hipError_tPvRmT2_T3_mT4_P12ihipStream_tbEUlT_E_NS1_11comp_targetILNS1_3genE4ELNS1_11target_archE910ELNS1_3gpuE8ELNS1_3repE0EEENS1_30default_config_static_selectorELNS0_4arch9wavefront6targetE1EEEvT1_,"axG",@progbits,_ZN7rocprim17ROCPRIM_400000_NS6detail17trampoline_kernelINS0_14default_configENS1_35adjacent_difference_config_selectorILb1EiEEZNS1_24adjacent_difference_implIS3_Lb1ELb0EPiS7_N6thrust23THRUST_200600_302600_NS4plusIiEEEE10hipError_tPvRmT2_T3_mT4_P12ihipStream_tbEUlT_E_NS1_11comp_targetILNS1_3genE4ELNS1_11target_archE910ELNS1_3gpuE8ELNS1_3repE0EEENS1_30default_config_static_selectorELNS0_4arch9wavefront6targetE1EEEvT1_,comdat
.Lfunc_end147:
	.size	_ZN7rocprim17ROCPRIM_400000_NS6detail17trampoline_kernelINS0_14default_configENS1_35adjacent_difference_config_selectorILb1EiEEZNS1_24adjacent_difference_implIS3_Lb1ELb0EPiS7_N6thrust23THRUST_200600_302600_NS4plusIiEEEE10hipError_tPvRmT2_T3_mT4_P12ihipStream_tbEUlT_E_NS1_11comp_targetILNS1_3genE4ELNS1_11target_archE910ELNS1_3gpuE8ELNS1_3repE0EEENS1_30default_config_static_selectorELNS0_4arch9wavefront6targetE1EEEvT1_, .Lfunc_end147-_ZN7rocprim17ROCPRIM_400000_NS6detail17trampoline_kernelINS0_14default_configENS1_35adjacent_difference_config_selectorILb1EiEEZNS1_24adjacent_difference_implIS3_Lb1ELb0EPiS7_N6thrust23THRUST_200600_302600_NS4plusIiEEEE10hipError_tPvRmT2_T3_mT4_P12ihipStream_tbEUlT_E_NS1_11comp_targetILNS1_3genE4ELNS1_11target_archE910ELNS1_3gpuE8ELNS1_3repE0EEENS1_30default_config_static_selectorELNS0_4arch9wavefront6targetE1EEEvT1_
                                        ; -- End function
	.section	.AMDGPU.csdata,"",@progbits
; Kernel info:
; codeLenInByte = 0
; NumSgprs: 6
; NumVgprs: 0
; NumAgprs: 0
; TotalNumVgprs: 0
; ScratchSize: 0
; MemoryBound: 0
; FloatMode: 240
; IeeeMode: 1
; LDSByteSize: 0 bytes/workgroup (compile time only)
; SGPRBlocks: 0
; VGPRBlocks: 0
; NumSGPRsForWavesPerEU: 6
; NumVGPRsForWavesPerEU: 1
; AccumOffset: 4
; Occupancy: 8
; WaveLimiterHint : 0
; COMPUTE_PGM_RSRC2:SCRATCH_EN: 0
; COMPUTE_PGM_RSRC2:USER_SGPR: 2
; COMPUTE_PGM_RSRC2:TRAP_HANDLER: 0
; COMPUTE_PGM_RSRC2:TGID_X_EN: 1
; COMPUTE_PGM_RSRC2:TGID_Y_EN: 0
; COMPUTE_PGM_RSRC2:TGID_Z_EN: 0
; COMPUTE_PGM_RSRC2:TIDIG_COMP_CNT: 0
; COMPUTE_PGM_RSRC3_GFX90A:ACCUM_OFFSET: 0
; COMPUTE_PGM_RSRC3_GFX90A:TG_SPLIT: 0
	.section	.text._ZN7rocprim17ROCPRIM_400000_NS6detail17trampoline_kernelINS0_14default_configENS1_35adjacent_difference_config_selectorILb1EiEEZNS1_24adjacent_difference_implIS3_Lb1ELb0EPiS7_N6thrust23THRUST_200600_302600_NS4plusIiEEEE10hipError_tPvRmT2_T3_mT4_P12ihipStream_tbEUlT_E_NS1_11comp_targetILNS1_3genE3ELNS1_11target_archE908ELNS1_3gpuE7ELNS1_3repE0EEENS1_30default_config_static_selectorELNS0_4arch9wavefront6targetE1EEEvT1_,"axG",@progbits,_ZN7rocprim17ROCPRIM_400000_NS6detail17trampoline_kernelINS0_14default_configENS1_35adjacent_difference_config_selectorILb1EiEEZNS1_24adjacent_difference_implIS3_Lb1ELb0EPiS7_N6thrust23THRUST_200600_302600_NS4plusIiEEEE10hipError_tPvRmT2_T3_mT4_P12ihipStream_tbEUlT_E_NS1_11comp_targetILNS1_3genE3ELNS1_11target_archE908ELNS1_3gpuE7ELNS1_3repE0EEENS1_30default_config_static_selectorELNS0_4arch9wavefront6targetE1EEEvT1_,comdat
	.protected	_ZN7rocprim17ROCPRIM_400000_NS6detail17trampoline_kernelINS0_14default_configENS1_35adjacent_difference_config_selectorILb1EiEEZNS1_24adjacent_difference_implIS3_Lb1ELb0EPiS7_N6thrust23THRUST_200600_302600_NS4plusIiEEEE10hipError_tPvRmT2_T3_mT4_P12ihipStream_tbEUlT_E_NS1_11comp_targetILNS1_3genE3ELNS1_11target_archE908ELNS1_3gpuE7ELNS1_3repE0EEENS1_30default_config_static_selectorELNS0_4arch9wavefront6targetE1EEEvT1_ ; -- Begin function _ZN7rocprim17ROCPRIM_400000_NS6detail17trampoline_kernelINS0_14default_configENS1_35adjacent_difference_config_selectorILb1EiEEZNS1_24adjacent_difference_implIS3_Lb1ELb0EPiS7_N6thrust23THRUST_200600_302600_NS4plusIiEEEE10hipError_tPvRmT2_T3_mT4_P12ihipStream_tbEUlT_E_NS1_11comp_targetILNS1_3genE3ELNS1_11target_archE908ELNS1_3gpuE7ELNS1_3repE0EEENS1_30default_config_static_selectorELNS0_4arch9wavefront6targetE1EEEvT1_
	.globl	_ZN7rocprim17ROCPRIM_400000_NS6detail17trampoline_kernelINS0_14default_configENS1_35adjacent_difference_config_selectorILb1EiEEZNS1_24adjacent_difference_implIS3_Lb1ELb0EPiS7_N6thrust23THRUST_200600_302600_NS4plusIiEEEE10hipError_tPvRmT2_T3_mT4_P12ihipStream_tbEUlT_E_NS1_11comp_targetILNS1_3genE3ELNS1_11target_archE908ELNS1_3gpuE7ELNS1_3repE0EEENS1_30default_config_static_selectorELNS0_4arch9wavefront6targetE1EEEvT1_
	.p2align	8
	.type	_ZN7rocprim17ROCPRIM_400000_NS6detail17trampoline_kernelINS0_14default_configENS1_35adjacent_difference_config_selectorILb1EiEEZNS1_24adjacent_difference_implIS3_Lb1ELb0EPiS7_N6thrust23THRUST_200600_302600_NS4plusIiEEEE10hipError_tPvRmT2_T3_mT4_P12ihipStream_tbEUlT_E_NS1_11comp_targetILNS1_3genE3ELNS1_11target_archE908ELNS1_3gpuE7ELNS1_3repE0EEENS1_30default_config_static_selectorELNS0_4arch9wavefront6targetE1EEEvT1_,@function
_ZN7rocprim17ROCPRIM_400000_NS6detail17trampoline_kernelINS0_14default_configENS1_35adjacent_difference_config_selectorILb1EiEEZNS1_24adjacent_difference_implIS3_Lb1ELb0EPiS7_N6thrust23THRUST_200600_302600_NS4plusIiEEEE10hipError_tPvRmT2_T3_mT4_P12ihipStream_tbEUlT_E_NS1_11comp_targetILNS1_3genE3ELNS1_11target_archE908ELNS1_3gpuE7ELNS1_3repE0EEENS1_30default_config_static_selectorELNS0_4arch9wavefront6targetE1EEEvT1_: ; @_ZN7rocprim17ROCPRIM_400000_NS6detail17trampoline_kernelINS0_14default_configENS1_35adjacent_difference_config_selectorILb1EiEEZNS1_24adjacent_difference_implIS3_Lb1ELb0EPiS7_N6thrust23THRUST_200600_302600_NS4plusIiEEEE10hipError_tPvRmT2_T3_mT4_P12ihipStream_tbEUlT_E_NS1_11comp_targetILNS1_3genE3ELNS1_11target_archE908ELNS1_3gpuE7ELNS1_3repE0EEENS1_30default_config_static_selectorELNS0_4arch9wavefront6targetE1EEEvT1_
; %bb.0:
	.section	.rodata,"a",@progbits
	.p2align	6, 0x0
	.amdhsa_kernel _ZN7rocprim17ROCPRIM_400000_NS6detail17trampoline_kernelINS0_14default_configENS1_35adjacent_difference_config_selectorILb1EiEEZNS1_24adjacent_difference_implIS3_Lb1ELb0EPiS7_N6thrust23THRUST_200600_302600_NS4plusIiEEEE10hipError_tPvRmT2_T3_mT4_P12ihipStream_tbEUlT_E_NS1_11comp_targetILNS1_3genE3ELNS1_11target_archE908ELNS1_3gpuE7ELNS1_3repE0EEENS1_30default_config_static_selectorELNS0_4arch9wavefront6targetE1EEEvT1_
		.amdhsa_group_segment_fixed_size 0
		.amdhsa_private_segment_fixed_size 0
		.amdhsa_kernarg_size 56
		.amdhsa_user_sgpr_count 2
		.amdhsa_user_sgpr_dispatch_ptr 0
		.amdhsa_user_sgpr_queue_ptr 0
		.amdhsa_user_sgpr_kernarg_segment_ptr 1
		.amdhsa_user_sgpr_dispatch_id 0
		.amdhsa_user_sgpr_kernarg_preload_length 0
		.amdhsa_user_sgpr_kernarg_preload_offset 0
		.amdhsa_user_sgpr_private_segment_size 0
		.amdhsa_uses_dynamic_stack 0
		.amdhsa_enable_private_segment 0
		.amdhsa_system_sgpr_workgroup_id_x 1
		.amdhsa_system_sgpr_workgroup_id_y 0
		.amdhsa_system_sgpr_workgroup_id_z 0
		.amdhsa_system_sgpr_workgroup_info 0
		.amdhsa_system_vgpr_workitem_id 0
		.amdhsa_next_free_vgpr 1
		.amdhsa_next_free_sgpr 0
		.amdhsa_accum_offset 4
		.amdhsa_reserve_vcc 0
		.amdhsa_float_round_mode_32 0
		.amdhsa_float_round_mode_16_64 0
		.amdhsa_float_denorm_mode_32 3
		.amdhsa_float_denorm_mode_16_64 3
		.amdhsa_dx10_clamp 1
		.amdhsa_ieee_mode 1
		.amdhsa_fp16_overflow 0
		.amdhsa_tg_split 0
		.amdhsa_exception_fp_ieee_invalid_op 0
		.amdhsa_exception_fp_denorm_src 0
		.amdhsa_exception_fp_ieee_div_zero 0
		.amdhsa_exception_fp_ieee_overflow 0
		.amdhsa_exception_fp_ieee_underflow 0
		.amdhsa_exception_fp_ieee_inexact 0
		.amdhsa_exception_int_div_zero 0
	.end_amdhsa_kernel
	.section	.text._ZN7rocprim17ROCPRIM_400000_NS6detail17trampoline_kernelINS0_14default_configENS1_35adjacent_difference_config_selectorILb1EiEEZNS1_24adjacent_difference_implIS3_Lb1ELb0EPiS7_N6thrust23THRUST_200600_302600_NS4plusIiEEEE10hipError_tPvRmT2_T3_mT4_P12ihipStream_tbEUlT_E_NS1_11comp_targetILNS1_3genE3ELNS1_11target_archE908ELNS1_3gpuE7ELNS1_3repE0EEENS1_30default_config_static_selectorELNS0_4arch9wavefront6targetE1EEEvT1_,"axG",@progbits,_ZN7rocprim17ROCPRIM_400000_NS6detail17trampoline_kernelINS0_14default_configENS1_35adjacent_difference_config_selectorILb1EiEEZNS1_24adjacent_difference_implIS3_Lb1ELb0EPiS7_N6thrust23THRUST_200600_302600_NS4plusIiEEEE10hipError_tPvRmT2_T3_mT4_P12ihipStream_tbEUlT_E_NS1_11comp_targetILNS1_3genE3ELNS1_11target_archE908ELNS1_3gpuE7ELNS1_3repE0EEENS1_30default_config_static_selectorELNS0_4arch9wavefront6targetE1EEEvT1_,comdat
.Lfunc_end148:
	.size	_ZN7rocprim17ROCPRIM_400000_NS6detail17trampoline_kernelINS0_14default_configENS1_35adjacent_difference_config_selectorILb1EiEEZNS1_24adjacent_difference_implIS3_Lb1ELb0EPiS7_N6thrust23THRUST_200600_302600_NS4plusIiEEEE10hipError_tPvRmT2_T3_mT4_P12ihipStream_tbEUlT_E_NS1_11comp_targetILNS1_3genE3ELNS1_11target_archE908ELNS1_3gpuE7ELNS1_3repE0EEENS1_30default_config_static_selectorELNS0_4arch9wavefront6targetE1EEEvT1_, .Lfunc_end148-_ZN7rocprim17ROCPRIM_400000_NS6detail17trampoline_kernelINS0_14default_configENS1_35adjacent_difference_config_selectorILb1EiEEZNS1_24adjacent_difference_implIS3_Lb1ELb0EPiS7_N6thrust23THRUST_200600_302600_NS4plusIiEEEE10hipError_tPvRmT2_T3_mT4_P12ihipStream_tbEUlT_E_NS1_11comp_targetILNS1_3genE3ELNS1_11target_archE908ELNS1_3gpuE7ELNS1_3repE0EEENS1_30default_config_static_selectorELNS0_4arch9wavefront6targetE1EEEvT1_
                                        ; -- End function
	.section	.AMDGPU.csdata,"",@progbits
; Kernel info:
; codeLenInByte = 0
; NumSgprs: 6
; NumVgprs: 0
; NumAgprs: 0
; TotalNumVgprs: 0
; ScratchSize: 0
; MemoryBound: 0
; FloatMode: 240
; IeeeMode: 1
; LDSByteSize: 0 bytes/workgroup (compile time only)
; SGPRBlocks: 0
; VGPRBlocks: 0
; NumSGPRsForWavesPerEU: 6
; NumVGPRsForWavesPerEU: 1
; AccumOffset: 4
; Occupancy: 8
; WaveLimiterHint : 0
; COMPUTE_PGM_RSRC2:SCRATCH_EN: 0
; COMPUTE_PGM_RSRC2:USER_SGPR: 2
; COMPUTE_PGM_RSRC2:TRAP_HANDLER: 0
; COMPUTE_PGM_RSRC2:TGID_X_EN: 1
; COMPUTE_PGM_RSRC2:TGID_Y_EN: 0
; COMPUTE_PGM_RSRC2:TGID_Z_EN: 0
; COMPUTE_PGM_RSRC2:TIDIG_COMP_CNT: 0
; COMPUTE_PGM_RSRC3_GFX90A:ACCUM_OFFSET: 0
; COMPUTE_PGM_RSRC3_GFX90A:TG_SPLIT: 0
	.section	.text._ZN7rocprim17ROCPRIM_400000_NS6detail17trampoline_kernelINS0_14default_configENS1_35adjacent_difference_config_selectorILb1EiEEZNS1_24adjacent_difference_implIS3_Lb1ELb0EPiS7_N6thrust23THRUST_200600_302600_NS4plusIiEEEE10hipError_tPvRmT2_T3_mT4_P12ihipStream_tbEUlT_E_NS1_11comp_targetILNS1_3genE2ELNS1_11target_archE906ELNS1_3gpuE6ELNS1_3repE0EEENS1_30default_config_static_selectorELNS0_4arch9wavefront6targetE1EEEvT1_,"axG",@progbits,_ZN7rocprim17ROCPRIM_400000_NS6detail17trampoline_kernelINS0_14default_configENS1_35adjacent_difference_config_selectorILb1EiEEZNS1_24adjacent_difference_implIS3_Lb1ELb0EPiS7_N6thrust23THRUST_200600_302600_NS4plusIiEEEE10hipError_tPvRmT2_T3_mT4_P12ihipStream_tbEUlT_E_NS1_11comp_targetILNS1_3genE2ELNS1_11target_archE906ELNS1_3gpuE6ELNS1_3repE0EEENS1_30default_config_static_selectorELNS0_4arch9wavefront6targetE1EEEvT1_,comdat
	.protected	_ZN7rocprim17ROCPRIM_400000_NS6detail17trampoline_kernelINS0_14default_configENS1_35adjacent_difference_config_selectorILb1EiEEZNS1_24adjacent_difference_implIS3_Lb1ELb0EPiS7_N6thrust23THRUST_200600_302600_NS4plusIiEEEE10hipError_tPvRmT2_T3_mT4_P12ihipStream_tbEUlT_E_NS1_11comp_targetILNS1_3genE2ELNS1_11target_archE906ELNS1_3gpuE6ELNS1_3repE0EEENS1_30default_config_static_selectorELNS0_4arch9wavefront6targetE1EEEvT1_ ; -- Begin function _ZN7rocprim17ROCPRIM_400000_NS6detail17trampoline_kernelINS0_14default_configENS1_35adjacent_difference_config_selectorILb1EiEEZNS1_24adjacent_difference_implIS3_Lb1ELb0EPiS7_N6thrust23THRUST_200600_302600_NS4plusIiEEEE10hipError_tPvRmT2_T3_mT4_P12ihipStream_tbEUlT_E_NS1_11comp_targetILNS1_3genE2ELNS1_11target_archE906ELNS1_3gpuE6ELNS1_3repE0EEENS1_30default_config_static_selectorELNS0_4arch9wavefront6targetE1EEEvT1_
	.globl	_ZN7rocprim17ROCPRIM_400000_NS6detail17trampoline_kernelINS0_14default_configENS1_35adjacent_difference_config_selectorILb1EiEEZNS1_24adjacent_difference_implIS3_Lb1ELb0EPiS7_N6thrust23THRUST_200600_302600_NS4plusIiEEEE10hipError_tPvRmT2_T3_mT4_P12ihipStream_tbEUlT_E_NS1_11comp_targetILNS1_3genE2ELNS1_11target_archE906ELNS1_3gpuE6ELNS1_3repE0EEENS1_30default_config_static_selectorELNS0_4arch9wavefront6targetE1EEEvT1_
	.p2align	8
	.type	_ZN7rocprim17ROCPRIM_400000_NS6detail17trampoline_kernelINS0_14default_configENS1_35adjacent_difference_config_selectorILb1EiEEZNS1_24adjacent_difference_implIS3_Lb1ELb0EPiS7_N6thrust23THRUST_200600_302600_NS4plusIiEEEE10hipError_tPvRmT2_T3_mT4_P12ihipStream_tbEUlT_E_NS1_11comp_targetILNS1_3genE2ELNS1_11target_archE906ELNS1_3gpuE6ELNS1_3repE0EEENS1_30default_config_static_selectorELNS0_4arch9wavefront6targetE1EEEvT1_,@function
_ZN7rocprim17ROCPRIM_400000_NS6detail17trampoline_kernelINS0_14default_configENS1_35adjacent_difference_config_selectorILb1EiEEZNS1_24adjacent_difference_implIS3_Lb1ELb0EPiS7_N6thrust23THRUST_200600_302600_NS4plusIiEEEE10hipError_tPvRmT2_T3_mT4_P12ihipStream_tbEUlT_E_NS1_11comp_targetILNS1_3genE2ELNS1_11target_archE906ELNS1_3gpuE6ELNS1_3repE0EEENS1_30default_config_static_selectorELNS0_4arch9wavefront6targetE1EEEvT1_: ; @_ZN7rocprim17ROCPRIM_400000_NS6detail17trampoline_kernelINS0_14default_configENS1_35adjacent_difference_config_selectorILb1EiEEZNS1_24adjacent_difference_implIS3_Lb1ELb0EPiS7_N6thrust23THRUST_200600_302600_NS4plusIiEEEE10hipError_tPvRmT2_T3_mT4_P12ihipStream_tbEUlT_E_NS1_11comp_targetILNS1_3genE2ELNS1_11target_archE906ELNS1_3gpuE6ELNS1_3repE0EEENS1_30default_config_static_selectorELNS0_4arch9wavefront6targetE1EEEvT1_
; %bb.0:
	.section	.rodata,"a",@progbits
	.p2align	6, 0x0
	.amdhsa_kernel _ZN7rocprim17ROCPRIM_400000_NS6detail17trampoline_kernelINS0_14default_configENS1_35adjacent_difference_config_selectorILb1EiEEZNS1_24adjacent_difference_implIS3_Lb1ELb0EPiS7_N6thrust23THRUST_200600_302600_NS4plusIiEEEE10hipError_tPvRmT2_T3_mT4_P12ihipStream_tbEUlT_E_NS1_11comp_targetILNS1_3genE2ELNS1_11target_archE906ELNS1_3gpuE6ELNS1_3repE0EEENS1_30default_config_static_selectorELNS0_4arch9wavefront6targetE1EEEvT1_
		.amdhsa_group_segment_fixed_size 0
		.amdhsa_private_segment_fixed_size 0
		.amdhsa_kernarg_size 56
		.amdhsa_user_sgpr_count 2
		.amdhsa_user_sgpr_dispatch_ptr 0
		.amdhsa_user_sgpr_queue_ptr 0
		.amdhsa_user_sgpr_kernarg_segment_ptr 1
		.amdhsa_user_sgpr_dispatch_id 0
		.amdhsa_user_sgpr_kernarg_preload_length 0
		.amdhsa_user_sgpr_kernarg_preload_offset 0
		.amdhsa_user_sgpr_private_segment_size 0
		.amdhsa_uses_dynamic_stack 0
		.amdhsa_enable_private_segment 0
		.amdhsa_system_sgpr_workgroup_id_x 1
		.amdhsa_system_sgpr_workgroup_id_y 0
		.amdhsa_system_sgpr_workgroup_id_z 0
		.amdhsa_system_sgpr_workgroup_info 0
		.amdhsa_system_vgpr_workitem_id 0
		.amdhsa_next_free_vgpr 1
		.amdhsa_next_free_sgpr 0
		.amdhsa_accum_offset 4
		.amdhsa_reserve_vcc 0
		.amdhsa_float_round_mode_32 0
		.amdhsa_float_round_mode_16_64 0
		.amdhsa_float_denorm_mode_32 3
		.amdhsa_float_denorm_mode_16_64 3
		.amdhsa_dx10_clamp 1
		.amdhsa_ieee_mode 1
		.amdhsa_fp16_overflow 0
		.amdhsa_tg_split 0
		.amdhsa_exception_fp_ieee_invalid_op 0
		.amdhsa_exception_fp_denorm_src 0
		.amdhsa_exception_fp_ieee_div_zero 0
		.amdhsa_exception_fp_ieee_overflow 0
		.amdhsa_exception_fp_ieee_underflow 0
		.amdhsa_exception_fp_ieee_inexact 0
		.amdhsa_exception_int_div_zero 0
	.end_amdhsa_kernel
	.section	.text._ZN7rocprim17ROCPRIM_400000_NS6detail17trampoline_kernelINS0_14default_configENS1_35adjacent_difference_config_selectorILb1EiEEZNS1_24adjacent_difference_implIS3_Lb1ELb0EPiS7_N6thrust23THRUST_200600_302600_NS4plusIiEEEE10hipError_tPvRmT2_T3_mT4_P12ihipStream_tbEUlT_E_NS1_11comp_targetILNS1_3genE2ELNS1_11target_archE906ELNS1_3gpuE6ELNS1_3repE0EEENS1_30default_config_static_selectorELNS0_4arch9wavefront6targetE1EEEvT1_,"axG",@progbits,_ZN7rocprim17ROCPRIM_400000_NS6detail17trampoline_kernelINS0_14default_configENS1_35adjacent_difference_config_selectorILb1EiEEZNS1_24adjacent_difference_implIS3_Lb1ELb0EPiS7_N6thrust23THRUST_200600_302600_NS4plusIiEEEE10hipError_tPvRmT2_T3_mT4_P12ihipStream_tbEUlT_E_NS1_11comp_targetILNS1_3genE2ELNS1_11target_archE906ELNS1_3gpuE6ELNS1_3repE0EEENS1_30default_config_static_selectorELNS0_4arch9wavefront6targetE1EEEvT1_,comdat
.Lfunc_end149:
	.size	_ZN7rocprim17ROCPRIM_400000_NS6detail17trampoline_kernelINS0_14default_configENS1_35adjacent_difference_config_selectorILb1EiEEZNS1_24adjacent_difference_implIS3_Lb1ELb0EPiS7_N6thrust23THRUST_200600_302600_NS4plusIiEEEE10hipError_tPvRmT2_T3_mT4_P12ihipStream_tbEUlT_E_NS1_11comp_targetILNS1_3genE2ELNS1_11target_archE906ELNS1_3gpuE6ELNS1_3repE0EEENS1_30default_config_static_selectorELNS0_4arch9wavefront6targetE1EEEvT1_, .Lfunc_end149-_ZN7rocprim17ROCPRIM_400000_NS6detail17trampoline_kernelINS0_14default_configENS1_35adjacent_difference_config_selectorILb1EiEEZNS1_24adjacent_difference_implIS3_Lb1ELb0EPiS7_N6thrust23THRUST_200600_302600_NS4plusIiEEEE10hipError_tPvRmT2_T3_mT4_P12ihipStream_tbEUlT_E_NS1_11comp_targetILNS1_3genE2ELNS1_11target_archE906ELNS1_3gpuE6ELNS1_3repE0EEENS1_30default_config_static_selectorELNS0_4arch9wavefront6targetE1EEEvT1_
                                        ; -- End function
	.section	.AMDGPU.csdata,"",@progbits
; Kernel info:
; codeLenInByte = 0
; NumSgprs: 6
; NumVgprs: 0
; NumAgprs: 0
; TotalNumVgprs: 0
; ScratchSize: 0
; MemoryBound: 0
; FloatMode: 240
; IeeeMode: 1
; LDSByteSize: 0 bytes/workgroup (compile time only)
; SGPRBlocks: 0
; VGPRBlocks: 0
; NumSGPRsForWavesPerEU: 6
; NumVGPRsForWavesPerEU: 1
; AccumOffset: 4
; Occupancy: 8
; WaveLimiterHint : 0
; COMPUTE_PGM_RSRC2:SCRATCH_EN: 0
; COMPUTE_PGM_RSRC2:USER_SGPR: 2
; COMPUTE_PGM_RSRC2:TRAP_HANDLER: 0
; COMPUTE_PGM_RSRC2:TGID_X_EN: 1
; COMPUTE_PGM_RSRC2:TGID_Y_EN: 0
; COMPUTE_PGM_RSRC2:TGID_Z_EN: 0
; COMPUTE_PGM_RSRC2:TIDIG_COMP_CNT: 0
; COMPUTE_PGM_RSRC3_GFX90A:ACCUM_OFFSET: 0
; COMPUTE_PGM_RSRC3_GFX90A:TG_SPLIT: 0
	.section	.text._ZN7rocprim17ROCPRIM_400000_NS6detail17trampoline_kernelINS0_14default_configENS1_35adjacent_difference_config_selectorILb1EiEEZNS1_24adjacent_difference_implIS3_Lb1ELb0EPiS7_N6thrust23THRUST_200600_302600_NS4plusIiEEEE10hipError_tPvRmT2_T3_mT4_P12ihipStream_tbEUlT_E_NS1_11comp_targetILNS1_3genE9ELNS1_11target_archE1100ELNS1_3gpuE3ELNS1_3repE0EEENS1_30default_config_static_selectorELNS0_4arch9wavefront6targetE1EEEvT1_,"axG",@progbits,_ZN7rocprim17ROCPRIM_400000_NS6detail17trampoline_kernelINS0_14default_configENS1_35adjacent_difference_config_selectorILb1EiEEZNS1_24adjacent_difference_implIS3_Lb1ELb0EPiS7_N6thrust23THRUST_200600_302600_NS4plusIiEEEE10hipError_tPvRmT2_T3_mT4_P12ihipStream_tbEUlT_E_NS1_11comp_targetILNS1_3genE9ELNS1_11target_archE1100ELNS1_3gpuE3ELNS1_3repE0EEENS1_30default_config_static_selectorELNS0_4arch9wavefront6targetE1EEEvT1_,comdat
	.protected	_ZN7rocprim17ROCPRIM_400000_NS6detail17trampoline_kernelINS0_14default_configENS1_35adjacent_difference_config_selectorILb1EiEEZNS1_24adjacent_difference_implIS3_Lb1ELb0EPiS7_N6thrust23THRUST_200600_302600_NS4plusIiEEEE10hipError_tPvRmT2_T3_mT4_P12ihipStream_tbEUlT_E_NS1_11comp_targetILNS1_3genE9ELNS1_11target_archE1100ELNS1_3gpuE3ELNS1_3repE0EEENS1_30default_config_static_selectorELNS0_4arch9wavefront6targetE1EEEvT1_ ; -- Begin function _ZN7rocprim17ROCPRIM_400000_NS6detail17trampoline_kernelINS0_14default_configENS1_35adjacent_difference_config_selectorILb1EiEEZNS1_24adjacent_difference_implIS3_Lb1ELb0EPiS7_N6thrust23THRUST_200600_302600_NS4plusIiEEEE10hipError_tPvRmT2_T3_mT4_P12ihipStream_tbEUlT_E_NS1_11comp_targetILNS1_3genE9ELNS1_11target_archE1100ELNS1_3gpuE3ELNS1_3repE0EEENS1_30default_config_static_selectorELNS0_4arch9wavefront6targetE1EEEvT1_
	.globl	_ZN7rocprim17ROCPRIM_400000_NS6detail17trampoline_kernelINS0_14default_configENS1_35adjacent_difference_config_selectorILb1EiEEZNS1_24adjacent_difference_implIS3_Lb1ELb0EPiS7_N6thrust23THRUST_200600_302600_NS4plusIiEEEE10hipError_tPvRmT2_T3_mT4_P12ihipStream_tbEUlT_E_NS1_11comp_targetILNS1_3genE9ELNS1_11target_archE1100ELNS1_3gpuE3ELNS1_3repE0EEENS1_30default_config_static_selectorELNS0_4arch9wavefront6targetE1EEEvT1_
	.p2align	8
	.type	_ZN7rocprim17ROCPRIM_400000_NS6detail17trampoline_kernelINS0_14default_configENS1_35adjacent_difference_config_selectorILb1EiEEZNS1_24adjacent_difference_implIS3_Lb1ELb0EPiS7_N6thrust23THRUST_200600_302600_NS4plusIiEEEE10hipError_tPvRmT2_T3_mT4_P12ihipStream_tbEUlT_E_NS1_11comp_targetILNS1_3genE9ELNS1_11target_archE1100ELNS1_3gpuE3ELNS1_3repE0EEENS1_30default_config_static_selectorELNS0_4arch9wavefront6targetE1EEEvT1_,@function
_ZN7rocprim17ROCPRIM_400000_NS6detail17trampoline_kernelINS0_14default_configENS1_35adjacent_difference_config_selectorILb1EiEEZNS1_24adjacent_difference_implIS3_Lb1ELb0EPiS7_N6thrust23THRUST_200600_302600_NS4plusIiEEEE10hipError_tPvRmT2_T3_mT4_P12ihipStream_tbEUlT_E_NS1_11comp_targetILNS1_3genE9ELNS1_11target_archE1100ELNS1_3gpuE3ELNS1_3repE0EEENS1_30default_config_static_selectorELNS0_4arch9wavefront6targetE1EEEvT1_: ; @_ZN7rocprim17ROCPRIM_400000_NS6detail17trampoline_kernelINS0_14default_configENS1_35adjacent_difference_config_selectorILb1EiEEZNS1_24adjacent_difference_implIS3_Lb1ELb0EPiS7_N6thrust23THRUST_200600_302600_NS4plusIiEEEE10hipError_tPvRmT2_T3_mT4_P12ihipStream_tbEUlT_E_NS1_11comp_targetILNS1_3genE9ELNS1_11target_archE1100ELNS1_3gpuE3ELNS1_3repE0EEENS1_30default_config_static_selectorELNS0_4arch9wavefront6targetE1EEEvT1_
; %bb.0:
	.section	.rodata,"a",@progbits
	.p2align	6, 0x0
	.amdhsa_kernel _ZN7rocprim17ROCPRIM_400000_NS6detail17trampoline_kernelINS0_14default_configENS1_35adjacent_difference_config_selectorILb1EiEEZNS1_24adjacent_difference_implIS3_Lb1ELb0EPiS7_N6thrust23THRUST_200600_302600_NS4plusIiEEEE10hipError_tPvRmT2_T3_mT4_P12ihipStream_tbEUlT_E_NS1_11comp_targetILNS1_3genE9ELNS1_11target_archE1100ELNS1_3gpuE3ELNS1_3repE0EEENS1_30default_config_static_selectorELNS0_4arch9wavefront6targetE1EEEvT1_
		.amdhsa_group_segment_fixed_size 0
		.amdhsa_private_segment_fixed_size 0
		.amdhsa_kernarg_size 56
		.amdhsa_user_sgpr_count 2
		.amdhsa_user_sgpr_dispatch_ptr 0
		.amdhsa_user_sgpr_queue_ptr 0
		.amdhsa_user_sgpr_kernarg_segment_ptr 1
		.amdhsa_user_sgpr_dispatch_id 0
		.amdhsa_user_sgpr_kernarg_preload_length 0
		.amdhsa_user_sgpr_kernarg_preload_offset 0
		.amdhsa_user_sgpr_private_segment_size 0
		.amdhsa_uses_dynamic_stack 0
		.amdhsa_enable_private_segment 0
		.amdhsa_system_sgpr_workgroup_id_x 1
		.amdhsa_system_sgpr_workgroup_id_y 0
		.amdhsa_system_sgpr_workgroup_id_z 0
		.amdhsa_system_sgpr_workgroup_info 0
		.amdhsa_system_vgpr_workitem_id 0
		.amdhsa_next_free_vgpr 1
		.amdhsa_next_free_sgpr 0
		.amdhsa_accum_offset 4
		.amdhsa_reserve_vcc 0
		.amdhsa_float_round_mode_32 0
		.amdhsa_float_round_mode_16_64 0
		.amdhsa_float_denorm_mode_32 3
		.amdhsa_float_denorm_mode_16_64 3
		.amdhsa_dx10_clamp 1
		.amdhsa_ieee_mode 1
		.amdhsa_fp16_overflow 0
		.amdhsa_tg_split 0
		.amdhsa_exception_fp_ieee_invalid_op 0
		.amdhsa_exception_fp_denorm_src 0
		.amdhsa_exception_fp_ieee_div_zero 0
		.amdhsa_exception_fp_ieee_overflow 0
		.amdhsa_exception_fp_ieee_underflow 0
		.amdhsa_exception_fp_ieee_inexact 0
		.amdhsa_exception_int_div_zero 0
	.end_amdhsa_kernel
	.section	.text._ZN7rocprim17ROCPRIM_400000_NS6detail17trampoline_kernelINS0_14default_configENS1_35adjacent_difference_config_selectorILb1EiEEZNS1_24adjacent_difference_implIS3_Lb1ELb0EPiS7_N6thrust23THRUST_200600_302600_NS4plusIiEEEE10hipError_tPvRmT2_T3_mT4_P12ihipStream_tbEUlT_E_NS1_11comp_targetILNS1_3genE9ELNS1_11target_archE1100ELNS1_3gpuE3ELNS1_3repE0EEENS1_30default_config_static_selectorELNS0_4arch9wavefront6targetE1EEEvT1_,"axG",@progbits,_ZN7rocprim17ROCPRIM_400000_NS6detail17trampoline_kernelINS0_14default_configENS1_35adjacent_difference_config_selectorILb1EiEEZNS1_24adjacent_difference_implIS3_Lb1ELb0EPiS7_N6thrust23THRUST_200600_302600_NS4plusIiEEEE10hipError_tPvRmT2_T3_mT4_P12ihipStream_tbEUlT_E_NS1_11comp_targetILNS1_3genE9ELNS1_11target_archE1100ELNS1_3gpuE3ELNS1_3repE0EEENS1_30default_config_static_selectorELNS0_4arch9wavefront6targetE1EEEvT1_,comdat
.Lfunc_end150:
	.size	_ZN7rocprim17ROCPRIM_400000_NS6detail17trampoline_kernelINS0_14default_configENS1_35adjacent_difference_config_selectorILb1EiEEZNS1_24adjacent_difference_implIS3_Lb1ELb0EPiS7_N6thrust23THRUST_200600_302600_NS4plusIiEEEE10hipError_tPvRmT2_T3_mT4_P12ihipStream_tbEUlT_E_NS1_11comp_targetILNS1_3genE9ELNS1_11target_archE1100ELNS1_3gpuE3ELNS1_3repE0EEENS1_30default_config_static_selectorELNS0_4arch9wavefront6targetE1EEEvT1_, .Lfunc_end150-_ZN7rocprim17ROCPRIM_400000_NS6detail17trampoline_kernelINS0_14default_configENS1_35adjacent_difference_config_selectorILb1EiEEZNS1_24adjacent_difference_implIS3_Lb1ELb0EPiS7_N6thrust23THRUST_200600_302600_NS4plusIiEEEE10hipError_tPvRmT2_T3_mT4_P12ihipStream_tbEUlT_E_NS1_11comp_targetILNS1_3genE9ELNS1_11target_archE1100ELNS1_3gpuE3ELNS1_3repE0EEENS1_30default_config_static_selectorELNS0_4arch9wavefront6targetE1EEEvT1_
                                        ; -- End function
	.section	.AMDGPU.csdata,"",@progbits
; Kernel info:
; codeLenInByte = 0
; NumSgprs: 6
; NumVgprs: 0
; NumAgprs: 0
; TotalNumVgprs: 0
; ScratchSize: 0
; MemoryBound: 0
; FloatMode: 240
; IeeeMode: 1
; LDSByteSize: 0 bytes/workgroup (compile time only)
; SGPRBlocks: 0
; VGPRBlocks: 0
; NumSGPRsForWavesPerEU: 6
; NumVGPRsForWavesPerEU: 1
; AccumOffset: 4
; Occupancy: 8
; WaveLimiterHint : 0
; COMPUTE_PGM_RSRC2:SCRATCH_EN: 0
; COMPUTE_PGM_RSRC2:USER_SGPR: 2
; COMPUTE_PGM_RSRC2:TRAP_HANDLER: 0
; COMPUTE_PGM_RSRC2:TGID_X_EN: 1
; COMPUTE_PGM_RSRC2:TGID_Y_EN: 0
; COMPUTE_PGM_RSRC2:TGID_Z_EN: 0
; COMPUTE_PGM_RSRC2:TIDIG_COMP_CNT: 0
; COMPUTE_PGM_RSRC3_GFX90A:ACCUM_OFFSET: 0
; COMPUTE_PGM_RSRC3_GFX90A:TG_SPLIT: 0
	.section	.text._ZN7rocprim17ROCPRIM_400000_NS6detail17trampoline_kernelINS0_14default_configENS1_35adjacent_difference_config_selectorILb1EiEEZNS1_24adjacent_difference_implIS3_Lb1ELb0EPiS7_N6thrust23THRUST_200600_302600_NS4plusIiEEEE10hipError_tPvRmT2_T3_mT4_P12ihipStream_tbEUlT_E_NS1_11comp_targetILNS1_3genE8ELNS1_11target_archE1030ELNS1_3gpuE2ELNS1_3repE0EEENS1_30default_config_static_selectorELNS0_4arch9wavefront6targetE1EEEvT1_,"axG",@progbits,_ZN7rocprim17ROCPRIM_400000_NS6detail17trampoline_kernelINS0_14default_configENS1_35adjacent_difference_config_selectorILb1EiEEZNS1_24adjacent_difference_implIS3_Lb1ELb0EPiS7_N6thrust23THRUST_200600_302600_NS4plusIiEEEE10hipError_tPvRmT2_T3_mT4_P12ihipStream_tbEUlT_E_NS1_11comp_targetILNS1_3genE8ELNS1_11target_archE1030ELNS1_3gpuE2ELNS1_3repE0EEENS1_30default_config_static_selectorELNS0_4arch9wavefront6targetE1EEEvT1_,comdat
	.protected	_ZN7rocprim17ROCPRIM_400000_NS6detail17trampoline_kernelINS0_14default_configENS1_35adjacent_difference_config_selectorILb1EiEEZNS1_24adjacent_difference_implIS3_Lb1ELb0EPiS7_N6thrust23THRUST_200600_302600_NS4plusIiEEEE10hipError_tPvRmT2_T3_mT4_P12ihipStream_tbEUlT_E_NS1_11comp_targetILNS1_3genE8ELNS1_11target_archE1030ELNS1_3gpuE2ELNS1_3repE0EEENS1_30default_config_static_selectorELNS0_4arch9wavefront6targetE1EEEvT1_ ; -- Begin function _ZN7rocprim17ROCPRIM_400000_NS6detail17trampoline_kernelINS0_14default_configENS1_35adjacent_difference_config_selectorILb1EiEEZNS1_24adjacent_difference_implIS3_Lb1ELb0EPiS7_N6thrust23THRUST_200600_302600_NS4plusIiEEEE10hipError_tPvRmT2_T3_mT4_P12ihipStream_tbEUlT_E_NS1_11comp_targetILNS1_3genE8ELNS1_11target_archE1030ELNS1_3gpuE2ELNS1_3repE0EEENS1_30default_config_static_selectorELNS0_4arch9wavefront6targetE1EEEvT1_
	.globl	_ZN7rocprim17ROCPRIM_400000_NS6detail17trampoline_kernelINS0_14default_configENS1_35adjacent_difference_config_selectorILb1EiEEZNS1_24adjacent_difference_implIS3_Lb1ELb0EPiS7_N6thrust23THRUST_200600_302600_NS4plusIiEEEE10hipError_tPvRmT2_T3_mT4_P12ihipStream_tbEUlT_E_NS1_11comp_targetILNS1_3genE8ELNS1_11target_archE1030ELNS1_3gpuE2ELNS1_3repE0EEENS1_30default_config_static_selectorELNS0_4arch9wavefront6targetE1EEEvT1_
	.p2align	8
	.type	_ZN7rocprim17ROCPRIM_400000_NS6detail17trampoline_kernelINS0_14default_configENS1_35adjacent_difference_config_selectorILb1EiEEZNS1_24adjacent_difference_implIS3_Lb1ELb0EPiS7_N6thrust23THRUST_200600_302600_NS4plusIiEEEE10hipError_tPvRmT2_T3_mT4_P12ihipStream_tbEUlT_E_NS1_11comp_targetILNS1_3genE8ELNS1_11target_archE1030ELNS1_3gpuE2ELNS1_3repE0EEENS1_30default_config_static_selectorELNS0_4arch9wavefront6targetE1EEEvT1_,@function
_ZN7rocprim17ROCPRIM_400000_NS6detail17trampoline_kernelINS0_14default_configENS1_35adjacent_difference_config_selectorILb1EiEEZNS1_24adjacent_difference_implIS3_Lb1ELb0EPiS7_N6thrust23THRUST_200600_302600_NS4plusIiEEEE10hipError_tPvRmT2_T3_mT4_P12ihipStream_tbEUlT_E_NS1_11comp_targetILNS1_3genE8ELNS1_11target_archE1030ELNS1_3gpuE2ELNS1_3repE0EEENS1_30default_config_static_selectorELNS0_4arch9wavefront6targetE1EEEvT1_: ; @_ZN7rocprim17ROCPRIM_400000_NS6detail17trampoline_kernelINS0_14default_configENS1_35adjacent_difference_config_selectorILb1EiEEZNS1_24adjacent_difference_implIS3_Lb1ELb0EPiS7_N6thrust23THRUST_200600_302600_NS4plusIiEEEE10hipError_tPvRmT2_T3_mT4_P12ihipStream_tbEUlT_E_NS1_11comp_targetILNS1_3genE8ELNS1_11target_archE1030ELNS1_3gpuE2ELNS1_3repE0EEENS1_30default_config_static_selectorELNS0_4arch9wavefront6targetE1EEEvT1_
; %bb.0:
	.section	.rodata,"a",@progbits
	.p2align	6, 0x0
	.amdhsa_kernel _ZN7rocprim17ROCPRIM_400000_NS6detail17trampoline_kernelINS0_14default_configENS1_35adjacent_difference_config_selectorILb1EiEEZNS1_24adjacent_difference_implIS3_Lb1ELb0EPiS7_N6thrust23THRUST_200600_302600_NS4plusIiEEEE10hipError_tPvRmT2_T3_mT4_P12ihipStream_tbEUlT_E_NS1_11comp_targetILNS1_3genE8ELNS1_11target_archE1030ELNS1_3gpuE2ELNS1_3repE0EEENS1_30default_config_static_selectorELNS0_4arch9wavefront6targetE1EEEvT1_
		.amdhsa_group_segment_fixed_size 0
		.amdhsa_private_segment_fixed_size 0
		.amdhsa_kernarg_size 56
		.amdhsa_user_sgpr_count 2
		.amdhsa_user_sgpr_dispatch_ptr 0
		.amdhsa_user_sgpr_queue_ptr 0
		.amdhsa_user_sgpr_kernarg_segment_ptr 1
		.amdhsa_user_sgpr_dispatch_id 0
		.amdhsa_user_sgpr_kernarg_preload_length 0
		.amdhsa_user_sgpr_kernarg_preload_offset 0
		.amdhsa_user_sgpr_private_segment_size 0
		.amdhsa_uses_dynamic_stack 0
		.amdhsa_enable_private_segment 0
		.amdhsa_system_sgpr_workgroup_id_x 1
		.amdhsa_system_sgpr_workgroup_id_y 0
		.amdhsa_system_sgpr_workgroup_id_z 0
		.amdhsa_system_sgpr_workgroup_info 0
		.amdhsa_system_vgpr_workitem_id 0
		.amdhsa_next_free_vgpr 1
		.amdhsa_next_free_sgpr 0
		.amdhsa_accum_offset 4
		.amdhsa_reserve_vcc 0
		.amdhsa_float_round_mode_32 0
		.amdhsa_float_round_mode_16_64 0
		.amdhsa_float_denorm_mode_32 3
		.amdhsa_float_denorm_mode_16_64 3
		.amdhsa_dx10_clamp 1
		.amdhsa_ieee_mode 1
		.amdhsa_fp16_overflow 0
		.amdhsa_tg_split 0
		.amdhsa_exception_fp_ieee_invalid_op 0
		.amdhsa_exception_fp_denorm_src 0
		.amdhsa_exception_fp_ieee_div_zero 0
		.amdhsa_exception_fp_ieee_overflow 0
		.amdhsa_exception_fp_ieee_underflow 0
		.amdhsa_exception_fp_ieee_inexact 0
		.amdhsa_exception_int_div_zero 0
	.end_amdhsa_kernel
	.section	.text._ZN7rocprim17ROCPRIM_400000_NS6detail17trampoline_kernelINS0_14default_configENS1_35adjacent_difference_config_selectorILb1EiEEZNS1_24adjacent_difference_implIS3_Lb1ELb0EPiS7_N6thrust23THRUST_200600_302600_NS4plusIiEEEE10hipError_tPvRmT2_T3_mT4_P12ihipStream_tbEUlT_E_NS1_11comp_targetILNS1_3genE8ELNS1_11target_archE1030ELNS1_3gpuE2ELNS1_3repE0EEENS1_30default_config_static_selectorELNS0_4arch9wavefront6targetE1EEEvT1_,"axG",@progbits,_ZN7rocprim17ROCPRIM_400000_NS6detail17trampoline_kernelINS0_14default_configENS1_35adjacent_difference_config_selectorILb1EiEEZNS1_24adjacent_difference_implIS3_Lb1ELb0EPiS7_N6thrust23THRUST_200600_302600_NS4plusIiEEEE10hipError_tPvRmT2_T3_mT4_P12ihipStream_tbEUlT_E_NS1_11comp_targetILNS1_3genE8ELNS1_11target_archE1030ELNS1_3gpuE2ELNS1_3repE0EEENS1_30default_config_static_selectorELNS0_4arch9wavefront6targetE1EEEvT1_,comdat
.Lfunc_end151:
	.size	_ZN7rocprim17ROCPRIM_400000_NS6detail17trampoline_kernelINS0_14default_configENS1_35adjacent_difference_config_selectorILb1EiEEZNS1_24adjacent_difference_implIS3_Lb1ELb0EPiS7_N6thrust23THRUST_200600_302600_NS4plusIiEEEE10hipError_tPvRmT2_T3_mT4_P12ihipStream_tbEUlT_E_NS1_11comp_targetILNS1_3genE8ELNS1_11target_archE1030ELNS1_3gpuE2ELNS1_3repE0EEENS1_30default_config_static_selectorELNS0_4arch9wavefront6targetE1EEEvT1_, .Lfunc_end151-_ZN7rocprim17ROCPRIM_400000_NS6detail17trampoline_kernelINS0_14default_configENS1_35adjacent_difference_config_selectorILb1EiEEZNS1_24adjacent_difference_implIS3_Lb1ELb0EPiS7_N6thrust23THRUST_200600_302600_NS4plusIiEEEE10hipError_tPvRmT2_T3_mT4_P12ihipStream_tbEUlT_E_NS1_11comp_targetILNS1_3genE8ELNS1_11target_archE1030ELNS1_3gpuE2ELNS1_3repE0EEENS1_30default_config_static_selectorELNS0_4arch9wavefront6targetE1EEEvT1_
                                        ; -- End function
	.section	.AMDGPU.csdata,"",@progbits
; Kernel info:
; codeLenInByte = 0
; NumSgprs: 6
; NumVgprs: 0
; NumAgprs: 0
; TotalNumVgprs: 0
; ScratchSize: 0
; MemoryBound: 0
; FloatMode: 240
; IeeeMode: 1
; LDSByteSize: 0 bytes/workgroup (compile time only)
; SGPRBlocks: 0
; VGPRBlocks: 0
; NumSGPRsForWavesPerEU: 6
; NumVGPRsForWavesPerEU: 1
; AccumOffset: 4
; Occupancy: 8
; WaveLimiterHint : 0
; COMPUTE_PGM_RSRC2:SCRATCH_EN: 0
; COMPUTE_PGM_RSRC2:USER_SGPR: 2
; COMPUTE_PGM_RSRC2:TRAP_HANDLER: 0
; COMPUTE_PGM_RSRC2:TGID_X_EN: 1
; COMPUTE_PGM_RSRC2:TGID_Y_EN: 0
; COMPUTE_PGM_RSRC2:TGID_Z_EN: 0
; COMPUTE_PGM_RSRC2:TIDIG_COMP_CNT: 0
; COMPUTE_PGM_RSRC3_GFX90A:ACCUM_OFFSET: 0
; COMPUTE_PGM_RSRC3_GFX90A:TG_SPLIT: 0
	.section	.text._ZN6thrust23THRUST_200600_302600_NS11hip_rocprim14__parallel_for6kernelILj256ENS1_20__uninitialized_fill7functorINS0_10device_ptrIfEEfEEmLj1EEEvT0_T1_SA_,"axG",@progbits,_ZN6thrust23THRUST_200600_302600_NS11hip_rocprim14__parallel_for6kernelILj256ENS1_20__uninitialized_fill7functorINS0_10device_ptrIfEEfEEmLj1EEEvT0_T1_SA_,comdat
	.protected	_ZN6thrust23THRUST_200600_302600_NS11hip_rocprim14__parallel_for6kernelILj256ENS1_20__uninitialized_fill7functorINS0_10device_ptrIfEEfEEmLj1EEEvT0_T1_SA_ ; -- Begin function _ZN6thrust23THRUST_200600_302600_NS11hip_rocprim14__parallel_for6kernelILj256ENS1_20__uninitialized_fill7functorINS0_10device_ptrIfEEfEEmLj1EEEvT0_T1_SA_
	.globl	_ZN6thrust23THRUST_200600_302600_NS11hip_rocprim14__parallel_for6kernelILj256ENS1_20__uninitialized_fill7functorINS0_10device_ptrIfEEfEEmLj1EEEvT0_T1_SA_
	.p2align	8
	.type	_ZN6thrust23THRUST_200600_302600_NS11hip_rocprim14__parallel_for6kernelILj256ENS1_20__uninitialized_fill7functorINS0_10device_ptrIfEEfEEmLj1EEEvT0_T1_SA_,@function
_ZN6thrust23THRUST_200600_302600_NS11hip_rocprim14__parallel_for6kernelILj256ENS1_20__uninitialized_fill7functorINS0_10device_ptrIfEEfEEmLj1EEEvT0_T1_SA_: ; @_ZN6thrust23THRUST_200600_302600_NS11hip_rocprim14__parallel_for6kernelILj256ENS1_20__uninitialized_fill7functorINS0_10device_ptrIfEEfEEmLj1EEEvT0_T1_SA_
; %bb.0:
	s_load_dwordx4 s[4:7], s[0:1], 0x10
	s_lshl_b32 s2, s2, 8
	v_mov_b64_e32 v[2:3], 0x100
	s_waitcnt lgkmcnt(0)
	s_add_u32 s2, s2, s6
	s_addc_u32 s3, 0, s7
	s_sub_u32 s4, s4, s2
	s_subb_u32 s5, s5, s3
	v_cmp_lt_u64_e32 vcc, s[4:5], v[2:3]
	s_cbranch_vccz .LBB152_2
; %bb.1:
	v_cmp_gt_u32_e32 vcc, s4, v0
	s_and_b64 s[4:5], vcc, exec
	s_cbranch_execz .LBB152_3
	s_branch .LBB152_4
.LBB152_2:
	s_mov_b64 s[4:5], 0
.LBB152_3:
	s_or_b64 s[4:5], s[4:5], exec
.LBB152_4:
	s_and_saveexec_b64 s[6:7], s[4:5]
	s_cbranch_execnz .LBB152_6
; %bb.5:
	s_endpgm
.LBB152_6:
	s_load_dwordx2 s[4:5], s[0:1], 0x0
	s_load_dword s6, s[0:1], 0x8
	s_lshl_b64 s[0:1], s[2:3], 2
	v_mov_b32_e32 v1, 0
	s_waitcnt lgkmcnt(0)
	s_add_u32 s0, s4, s0
	s_addc_u32 s1, s5, s1
	v_lshl_add_u64 v[0:1], v[0:1], 2, s[0:1]
	v_mov_b32_e32 v2, s6
	flat_store_dword v[0:1], v2
	s_endpgm
	.section	.rodata,"a",@progbits
	.p2align	6, 0x0
	.amdhsa_kernel _ZN6thrust23THRUST_200600_302600_NS11hip_rocprim14__parallel_for6kernelILj256ENS1_20__uninitialized_fill7functorINS0_10device_ptrIfEEfEEmLj1EEEvT0_T1_SA_
		.amdhsa_group_segment_fixed_size 0
		.amdhsa_private_segment_fixed_size 0
		.amdhsa_kernarg_size 32
		.amdhsa_user_sgpr_count 2
		.amdhsa_user_sgpr_dispatch_ptr 0
		.amdhsa_user_sgpr_queue_ptr 0
		.amdhsa_user_sgpr_kernarg_segment_ptr 1
		.amdhsa_user_sgpr_dispatch_id 0
		.amdhsa_user_sgpr_kernarg_preload_length 0
		.amdhsa_user_sgpr_kernarg_preload_offset 0
		.amdhsa_user_sgpr_private_segment_size 0
		.amdhsa_uses_dynamic_stack 0
		.amdhsa_enable_private_segment 0
		.amdhsa_system_sgpr_workgroup_id_x 1
		.amdhsa_system_sgpr_workgroup_id_y 0
		.amdhsa_system_sgpr_workgroup_id_z 0
		.amdhsa_system_sgpr_workgroup_info 0
		.amdhsa_system_vgpr_workitem_id 0
		.amdhsa_next_free_vgpr 4
		.amdhsa_next_free_sgpr 8
		.amdhsa_accum_offset 4
		.amdhsa_reserve_vcc 1
		.amdhsa_float_round_mode_32 0
		.amdhsa_float_round_mode_16_64 0
		.amdhsa_float_denorm_mode_32 3
		.amdhsa_float_denorm_mode_16_64 3
		.amdhsa_dx10_clamp 1
		.amdhsa_ieee_mode 1
		.amdhsa_fp16_overflow 0
		.amdhsa_tg_split 0
		.amdhsa_exception_fp_ieee_invalid_op 0
		.amdhsa_exception_fp_denorm_src 0
		.amdhsa_exception_fp_ieee_div_zero 0
		.amdhsa_exception_fp_ieee_overflow 0
		.amdhsa_exception_fp_ieee_underflow 0
		.amdhsa_exception_fp_ieee_inexact 0
		.amdhsa_exception_int_div_zero 0
	.end_amdhsa_kernel
	.section	.text._ZN6thrust23THRUST_200600_302600_NS11hip_rocprim14__parallel_for6kernelILj256ENS1_20__uninitialized_fill7functorINS0_10device_ptrIfEEfEEmLj1EEEvT0_T1_SA_,"axG",@progbits,_ZN6thrust23THRUST_200600_302600_NS11hip_rocprim14__parallel_for6kernelILj256ENS1_20__uninitialized_fill7functorINS0_10device_ptrIfEEfEEmLj1EEEvT0_T1_SA_,comdat
.Lfunc_end152:
	.size	_ZN6thrust23THRUST_200600_302600_NS11hip_rocprim14__parallel_for6kernelILj256ENS1_20__uninitialized_fill7functorINS0_10device_ptrIfEEfEEmLj1EEEvT0_T1_SA_, .Lfunc_end152-_ZN6thrust23THRUST_200600_302600_NS11hip_rocprim14__parallel_for6kernelILj256ENS1_20__uninitialized_fill7functorINS0_10device_ptrIfEEfEEmLj1EEEvT0_T1_SA_
                                        ; -- End function
	.section	.AMDGPU.csdata,"",@progbits
; Kernel info:
; codeLenInByte = 144
; NumSgprs: 14
; NumVgprs: 4
; NumAgprs: 0
; TotalNumVgprs: 4
; ScratchSize: 0
; MemoryBound: 0
; FloatMode: 240
; IeeeMode: 1
; LDSByteSize: 0 bytes/workgroup (compile time only)
; SGPRBlocks: 1
; VGPRBlocks: 0
; NumSGPRsForWavesPerEU: 14
; NumVGPRsForWavesPerEU: 4
; AccumOffset: 4
; Occupancy: 8
; WaveLimiterHint : 0
; COMPUTE_PGM_RSRC2:SCRATCH_EN: 0
; COMPUTE_PGM_RSRC2:USER_SGPR: 2
; COMPUTE_PGM_RSRC2:TRAP_HANDLER: 0
; COMPUTE_PGM_RSRC2:TGID_X_EN: 1
; COMPUTE_PGM_RSRC2:TGID_Y_EN: 0
; COMPUTE_PGM_RSRC2:TGID_Z_EN: 0
; COMPUTE_PGM_RSRC2:TIDIG_COMP_CNT: 0
; COMPUTE_PGM_RSRC3_GFX90A:ACCUM_OFFSET: 0
; COMPUTE_PGM_RSRC3_GFX90A:TG_SPLIT: 0
	.section	.text._ZN7rocprim17ROCPRIM_400000_NS6detail17trampoline_kernelINS0_14default_configENS1_35adjacent_difference_config_selectorILb0EfEEZNS1_24adjacent_difference_implIS3_Lb0ELb0EPfS7_N6thrust23THRUST_200600_302600_NS5minusIfEEEE10hipError_tPvRmT2_T3_mT4_P12ihipStream_tbEUlT_E_NS1_11comp_targetILNS1_3genE0ELNS1_11target_archE4294967295ELNS1_3gpuE0ELNS1_3repE0EEENS1_30default_config_static_selectorELNS0_4arch9wavefront6targetE1EEEvT1_,"axG",@progbits,_ZN7rocprim17ROCPRIM_400000_NS6detail17trampoline_kernelINS0_14default_configENS1_35adjacent_difference_config_selectorILb0EfEEZNS1_24adjacent_difference_implIS3_Lb0ELb0EPfS7_N6thrust23THRUST_200600_302600_NS5minusIfEEEE10hipError_tPvRmT2_T3_mT4_P12ihipStream_tbEUlT_E_NS1_11comp_targetILNS1_3genE0ELNS1_11target_archE4294967295ELNS1_3gpuE0ELNS1_3repE0EEENS1_30default_config_static_selectorELNS0_4arch9wavefront6targetE1EEEvT1_,comdat
	.protected	_ZN7rocprim17ROCPRIM_400000_NS6detail17trampoline_kernelINS0_14default_configENS1_35adjacent_difference_config_selectorILb0EfEEZNS1_24adjacent_difference_implIS3_Lb0ELb0EPfS7_N6thrust23THRUST_200600_302600_NS5minusIfEEEE10hipError_tPvRmT2_T3_mT4_P12ihipStream_tbEUlT_E_NS1_11comp_targetILNS1_3genE0ELNS1_11target_archE4294967295ELNS1_3gpuE0ELNS1_3repE0EEENS1_30default_config_static_selectorELNS0_4arch9wavefront6targetE1EEEvT1_ ; -- Begin function _ZN7rocprim17ROCPRIM_400000_NS6detail17trampoline_kernelINS0_14default_configENS1_35adjacent_difference_config_selectorILb0EfEEZNS1_24adjacent_difference_implIS3_Lb0ELb0EPfS7_N6thrust23THRUST_200600_302600_NS5minusIfEEEE10hipError_tPvRmT2_T3_mT4_P12ihipStream_tbEUlT_E_NS1_11comp_targetILNS1_3genE0ELNS1_11target_archE4294967295ELNS1_3gpuE0ELNS1_3repE0EEENS1_30default_config_static_selectorELNS0_4arch9wavefront6targetE1EEEvT1_
	.globl	_ZN7rocprim17ROCPRIM_400000_NS6detail17trampoline_kernelINS0_14default_configENS1_35adjacent_difference_config_selectorILb0EfEEZNS1_24adjacent_difference_implIS3_Lb0ELb0EPfS7_N6thrust23THRUST_200600_302600_NS5minusIfEEEE10hipError_tPvRmT2_T3_mT4_P12ihipStream_tbEUlT_E_NS1_11comp_targetILNS1_3genE0ELNS1_11target_archE4294967295ELNS1_3gpuE0ELNS1_3repE0EEENS1_30default_config_static_selectorELNS0_4arch9wavefront6targetE1EEEvT1_
	.p2align	8
	.type	_ZN7rocprim17ROCPRIM_400000_NS6detail17trampoline_kernelINS0_14default_configENS1_35adjacent_difference_config_selectorILb0EfEEZNS1_24adjacent_difference_implIS3_Lb0ELb0EPfS7_N6thrust23THRUST_200600_302600_NS5minusIfEEEE10hipError_tPvRmT2_T3_mT4_P12ihipStream_tbEUlT_E_NS1_11comp_targetILNS1_3genE0ELNS1_11target_archE4294967295ELNS1_3gpuE0ELNS1_3repE0EEENS1_30default_config_static_selectorELNS0_4arch9wavefront6targetE1EEEvT1_,@function
_ZN7rocprim17ROCPRIM_400000_NS6detail17trampoline_kernelINS0_14default_configENS1_35adjacent_difference_config_selectorILb0EfEEZNS1_24adjacent_difference_implIS3_Lb0ELb0EPfS7_N6thrust23THRUST_200600_302600_NS5minusIfEEEE10hipError_tPvRmT2_T3_mT4_P12ihipStream_tbEUlT_E_NS1_11comp_targetILNS1_3genE0ELNS1_11target_archE4294967295ELNS1_3gpuE0ELNS1_3repE0EEENS1_30default_config_static_selectorELNS0_4arch9wavefront6targetE1EEEvT1_: ; @_ZN7rocprim17ROCPRIM_400000_NS6detail17trampoline_kernelINS0_14default_configENS1_35adjacent_difference_config_selectorILb0EfEEZNS1_24adjacent_difference_implIS3_Lb0ELb0EPfS7_N6thrust23THRUST_200600_302600_NS5minusIfEEEE10hipError_tPvRmT2_T3_mT4_P12ihipStream_tbEUlT_E_NS1_11comp_targetILNS1_3genE0ELNS1_11target_archE4294967295ELNS1_3gpuE0ELNS1_3repE0EEENS1_30default_config_static_selectorELNS0_4arch9wavefront6targetE1EEEvT1_
; %bb.0:
	.section	.rodata,"a",@progbits
	.p2align	6, 0x0
	.amdhsa_kernel _ZN7rocprim17ROCPRIM_400000_NS6detail17trampoline_kernelINS0_14default_configENS1_35adjacent_difference_config_selectorILb0EfEEZNS1_24adjacent_difference_implIS3_Lb0ELb0EPfS7_N6thrust23THRUST_200600_302600_NS5minusIfEEEE10hipError_tPvRmT2_T3_mT4_P12ihipStream_tbEUlT_E_NS1_11comp_targetILNS1_3genE0ELNS1_11target_archE4294967295ELNS1_3gpuE0ELNS1_3repE0EEENS1_30default_config_static_selectorELNS0_4arch9wavefront6targetE1EEEvT1_
		.amdhsa_group_segment_fixed_size 0
		.amdhsa_private_segment_fixed_size 0
		.amdhsa_kernarg_size 56
		.amdhsa_user_sgpr_count 2
		.amdhsa_user_sgpr_dispatch_ptr 0
		.amdhsa_user_sgpr_queue_ptr 0
		.amdhsa_user_sgpr_kernarg_segment_ptr 1
		.amdhsa_user_sgpr_dispatch_id 0
		.amdhsa_user_sgpr_kernarg_preload_length 0
		.amdhsa_user_sgpr_kernarg_preload_offset 0
		.amdhsa_user_sgpr_private_segment_size 0
		.amdhsa_uses_dynamic_stack 0
		.amdhsa_enable_private_segment 0
		.amdhsa_system_sgpr_workgroup_id_x 1
		.amdhsa_system_sgpr_workgroup_id_y 0
		.amdhsa_system_sgpr_workgroup_id_z 0
		.amdhsa_system_sgpr_workgroup_info 0
		.amdhsa_system_vgpr_workitem_id 0
		.amdhsa_next_free_vgpr 1
		.amdhsa_next_free_sgpr 0
		.amdhsa_accum_offset 4
		.amdhsa_reserve_vcc 0
		.amdhsa_float_round_mode_32 0
		.amdhsa_float_round_mode_16_64 0
		.amdhsa_float_denorm_mode_32 3
		.amdhsa_float_denorm_mode_16_64 3
		.amdhsa_dx10_clamp 1
		.amdhsa_ieee_mode 1
		.amdhsa_fp16_overflow 0
		.amdhsa_tg_split 0
		.amdhsa_exception_fp_ieee_invalid_op 0
		.amdhsa_exception_fp_denorm_src 0
		.amdhsa_exception_fp_ieee_div_zero 0
		.amdhsa_exception_fp_ieee_overflow 0
		.amdhsa_exception_fp_ieee_underflow 0
		.amdhsa_exception_fp_ieee_inexact 0
		.amdhsa_exception_int_div_zero 0
	.end_amdhsa_kernel
	.section	.text._ZN7rocprim17ROCPRIM_400000_NS6detail17trampoline_kernelINS0_14default_configENS1_35adjacent_difference_config_selectorILb0EfEEZNS1_24adjacent_difference_implIS3_Lb0ELb0EPfS7_N6thrust23THRUST_200600_302600_NS5minusIfEEEE10hipError_tPvRmT2_T3_mT4_P12ihipStream_tbEUlT_E_NS1_11comp_targetILNS1_3genE0ELNS1_11target_archE4294967295ELNS1_3gpuE0ELNS1_3repE0EEENS1_30default_config_static_selectorELNS0_4arch9wavefront6targetE1EEEvT1_,"axG",@progbits,_ZN7rocprim17ROCPRIM_400000_NS6detail17trampoline_kernelINS0_14default_configENS1_35adjacent_difference_config_selectorILb0EfEEZNS1_24adjacent_difference_implIS3_Lb0ELb0EPfS7_N6thrust23THRUST_200600_302600_NS5minusIfEEEE10hipError_tPvRmT2_T3_mT4_P12ihipStream_tbEUlT_E_NS1_11comp_targetILNS1_3genE0ELNS1_11target_archE4294967295ELNS1_3gpuE0ELNS1_3repE0EEENS1_30default_config_static_selectorELNS0_4arch9wavefront6targetE1EEEvT1_,comdat
.Lfunc_end153:
	.size	_ZN7rocprim17ROCPRIM_400000_NS6detail17trampoline_kernelINS0_14default_configENS1_35adjacent_difference_config_selectorILb0EfEEZNS1_24adjacent_difference_implIS3_Lb0ELb0EPfS7_N6thrust23THRUST_200600_302600_NS5minusIfEEEE10hipError_tPvRmT2_T3_mT4_P12ihipStream_tbEUlT_E_NS1_11comp_targetILNS1_3genE0ELNS1_11target_archE4294967295ELNS1_3gpuE0ELNS1_3repE0EEENS1_30default_config_static_selectorELNS0_4arch9wavefront6targetE1EEEvT1_, .Lfunc_end153-_ZN7rocprim17ROCPRIM_400000_NS6detail17trampoline_kernelINS0_14default_configENS1_35adjacent_difference_config_selectorILb0EfEEZNS1_24adjacent_difference_implIS3_Lb0ELb0EPfS7_N6thrust23THRUST_200600_302600_NS5minusIfEEEE10hipError_tPvRmT2_T3_mT4_P12ihipStream_tbEUlT_E_NS1_11comp_targetILNS1_3genE0ELNS1_11target_archE4294967295ELNS1_3gpuE0ELNS1_3repE0EEENS1_30default_config_static_selectorELNS0_4arch9wavefront6targetE1EEEvT1_
                                        ; -- End function
	.section	.AMDGPU.csdata,"",@progbits
; Kernel info:
; codeLenInByte = 0
; NumSgprs: 6
; NumVgprs: 0
; NumAgprs: 0
; TotalNumVgprs: 0
; ScratchSize: 0
; MemoryBound: 0
; FloatMode: 240
; IeeeMode: 1
; LDSByteSize: 0 bytes/workgroup (compile time only)
; SGPRBlocks: 0
; VGPRBlocks: 0
; NumSGPRsForWavesPerEU: 6
; NumVGPRsForWavesPerEU: 1
; AccumOffset: 4
; Occupancy: 8
; WaveLimiterHint : 0
; COMPUTE_PGM_RSRC2:SCRATCH_EN: 0
; COMPUTE_PGM_RSRC2:USER_SGPR: 2
; COMPUTE_PGM_RSRC2:TRAP_HANDLER: 0
; COMPUTE_PGM_RSRC2:TGID_X_EN: 1
; COMPUTE_PGM_RSRC2:TGID_Y_EN: 0
; COMPUTE_PGM_RSRC2:TGID_Z_EN: 0
; COMPUTE_PGM_RSRC2:TIDIG_COMP_CNT: 0
; COMPUTE_PGM_RSRC3_GFX90A:ACCUM_OFFSET: 0
; COMPUTE_PGM_RSRC3_GFX90A:TG_SPLIT: 0
	.section	.text._ZN7rocprim17ROCPRIM_400000_NS6detail17trampoline_kernelINS0_14default_configENS1_35adjacent_difference_config_selectorILb0EfEEZNS1_24adjacent_difference_implIS3_Lb0ELb0EPfS7_N6thrust23THRUST_200600_302600_NS5minusIfEEEE10hipError_tPvRmT2_T3_mT4_P12ihipStream_tbEUlT_E_NS1_11comp_targetILNS1_3genE10ELNS1_11target_archE1201ELNS1_3gpuE5ELNS1_3repE0EEENS1_30default_config_static_selectorELNS0_4arch9wavefront6targetE1EEEvT1_,"axG",@progbits,_ZN7rocprim17ROCPRIM_400000_NS6detail17trampoline_kernelINS0_14default_configENS1_35adjacent_difference_config_selectorILb0EfEEZNS1_24adjacent_difference_implIS3_Lb0ELb0EPfS7_N6thrust23THRUST_200600_302600_NS5minusIfEEEE10hipError_tPvRmT2_T3_mT4_P12ihipStream_tbEUlT_E_NS1_11comp_targetILNS1_3genE10ELNS1_11target_archE1201ELNS1_3gpuE5ELNS1_3repE0EEENS1_30default_config_static_selectorELNS0_4arch9wavefront6targetE1EEEvT1_,comdat
	.protected	_ZN7rocprim17ROCPRIM_400000_NS6detail17trampoline_kernelINS0_14default_configENS1_35adjacent_difference_config_selectorILb0EfEEZNS1_24adjacent_difference_implIS3_Lb0ELb0EPfS7_N6thrust23THRUST_200600_302600_NS5minusIfEEEE10hipError_tPvRmT2_T3_mT4_P12ihipStream_tbEUlT_E_NS1_11comp_targetILNS1_3genE10ELNS1_11target_archE1201ELNS1_3gpuE5ELNS1_3repE0EEENS1_30default_config_static_selectorELNS0_4arch9wavefront6targetE1EEEvT1_ ; -- Begin function _ZN7rocprim17ROCPRIM_400000_NS6detail17trampoline_kernelINS0_14default_configENS1_35adjacent_difference_config_selectorILb0EfEEZNS1_24adjacent_difference_implIS3_Lb0ELb0EPfS7_N6thrust23THRUST_200600_302600_NS5minusIfEEEE10hipError_tPvRmT2_T3_mT4_P12ihipStream_tbEUlT_E_NS1_11comp_targetILNS1_3genE10ELNS1_11target_archE1201ELNS1_3gpuE5ELNS1_3repE0EEENS1_30default_config_static_selectorELNS0_4arch9wavefront6targetE1EEEvT1_
	.globl	_ZN7rocprim17ROCPRIM_400000_NS6detail17trampoline_kernelINS0_14default_configENS1_35adjacent_difference_config_selectorILb0EfEEZNS1_24adjacent_difference_implIS3_Lb0ELb0EPfS7_N6thrust23THRUST_200600_302600_NS5minusIfEEEE10hipError_tPvRmT2_T3_mT4_P12ihipStream_tbEUlT_E_NS1_11comp_targetILNS1_3genE10ELNS1_11target_archE1201ELNS1_3gpuE5ELNS1_3repE0EEENS1_30default_config_static_selectorELNS0_4arch9wavefront6targetE1EEEvT1_
	.p2align	8
	.type	_ZN7rocprim17ROCPRIM_400000_NS6detail17trampoline_kernelINS0_14default_configENS1_35adjacent_difference_config_selectorILb0EfEEZNS1_24adjacent_difference_implIS3_Lb0ELb0EPfS7_N6thrust23THRUST_200600_302600_NS5minusIfEEEE10hipError_tPvRmT2_T3_mT4_P12ihipStream_tbEUlT_E_NS1_11comp_targetILNS1_3genE10ELNS1_11target_archE1201ELNS1_3gpuE5ELNS1_3repE0EEENS1_30default_config_static_selectorELNS0_4arch9wavefront6targetE1EEEvT1_,@function
_ZN7rocprim17ROCPRIM_400000_NS6detail17trampoline_kernelINS0_14default_configENS1_35adjacent_difference_config_selectorILb0EfEEZNS1_24adjacent_difference_implIS3_Lb0ELb0EPfS7_N6thrust23THRUST_200600_302600_NS5minusIfEEEE10hipError_tPvRmT2_T3_mT4_P12ihipStream_tbEUlT_E_NS1_11comp_targetILNS1_3genE10ELNS1_11target_archE1201ELNS1_3gpuE5ELNS1_3repE0EEENS1_30default_config_static_selectorELNS0_4arch9wavefront6targetE1EEEvT1_: ; @_ZN7rocprim17ROCPRIM_400000_NS6detail17trampoline_kernelINS0_14default_configENS1_35adjacent_difference_config_selectorILb0EfEEZNS1_24adjacent_difference_implIS3_Lb0ELb0EPfS7_N6thrust23THRUST_200600_302600_NS5minusIfEEEE10hipError_tPvRmT2_T3_mT4_P12ihipStream_tbEUlT_E_NS1_11comp_targetILNS1_3genE10ELNS1_11target_archE1201ELNS1_3gpuE5ELNS1_3repE0EEENS1_30default_config_static_selectorELNS0_4arch9wavefront6targetE1EEEvT1_
; %bb.0:
	.section	.rodata,"a",@progbits
	.p2align	6, 0x0
	.amdhsa_kernel _ZN7rocprim17ROCPRIM_400000_NS6detail17trampoline_kernelINS0_14default_configENS1_35adjacent_difference_config_selectorILb0EfEEZNS1_24adjacent_difference_implIS3_Lb0ELb0EPfS7_N6thrust23THRUST_200600_302600_NS5minusIfEEEE10hipError_tPvRmT2_T3_mT4_P12ihipStream_tbEUlT_E_NS1_11comp_targetILNS1_3genE10ELNS1_11target_archE1201ELNS1_3gpuE5ELNS1_3repE0EEENS1_30default_config_static_selectorELNS0_4arch9wavefront6targetE1EEEvT1_
		.amdhsa_group_segment_fixed_size 0
		.amdhsa_private_segment_fixed_size 0
		.amdhsa_kernarg_size 56
		.amdhsa_user_sgpr_count 2
		.amdhsa_user_sgpr_dispatch_ptr 0
		.amdhsa_user_sgpr_queue_ptr 0
		.amdhsa_user_sgpr_kernarg_segment_ptr 1
		.amdhsa_user_sgpr_dispatch_id 0
		.amdhsa_user_sgpr_kernarg_preload_length 0
		.amdhsa_user_sgpr_kernarg_preload_offset 0
		.amdhsa_user_sgpr_private_segment_size 0
		.amdhsa_uses_dynamic_stack 0
		.amdhsa_enable_private_segment 0
		.amdhsa_system_sgpr_workgroup_id_x 1
		.amdhsa_system_sgpr_workgroup_id_y 0
		.amdhsa_system_sgpr_workgroup_id_z 0
		.amdhsa_system_sgpr_workgroup_info 0
		.amdhsa_system_vgpr_workitem_id 0
		.amdhsa_next_free_vgpr 1
		.amdhsa_next_free_sgpr 0
		.amdhsa_accum_offset 4
		.amdhsa_reserve_vcc 0
		.amdhsa_float_round_mode_32 0
		.amdhsa_float_round_mode_16_64 0
		.amdhsa_float_denorm_mode_32 3
		.amdhsa_float_denorm_mode_16_64 3
		.amdhsa_dx10_clamp 1
		.amdhsa_ieee_mode 1
		.amdhsa_fp16_overflow 0
		.amdhsa_tg_split 0
		.amdhsa_exception_fp_ieee_invalid_op 0
		.amdhsa_exception_fp_denorm_src 0
		.amdhsa_exception_fp_ieee_div_zero 0
		.amdhsa_exception_fp_ieee_overflow 0
		.amdhsa_exception_fp_ieee_underflow 0
		.amdhsa_exception_fp_ieee_inexact 0
		.amdhsa_exception_int_div_zero 0
	.end_amdhsa_kernel
	.section	.text._ZN7rocprim17ROCPRIM_400000_NS6detail17trampoline_kernelINS0_14default_configENS1_35adjacent_difference_config_selectorILb0EfEEZNS1_24adjacent_difference_implIS3_Lb0ELb0EPfS7_N6thrust23THRUST_200600_302600_NS5minusIfEEEE10hipError_tPvRmT2_T3_mT4_P12ihipStream_tbEUlT_E_NS1_11comp_targetILNS1_3genE10ELNS1_11target_archE1201ELNS1_3gpuE5ELNS1_3repE0EEENS1_30default_config_static_selectorELNS0_4arch9wavefront6targetE1EEEvT1_,"axG",@progbits,_ZN7rocprim17ROCPRIM_400000_NS6detail17trampoline_kernelINS0_14default_configENS1_35adjacent_difference_config_selectorILb0EfEEZNS1_24adjacent_difference_implIS3_Lb0ELb0EPfS7_N6thrust23THRUST_200600_302600_NS5minusIfEEEE10hipError_tPvRmT2_T3_mT4_P12ihipStream_tbEUlT_E_NS1_11comp_targetILNS1_3genE10ELNS1_11target_archE1201ELNS1_3gpuE5ELNS1_3repE0EEENS1_30default_config_static_selectorELNS0_4arch9wavefront6targetE1EEEvT1_,comdat
.Lfunc_end154:
	.size	_ZN7rocprim17ROCPRIM_400000_NS6detail17trampoline_kernelINS0_14default_configENS1_35adjacent_difference_config_selectorILb0EfEEZNS1_24adjacent_difference_implIS3_Lb0ELb0EPfS7_N6thrust23THRUST_200600_302600_NS5minusIfEEEE10hipError_tPvRmT2_T3_mT4_P12ihipStream_tbEUlT_E_NS1_11comp_targetILNS1_3genE10ELNS1_11target_archE1201ELNS1_3gpuE5ELNS1_3repE0EEENS1_30default_config_static_selectorELNS0_4arch9wavefront6targetE1EEEvT1_, .Lfunc_end154-_ZN7rocprim17ROCPRIM_400000_NS6detail17trampoline_kernelINS0_14default_configENS1_35adjacent_difference_config_selectorILb0EfEEZNS1_24adjacent_difference_implIS3_Lb0ELb0EPfS7_N6thrust23THRUST_200600_302600_NS5minusIfEEEE10hipError_tPvRmT2_T3_mT4_P12ihipStream_tbEUlT_E_NS1_11comp_targetILNS1_3genE10ELNS1_11target_archE1201ELNS1_3gpuE5ELNS1_3repE0EEENS1_30default_config_static_selectorELNS0_4arch9wavefront6targetE1EEEvT1_
                                        ; -- End function
	.section	.AMDGPU.csdata,"",@progbits
; Kernel info:
; codeLenInByte = 0
; NumSgprs: 6
; NumVgprs: 0
; NumAgprs: 0
; TotalNumVgprs: 0
; ScratchSize: 0
; MemoryBound: 0
; FloatMode: 240
; IeeeMode: 1
; LDSByteSize: 0 bytes/workgroup (compile time only)
; SGPRBlocks: 0
; VGPRBlocks: 0
; NumSGPRsForWavesPerEU: 6
; NumVGPRsForWavesPerEU: 1
; AccumOffset: 4
; Occupancy: 8
; WaveLimiterHint : 0
; COMPUTE_PGM_RSRC2:SCRATCH_EN: 0
; COMPUTE_PGM_RSRC2:USER_SGPR: 2
; COMPUTE_PGM_RSRC2:TRAP_HANDLER: 0
; COMPUTE_PGM_RSRC2:TGID_X_EN: 1
; COMPUTE_PGM_RSRC2:TGID_Y_EN: 0
; COMPUTE_PGM_RSRC2:TGID_Z_EN: 0
; COMPUTE_PGM_RSRC2:TIDIG_COMP_CNT: 0
; COMPUTE_PGM_RSRC3_GFX90A:ACCUM_OFFSET: 0
; COMPUTE_PGM_RSRC3_GFX90A:TG_SPLIT: 0
	.section	.text._ZN7rocprim17ROCPRIM_400000_NS6detail17trampoline_kernelINS0_14default_configENS1_35adjacent_difference_config_selectorILb0EfEEZNS1_24adjacent_difference_implIS3_Lb0ELb0EPfS7_N6thrust23THRUST_200600_302600_NS5minusIfEEEE10hipError_tPvRmT2_T3_mT4_P12ihipStream_tbEUlT_E_NS1_11comp_targetILNS1_3genE5ELNS1_11target_archE942ELNS1_3gpuE9ELNS1_3repE0EEENS1_30default_config_static_selectorELNS0_4arch9wavefront6targetE1EEEvT1_,"axG",@progbits,_ZN7rocprim17ROCPRIM_400000_NS6detail17trampoline_kernelINS0_14default_configENS1_35adjacent_difference_config_selectorILb0EfEEZNS1_24adjacent_difference_implIS3_Lb0ELb0EPfS7_N6thrust23THRUST_200600_302600_NS5minusIfEEEE10hipError_tPvRmT2_T3_mT4_P12ihipStream_tbEUlT_E_NS1_11comp_targetILNS1_3genE5ELNS1_11target_archE942ELNS1_3gpuE9ELNS1_3repE0EEENS1_30default_config_static_selectorELNS0_4arch9wavefront6targetE1EEEvT1_,comdat
	.protected	_ZN7rocprim17ROCPRIM_400000_NS6detail17trampoline_kernelINS0_14default_configENS1_35adjacent_difference_config_selectorILb0EfEEZNS1_24adjacent_difference_implIS3_Lb0ELb0EPfS7_N6thrust23THRUST_200600_302600_NS5minusIfEEEE10hipError_tPvRmT2_T3_mT4_P12ihipStream_tbEUlT_E_NS1_11comp_targetILNS1_3genE5ELNS1_11target_archE942ELNS1_3gpuE9ELNS1_3repE0EEENS1_30default_config_static_selectorELNS0_4arch9wavefront6targetE1EEEvT1_ ; -- Begin function _ZN7rocprim17ROCPRIM_400000_NS6detail17trampoline_kernelINS0_14default_configENS1_35adjacent_difference_config_selectorILb0EfEEZNS1_24adjacent_difference_implIS3_Lb0ELb0EPfS7_N6thrust23THRUST_200600_302600_NS5minusIfEEEE10hipError_tPvRmT2_T3_mT4_P12ihipStream_tbEUlT_E_NS1_11comp_targetILNS1_3genE5ELNS1_11target_archE942ELNS1_3gpuE9ELNS1_3repE0EEENS1_30default_config_static_selectorELNS0_4arch9wavefront6targetE1EEEvT1_
	.globl	_ZN7rocprim17ROCPRIM_400000_NS6detail17trampoline_kernelINS0_14default_configENS1_35adjacent_difference_config_selectorILb0EfEEZNS1_24adjacent_difference_implIS3_Lb0ELb0EPfS7_N6thrust23THRUST_200600_302600_NS5minusIfEEEE10hipError_tPvRmT2_T3_mT4_P12ihipStream_tbEUlT_E_NS1_11comp_targetILNS1_3genE5ELNS1_11target_archE942ELNS1_3gpuE9ELNS1_3repE0EEENS1_30default_config_static_selectorELNS0_4arch9wavefront6targetE1EEEvT1_
	.p2align	8
	.type	_ZN7rocprim17ROCPRIM_400000_NS6detail17trampoline_kernelINS0_14default_configENS1_35adjacent_difference_config_selectorILb0EfEEZNS1_24adjacent_difference_implIS3_Lb0ELb0EPfS7_N6thrust23THRUST_200600_302600_NS5minusIfEEEE10hipError_tPvRmT2_T3_mT4_P12ihipStream_tbEUlT_E_NS1_11comp_targetILNS1_3genE5ELNS1_11target_archE942ELNS1_3gpuE9ELNS1_3repE0EEENS1_30default_config_static_selectorELNS0_4arch9wavefront6targetE1EEEvT1_,@function
_ZN7rocprim17ROCPRIM_400000_NS6detail17trampoline_kernelINS0_14default_configENS1_35adjacent_difference_config_selectorILb0EfEEZNS1_24adjacent_difference_implIS3_Lb0ELb0EPfS7_N6thrust23THRUST_200600_302600_NS5minusIfEEEE10hipError_tPvRmT2_T3_mT4_P12ihipStream_tbEUlT_E_NS1_11comp_targetILNS1_3genE5ELNS1_11target_archE942ELNS1_3gpuE9ELNS1_3repE0EEENS1_30default_config_static_selectorELNS0_4arch9wavefront6targetE1EEEvT1_: ; @_ZN7rocprim17ROCPRIM_400000_NS6detail17trampoline_kernelINS0_14default_configENS1_35adjacent_difference_config_selectorILb0EfEEZNS1_24adjacent_difference_implIS3_Lb0ELb0EPfS7_N6thrust23THRUST_200600_302600_NS5minusIfEEEE10hipError_tPvRmT2_T3_mT4_P12ihipStream_tbEUlT_E_NS1_11comp_targetILNS1_3genE5ELNS1_11target_archE942ELNS1_3gpuE9ELNS1_3repE0EEENS1_30default_config_static_selectorELNS0_4arch9wavefront6targetE1EEEvT1_
; %bb.0:
	s_load_dwordx8 s[4:11], s[0:1], 0x0
	v_bfrev_b32_e32 v1, 1
	s_movk_i32 s3, 0x7c0
	s_load_dwordx2 s[0:1], s[0:1], 0x30
	s_mul_i32 s12, s2, 0x7c0
	s_waitcnt lgkmcnt(0)
	s_lshl_b64 s[14:15], s[6:7], 2
	s_add_u32 s20, s4, s14
	s_addc_u32 s21, s5, s15
	s_mov_b32 s4, 0x90841c60
	s_add_u32 s4, 0x230, s4
	s_addc_u32 s5, 0, 0
	v_add_co_u32_e32 v1, vcc, s4, v1
	s_cmp_lg_u64 vcc, 0
	v_readfirstlane_b32 s6, v1
	s_addc_u32 s4, s5, 0x210841
	s_mul_hi_u32 s7, s6, 0xfffff840
	s_mul_i32 s5, s4, 0xfffff840
	s_sub_i32 s7, s7, s6
	s_add_i32 s7, s7, s5
	s_mul_i32 s17, s6, 0xfffff840
	s_mul_hi_u32 s5, s6, s7
	s_mul_i32 s16, s6, s7
	s_mul_hi_u32 s6, s6, s17
	s_add_u32 s6, s6, s16
	s_addc_u32 s5, 0, s5
	s_mul_hi_u32 s18, s4, s17
	s_mul_i32 s17, s4, s17
	s_add_u32 s6, s6, s17
	s_mul_hi_u32 s16, s4, s7
	s_addc_u32 s5, s5, s18
	s_addc_u32 s6, s16, 0
	s_mul_i32 s7, s4, s7
	s_add_u32 s5, s5, s7
	s_addc_u32 s6, 0, s6
	v_add_co_u32_e32 v1, vcc, s5, v1
	s_cmp_lg_u64 vcc, 0
	s_addc_u32 s4, s4, s6
	v_readfirstlane_b32 s7, v1
	s_mul_i32 s6, s10, s4
	s_mul_hi_u32 s16, s10, s7
	s_mul_hi_u32 s5, s10, s4
	s_add_u32 s6, s16, s6
	s_addc_u32 s5, 0, s5
	s_mul_hi_u32 s17, s11, s7
	s_mul_i32 s7, s11, s7
	s_add_u32 s6, s6, s7
	s_mul_hi_u32 s16, s11, s4
	s_addc_u32 s5, s5, s17
	s_addc_u32 s6, s16, 0
	s_mul_i32 s4, s11, s4
	s_add_u32 s4, s5, s4
	s_addc_u32 s5, 0, s6
	s_add_u32 s6, s4, 1
	s_addc_u32 s7, s5, 0
	s_add_u32 s16, s4, 2
	s_mul_i32 s18, s5, 0x7c0
	s_mul_hi_u32 s19, s4, 0x7c0
	s_addc_u32 s17, s5, 0
	s_add_i32 s19, s19, s18
	s_mul_i32 s18, s4, 0x7c0
	v_mov_b32_e32 v1, s18
	v_sub_co_u32_e32 v1, vcc, s10, v1
	s_cmp_lg_u64 vcc, 0
	s_subb_u32 s18, s11, s19
	v_subrev_co_u32_e32 v2, vcc, s3, v1
	s_cmp_lg_u64 vcc, 0
	s_subb_u32 s3, s18, 0
	v_readfirstlane_b32 s19, v2
	s_cmpk_gt_u32 s19, 0x7bf
	s_cselect_b32 s19, -1, 0
	s_cmp_eq_u32 s3, 0
	s_cselect_b32 s3, s19, -1
	s_cmp_lg_u32 s3, 0
	s_cselect_b32 s3, s16, s6
	s_cselect_b32 s6, s17, s7
	v_readfirstlane_b32 s7, v1
	s_cmpk_gt_u32 s7, 0x7bf
	s_cselect_b32 s7, -1, 0
	s_cmp_eq_u32 s18, 0
	s_cselect_b32 s7, s7, -1
	s_cmp_lg_u32 s7, 0
	s_cselect_b32 s6, s6, s5
	s_cselect_b32 s3, s3, s4
	s_mul_i32 s4, s6, 0x7c0
	s_mul_hi_u32 s5, s3, 0x7c0
	s_add_i32 s5, s5, s4
	s_mul_i32 s4, s3, 0x7c0
	s_sub_u32 s4, s10, s4
	s_subb_u32 s5, s11, s5
	s_cmp_lg_u64 s[4:5], 0
	s_cselect_b64 s[4:5], -1, 0
	v_cndmask_b32_e64 v1, 0, 1, s[4:5]
	s_mov_b32 s13, 0
	v_readfirstlane_b32 s4, v1
	s_add_u32 s4, s3, s4
	s_addc_u32 s5, s6, 0
	s_add_u32 s2, s0, s2
	s_addc_u32 s3, s1, 0
	s_add_u32 s6, s4, -1
	s_addc_u32 s7, s5, -1
	v_mov_b64_e32 v[2:3], s[6:7]
	v_cmp_ge_u64_e64 s[0:1], s[2:3], v[2:3]
	s_mov_b64 s[16:17], -1
	s_and_b64 vcc, exec, s[0:1]
	s_mul_i32 s11, s6, 0xfffff840
	s_cbranch_vccz .LBB155_64
; %bb.1:
	s_add_i32 s22, s11, s10
	s_lshl_b64 s[16:17], s[12:13], 2
	s_add_u32 s16, s20, s16
	s_addc_u32 s17, s21, s17
	v_cmp_gt_u32_e32 vcc, s22, v0
                                        ; implicit-def: $vgpr1
	s_and_saveexec_b64 s[18:19], vcc
	s_cbranch_execz .LBB155_3
; %bb.2:
	v_lshlrev_b32_e32 v1, 2, v0
	global_load_dword v1, v1, s[16:17]
.LBB155_3:
	s_or_b64 exec, exec, s[18:19]
	v_or_b32_e32 v2, 64, v0
	v_cmp_gt_u32_e32 vcc, s22, v2
                                        ; implicit-def: $vgpr2
	s_and_saveexec_b64 s[18:19], vcc
	s_cbranch_execz .LBB155_5
; %bb.4:
	v_lshlrev_b32_e32 v2, 2, v0
	global_load_dword v2, v2, s[16:17] offset:256
.LBB155_5:
	s_or_b64 exec, exec, s[18:19]
	v_or_b32_e32 v3, 0x80, v0
	v_cmp_gt_u32_e32 vcc, s22, v3
                                        ; implicit-def: $vgpr3
	s_and_saveexec_b64 s[18:19], vcc
	s_cbranch_execz .LBB155_7
; %bb.6:
	v_lshlrev_b32_e32 v3, 2, v0
	global_load_dword v3, v3, s[16:17] offset:512
.LBB155_7:
	s_or_b64 exec, exec, s[18:19]
	v_or_b32_e32 v4, 0xc0, v0
	v_cmp_gt_u32_e32 vcc, s22, v4
                                        ; implicit-def: $vgpr4
	s_and_saveexec_b64 s[18:19], vcc
	s_cbranch_execz .LBB155_9
; %bb.8:
	v_lshlrev_b32_e32 v4, 2, v0
	global_load_dword v4, v4, s[16:17] offset:768
.LBB155_9:
	s_or_b64 exec, exec, s[18:19]
	v_or_b32_e32 v5, 0x100, v0
	v_cmp_gt_u32_e32 vcc, s22, v5
                                        ; implicit-def: $vgpr5
	s_and_saveexec_b64 s[18:19], vcc
	s_cbranch_execz .LBB155_11
; %bb.10:
	v_lshlrev_b32_e32 v5, 2, v0
	global_load_dword v5, v5, s[16:17] offset:1024
.LBB155_11:
	s_or_b64 exec, exec, s[18:19]
	v_or_b32_e32 v6, 0x140, v0
	v_cmp_gt_u32_e32 vcc, s22, v6
                                        ; implicit-def: $vgpr6
	s_and_saveexec_b64 s[18:19], vcc
	s_cbranch_execz .LBB155_13
; %bb.12:
	v_lshlrev_b32_e32 v6, 2, v0
	global_load_dword v6, v6, s[16:17] offset:1280
.LBB155_13:
	s_or_b64 exec, exec, s[18:19]
	v_or_b32_e32 v7, 0x180, v0
	v_cmp_gt_u32_e32 vcc, s22, v7
                                        ; implicit-def: $vgpr7
	s_and_saveexec_b64 s[18:19], vcc
	s_cbranch_execz .LBB155_15
; %bb.14:
	v_lshlrev_b32_e32 v7, 2, v0
	global_load_dword v7, v7, s[16:17] offset:1536
.LBB155_15:
	s_or_b64 exec, exec, s[18:19]
	v_or_b32_e32 v8, 0x1c0, v0
	v_cmp_gt_u32_e32 vcc, s22, v8
                                        ; implicit-def: $vgpr8
	s_and_saveexec_b64 s[18:19], vcc
	s_cbranch_execz .LBB155_17
; %bb.16:
	v_lshlrev_b32_e32 v8, 2, v0
	global_load_dword v8, v8, s[16:17] offset:1792
.LBB155_17:
	s_or_b64 exec, exec, s[18:19]
	v_or_b32_e32 v9, 0x200, v0
	v_cmp_gt_u32_e32 vcc, s22, v9
                                        ; implicit-def: $vgpr9
	s_and_saveexec_b64 s[18:19], vcc
	s_cbranch_execz .LBB155_19
; %bb.18:
	v_lshlrev_b32_e32 v9, 2, v0
	global_load_dword v9, v9, s[16:17] offset:2048
.LBB155_19:
	s_or_b64 exec, exec, s[18:19]
	v_or_b32_e32 v10, 0x240, v0
	v_cmp_gt_u32_e32 vcc, s22, v10
                                        ; implicit-def: $vgpr10
	s_and_saveexec_b64 s[18:19], vcc
	s_cbranch_execz .LBB155_21
; %bb.20:
	v_lshlrev_b32_e32 v10, 2, v0
	global_load_dword v10, v10, s[16:17] offset:2304
.LBB155_21:
	s_or_b64 exec, exec, s[18:19]
	v_or_b32_e32 v11, 0x280, v0
	v_cmp_gt_u32_e32 vcc, s22, v11
                                        ; implicit-def: $vgpr11
	s_and_saveexec_b64 s[18:19], vcc
	s_cbranch_execz .LBB155_23
; %bb.22:
	v_lshlrev_b32_e32 v11, 2, v0
	global_load_dword v11, v11, s[16:17] offset:2560
.LBB155_23:
	s_or_b64 exec, exec, s[18:19]
	v_or_b32_e32 v12, 0x2c0, v0
	v_cmp_gt_u32_e32 vcc, s22, v12
                                        ; implicit-def: $vgpr12
	s_and_saveexec_b64 s[18:19], vcc
	s_cbranch_execz .LBB155_25
; %bb.24:
	v_lshlrev_b32_e32 v12, 2, v0
	global_load_dword v12, v12, s[16:17] offset:2816
.LBB155_25:
	s_or_b64 exec, exec, s[18:19]
	v_or_b32_e32 v13, 0x300, v0
	v_cmp_gt_u32_e32 vcc, s22, v13
                                        ; implicit-def: $vgpr13
	s_and_saveexec_b64 s[18:19], vcc
	s_cbranch_execz .LBB155_27
; %bb.26:
	v_lshlrev_b32_e32 v13, 2, v0
	global_load_dword v13, v13, s[16:17] offset:3072
.LBB155_27:
	s_or_b64 exec, exec, s[18:19]
	v_or_b32_e32 v14, 0x340, v0
	v_cmp_gt_u32_e32 vcc, s22, v14
                                        ; implicit-def: $vgpr14
	s_and_saveexec_b64 s[18:19], vcc
	s_cbranch_execz .LBB155_29
; %bb.28:
	v_lshlrev_b32_e32 v14, 2, v0
	global_load_dword v14, v14, s[16:17] offset:3328
.LBB155_29:
	s_or_b64 exec, exec, s[18:19]
	v_or_b32_e32 v15, 0x380, v0
	v_cmp_gt_u32_e32 vcc, s22, v15
                                        ; implicit-def: $vgpr15
	s_and_saveexec_b64 s[18:19], vcc
	s_cbranch_execz .LBB155_31
; %bb.30:
	v_lshlrev_b32_e32 v15, 2, v0
	global_load_dword v15, v15, s[16:17] offset:3584
.LBB155_31:
	s_or_b64 exec, exec, s[18:19]
	v_or_b32_e32 v16, 0x3c0, v0
	v_cmp_gt_u32_e32 vcc, s22, v16
                                        ; implicit-def: $vgpr16
	s_and_saveexec_b64 s[18:19], vcc
	s_cbranch_execz .LBB155_33
; %bb.32:
	v_lshlrev_b32_e32 v16, 2, v0
	global_load_dword v16, v16, s[16:17] offset:3840
.LBB155_33:
	s_or_b64 exec, exec, s[18:19]
	v_or_b32_e32 v18, 0x400, v0
	v_cmp_gt_u32_e32 vcc, s22, v18
                                        ; implicit-def: $vgpr17
	s_and_saveexec_b64 s[18:19], vcc
	s_cbranch_execz .LBB155_35
; %bb.34:
	v_lshlrev_b32_e32 v17, 2, v18
	global_load_dword v17, v17, s[16:17]
.LBB155_35:
	s_or_b64 exec, exec, s[18:19]
	v_or_b32_e32 v19, 0x440, v0
	v_cmp_gt_u32_e32 vcc, s22, v19
                                        ; implicit-def: $vgpr18
	s_and_saveexec_b64 s[18:19], vcc
	s_cbranch_execz .LBB155_37
; %bb.36:
	v_lshlrev_b32_e32 v18, 2, v19
	global_load_dword v18, v18, s[16:17]
.LBB155_37:
	s_or_b64 exec, exec, s[18:19]
	v_or_b32_e32 v20, 0x480, v0
	v_cmp_gt_u32_e32 vcc, s22, v20
                                        ; implicit-def: $vgpr19
	s_and_saveexec_b64 s[18:19], vcc
	s_cbranch_execz .LBB155_39
; %bb.38:
	v_lshlrev_b32_e32 v19, 2, v20
	global_load_dword v19, v19, s[16:17]
.LBB155_39:
	s_or_b64 exec, exec, s[18:19]
	v_or_b32_e32 v21, 0x4c0, v0
	v_cmp_gt_u32_e32 vcc, s22, v21
                                        ; implicit-def: $vgpr20
	s_and_saveexec_b64 s[18:19], vcc
	s_cbranch_execz .LBB155_41
; %bb.40:
	v_lshlrev_b32_e32 v20, 2, v21
	global_load_dword v20, v20, s[16:17]
.LBB155_41:
	s_or_b64 exec, exec, s[18:19]
	v_or_b32_e32 v22, 0x500, v0
	v_cmp_gt_u32_e32 vcc, s22, v22
                                        ; implicit-def: $vgpr21
	s_and_saveexec_b64 s[18:19], vcc
	s_cbranch_execz .LBB155_43
; %bb.42:
	v_lshlrev_b32_e32 v21, 2, v22
	global_load_dword v21, v21, s[16:17]
.LBB155_43:
	s_or_b64 exec, exec, s[18:19]
	v_or_b32_e32 v23, 0x540, v0
	v_cmp_gt_u32_e32 vcc, s22, v23
                                        ; implicit-def: $vgpr22
	s_and_saveexec_b64 s[18:19], vcc
	s_cbranch_execz .LBB155_45
; %bb.44:
	v_lshlrev_b32_e32 v22, 2, v23
	global_load_dword v22, v22, s[16:17]
.LBB155_45:
	s_or_b64 exec, exec, s[18:19]
	v_or_b32_e32 v24, 0x580, v0
	v_cmp_gt_u32_e32 vcc, s22, v24
                                        ; implicit-def: $vgpr23
	s_and_saveexec_b64 s[18:19], vcc
	s_cbranch_execz .LBB155_47
; %bb.46:
	v_lshlrev_b32_e32 v23, 2, v24
	global_load_dword v23, v23, s[16:17]
.LBB155_47:
	s_or_b64 exec, exec, s[18:19]
	v_or_b32_e32 v25, 0x5c0, v0
	v_cmp_gt_u32_e32 vcc, s22, v25
                                        ; implicit-def: $vgpr24
	s_and_saveexec_b64 s[18:19], vcc
	s_cbranch_execz .LBB155_49
; %bb.48:
	v_lshlrev_b32_e32 v24, 2, v25
	global_load_dword v24, v24, s[16:17]
.LBB155_49:
	s_or_b64 exec, exec, s[18:19]
	v_or_b32_e32 v26, 0x600, v0
	v_cmp_gt_u32_e32 vcc, s22, v26
                                        ; implicit-def: $vgpr25
	s_and_saveexec_b64 s[18:19], vcc
	s_cbranch_execz .LBB155_51
; %bb.50:
	v_lshlrev_b32_e32 v25, 2, v26
	global_load_dword v25, v25, s[16:17]
.LBB155_51:
	s_or_b64 exec, exec, s[18:19]
	v_or_b32_e32 v27, 0x640, v0
	v_cmp_gt_u32_e32 vcc, s22, v27
                                        ; implicit-def: $vgpr26
	s_and_saveexec_b64 s[18:19], vcc
	s_cbranch_execz .LBB155_53
; %bb.52:
	v_lshlrev_b32_e32 v26, 2, v27
	global_load_dword v26, v26, s[16:17]
.LBB155_53:
	s_or_b64 exec, exec, s[18:19]
	v_or_b32_e32 v28, 0x680, v0
	v_cmp_gt_u32_e32 vcc, s22, v28
                                        ; implicit-def: $vgpr27
	s_and_saveexec_b64 s[18:19], vcc
	s_cbranch_execz .LBB155_55
; %bb.54:
	v_lshlrev_b32_e32 v27, 2, v28
	global_load_dword v27, v27, s[16:17]
.LBB155_55:
	s_or_b64 exec, exec, s[18:19]
	v_or_b32_e32 v29, 0x6c0, v0
	v_cmp_gt_u32_e32 vcc, s22, v29
                                        ; implicit-def: $vgpr28
	s_and_saveexec_b64 s[18:19], vcc
	s_cbranch_execz .LBB155_57
; %bb.56:
	v_lshlrev_b32_e32 v28, 2, v29
	global_load_dword v28, v28, s[16:17]
.LBB155_57:
	s_or_b64 exec, exec, s[18:19]
	v_or_b32_e32 v30, 0x700, v0
	v_cmp_gt_u32_e32 vcc, s22, v30
                                        ; implicit-def: $vgpr29
	s_and_saveexec_b64 s[18:19], vcc
	s_cbranch_execz .LBB155_59
; %bb.58:
	v_lshlrev_b32_e32 v29, 2, v30
	global_load_dword v29, v29, s[16:17]
.LBB155_59:
	s_or_b64 exec, exec, s[18:19]
	v_or_b32_e32 v31, 0x740, v0
	v_cmp_gt_u32_e32 vcc, s22, v31
                                        ; implicit-def: $vgpr30
	s_and_saveexec_b64 s[18:19], vcc
	s_cbranch_execz .LBB155_61
; %bb.60:
	v_lshlrev_b32_e32 v30, 2, v31
	global_load_dword v30, v30, s[16:17]
.LBB155_61:
	s_or_b64 exec, exec, s[18:19]
	v_or_b32_e32 v32, 0x780, v0
	v_cmp_gt_u32_e32 vcc, s22, v32
                                        ; implicit-def: $vgpr31
	s_and_saveexec_b64 s[18:19], vcc
	s_cbranch_execz .LBB155_63
; %bb.62:
	v_lshlrev_b32_e32 v31, 2, v32
	global_load_dword v31, v31, s[16:17]
.LBB155_63:
	s_or_b64 exec, exec, s[18:19]
	v_lshlrev_b32_e32 v32, 2, v0
	s_mov_b64 s[16:17], 0
	s_waitcnt vmcnt(0)
	ds_write2st64_b32 v32, v1, v2 offset1:1
	ds_write2st64_b32 v32, v3, v4 offset0:2 offset1:3
	ds_write2st64_b32 v32, v5, v6 offset0:4 offset1:5
	;; [unrolled: 1-line block ×14, first 2 shown]
	ds_write_b32 v32, v31 offset:7680
	s_waitcnt lgkmcnt(0)
	; wave barrier
.LBB155_64:
	s_and_b64 vcc, exec, s[16:17]
	v_lshlrev_b32_e32 v2, 2, v0
	s_cbranch_vccz .LBB155_66
; %bb.65:
	s_lshl_b64 s[16:17], s[12:13], 2
	s_add_u32 s16, s20, s16
	s_addc_u32 s17, s21, s17
	v_mov_b32_e32 v3, 0
	v_lshl_add_u64 v[4:5], s[16:17], 0, v[2:3]
	s_movk_i32 s13, 0x1000
	v_add_co_u32_e32 v4, vcc, s13, v4
	global_load_dword v1, v2, s[16:17]
	global_load_dword v3, v2, s[16:17] offset:256
	global_load_dword v6, v2, s[16:17] offset:512
	global_load_dword v7, v2, s[16:17] offset:768
	global_load_dword v8, v2, s[16:17] offset:1024
	global_load_dword v9, v2, s[16:17] offset:1280
	global_load_dword v10, v2, s[16:17] offset:1536
	global_load_dword v11, v2, s[16:17] offset:1792
	global_load_dword v12, v2, s[16:17] offset:2048
	global_load_dword v13, v2, s[16:17] offset:2304
	global_load_dword v14, v2, s[16:17] offset:2560
	global_load_dword v15, v2, s[16:17] offset:2816
	global_load_dword v16, v2, s[16:17] offset:3072
	global_load_dword v17, v2, s[16:17] offset:3328
	global_load_dword v18, v2, s[16:17] offset:3584
	global_load_dword v19, v2, s[16:17] offset:3840
	v_addc_co_u32_e32 v5, vcc, 0, v5, vcc
	global_load_dword v20, v[4:5], off
	global_load_dword v21, v[4:5], off offset:256
	global_load_dword v22, v[4:5], off offset:512
	;; [unrolled: 1-line block ×14, first 2 shown]
	s_waitcnt vmcnt(29)
	ds_write2st64_b32 v2, v1, v3 offset1:1
	s_waitcnt vmcnt(27)
	ds_write2st64_b32 v2, v6, v7 offset0:2 offset1:3
	s_waitcnt vmcnt(25)
	ds_write2st64_b32 v2, v8, v9 offset0:4 offset1:5
	;; [unrolled: 2-line block ×14, first 2 shown]
	s_waitcnt vmcnt(0)
	ds_write_b32 v2, v34 offset:7680
	s_waitcnt lgkmcnt(0)
	; wave barrier
.LBB155_66:
	v_mul_u32_u24_e32 v1, 31, v0
	v_lshlrev_b32_e32 v1, 2, v1
	s_waitcnt lgkmcnt(0)
	ds_read2_b32 v[30:31], v1 offset1:1
	ds_read2_b32 v[34:35], v1 offset0:2 offset1:3
	ds_read2_b32 v[36:37], v1 offset0:4 offset1:5
	;; [unrolled: 1-line block ×11, first 2 shown]
	ds_read_b32 v3, v1 offset:120
	ds_read2_b32 v[60:61], v1 offset0:28 offset1:29
	ds_read2_b32 v[58:59], v1 offset0:26 offset1:27
	;; [unrolled: 1-line block ×3, first 2 shown]
	s_cmp_eq_u64 s[2:3], 0
	s_waitcnt lgkmcnt(0)
	; wave barrier
	s_waitcnt lgkmcnt(0)
	s_cbranch_scc1 .LBB155_71
; %bb.67:
	s_mov_b32 s13, 0
	s_lshl_b64 s[16:17], s[12:13], 2
	s_add_u32 s13, s20, s16
	s_addc_u32 s17, s21, s17
	s_add_u32 s16, s13, -4
	s_addc_u32 s17, s17, -1
	s_load_dword s13, s[16:17], 0x0
	s_cmp_eq_u64 s[2:3], s[6:7]
	s_cbranch_scc1 .LBB155_72
; %bb.68:
	v_cmp_ne_u32_e32 vcc, 0, v0
	s_waitcnt lgkmcnt(0)
	v_mov_b32_e32 v62, s13
	ds_write_b32 v2, v3
	s_waitcnt lgkmcnt(0)
	; wave barrier
	s_waitcnt lgkmcnt(0)
	s_and_saveexec_b64 s[6:7], vcc
	s_cbranch_execz .LBB155_70
; %bb.69:
	v_add_u32_e32 v1, -4, v2
	ds_read_b32 v62, v1
.LBB155_70:
	s_or_b64 exec, exec, s[6:7]
	v_mov_b32_e32 v4, v59
	v_mov_b32_e32 v5, v60
	;; [unrolled: 1-line block ×28, first 2 shown]
	v_sub_f32_e32 v64, v3, v61
	v_pk_add_f32 v[4:5], v[60:61], v[4:5] neg_lo:[0,1] neg_hi:[0,1]
	v_pk_add_f32 v[6:7], v[58:59], v[6:7] neg_lo:[0,1] neg_hi:[0,1]
	;; [unrolled: 1-line block ×14, first 2 shown]
	v_sub_f32_e32 v1, v31, v30
	s_waitcnt lgkmcnt(0)
	v_sub_f32_e32 v65, v30, v62
	s_branch .LBB155_76
.LBB155_71:
                                        ; implicit-def: $vgpr1
                                        ; implicit-def: $vgpr65
                                        ; implicit-def: $vgpr4_vgpr5
                                        ; implicit-def: $vgpr6_vgpr7
                                        ; implicit-def: $vgpr8_vgpr9
                                        ; implicit-def: $vgpr10_vgpr11
                                        ; implicit-def: $vgpr12_vgpr13
                                        ; implicit-def: $vgpr14_vgpr15
                                        ; implicit-def: $vgpr16_vgpr17
                                        ; implicit-def: $vgpr18_vgpr19
                                        ; implicit-def: $vgpr20_vgpr21
                                        ; implicit-def: $vgpr22_vgpr23
                                        ; implicit-def: $vgpr24_vgpr25
                                        ; implicit-def: $vgpr26_vgpr27
                                        ; implicit-def: $vgpr28_vgpr29
                                        ; implicit-def: $vgpr32_vgpr33
                                        ; implicit-def: $vgpr64
	s_branch .LBB155_77
.LBB155_72:
                                        ; implicit-def: $vgpr1
                                        ; implicit-def: $vgpr65
                                        ; implicit-def: $vgpr4_vgpr5
                                        ; implicit-def: $vgpr6_vgpr7
                                        ; implicit-def: $vgpr8_vgpr9
                                        ; implicit-def: $vgpr10_vgpr11
                                        ; implicit-def: $vgpr12_vgpr13
                                        ; implicit-def: $vgpr14_vgpr15
                                        ; implicit-def: $vgpr16_vgpr17
                                        ; implicit-def: $vgpr18_vgpr19
                                        ; implicit-def: $vgpr20_vgpr21
                                        ; implicit-def: $vgpr22_vgpr23
                                        ; implicit-def: $vgpr24_vgpr25
                                        ; implicit-def: $vgpr26_vgpr27
                                        ; implicit-def: $vgpr28_vgpr29
                                        ; implicit-def: $vgpr32_vgpr33
                                        ; implicit-def: $vgpr64
	s_cbranch_execz .LBB155_76
; %bb.73:
	v_mul_u32_u24_e32 v62, 31, v0
	v_cmp_ne_u32_e32 vcc, 0, v0
	s_waitcnt lgkmcnt(0)
	v_mov_b32_e32 v63, s13
	ds_write_b32 v2, v3
	s_waitcnt lgkmcnt(0)
	; wave barrier
	s_waitcnt lgkmcnt(0)
	s_and_saveexec_b64 s[6:7], vcc
	s_cbranch_execz .LBB155_75
; %bb.74:
	v_add_u32_e32 v1, -4, v2
	ds_read_b32 v63, v1
.LBB155_75:
	s_or_b64 exec, exec, s[6:7]
	s_mulk_i32 s2, 0xf840
	s_add_i32 s2, s2, s10
	v_add_u32_e32 v1, 30, v62
	v_sub_f32_e32 v4, v3, v61
	v_cmp_gt_u32_e32 vcc, s2, v1
	v_add_u32_e32 v1, 29, v62
	v_mov_b32_e32 v5, v60
	v_cndmask_b32_e32 v64, v3, v4, vcc
	v_mov_b32_e32 v4, v59
	v_add_u32_e32 v6, 28, v62
	v_pk_add_f32 v[4:5], v[60:61], v[4:5] neg_lo:[0,1] neg_hi:[0,1]
	v_cmp_gt_u32_e32 vcc, s2, v1
	v_add_u32_e32 v1, 27, v62
	v_mov_b32_e32 v7, v58
	v_cndmask_b32_e32 v5, v61, v5, vcc
	v_cmp_gt_u32_e32 vcc, s2, v6
	v_mov_b32_e32 v6, v57
	v_add_u32_e32 v8, 26, v62
	v_cndmask_b32_e32 v4, v60, v4, vcc
	v_pk_add_f32 v[6:7], v[58:59], v[6:7] neg_lo:[0,1] neg_hi:[0,1]
	v_cmp_gt_u32_e32 vcc, s2, v1
	v_add_u32_e32 v1, 25, v62
	v_mov_b32_e32 v9, v56
	v_cndmask_b32_e32 v7, v59, v7, vcc
	v_cmp_gt_u32_e32 vcc, s2, v8
	v_mov_b32_e32 v8, v55
	v_add_u32_e32 v10, 24, v62
	v_cndmask_b32_e32 v6, v58, v6, vcc
	;; [unrolled: 9-line block ×12, first 2 shown]
	v_pk_add_f32 v[28:29], v[36:37], v[28:29] neg_lo:[0,1] neg_hi:[0,1]
	v_cmp_gt_u32_e32 vcc, s2, v1
	v_mov_b32_e32 v33, v34
	v_add_u32_e32 v1, 3, v62
	v_cndmask_b32_e32 v29, v37, v29, vcc
	v_cmp_gt_u32_e32 vcc, s2, v32
	v_mov_b32_e32 v32, v31
	v_pk_add_f32 v[32:33], v[34:35], v[32:33] neg_lo:[0,1] neg_hi:[0,1]
	v_cndmask_b32_e32 v28, v36, v28, vcc
	v_add_u32_e32 v65, 2, v62
	v_cmp_gt_u32_e32 vcc, s2, v1
	v_add_u32_e32 v1, 1, v62
	s_waitcnt lgkmcnt(0)
	v_sub_f32_e32 v63, v30, v63
	v_cndmask_b32_e32 v33, v35, v33, vcc
	v_cmp_gt_u32_e32 vcc, s2, v65
	v_sub_f32_e32 v65, v31, v30
	s_nop 0
	v_cndmask_b32_e32 v32, v34, v32, vcc
	v_cmp_gt_u32_e32 vcc, s2, v1
	s_nop 1
	v_cndmask_b32_e32 v1, v31, v65, vcc
	v_cmp_gt_u32_e32 vcc, s2, v62
	s_nop 1
	v_cndmask_b32_e32 v65, v30, v63, vcc
.LBB155_76:
	s_cbranch_execnz .LBB155_85
.LBB155_77:
	s_cmp_eq_u64 s[4:5], 1
	v_sub_f32_e32 v1, v31, v30
	v_cmp_ne_u32_e32 vcc, 0, v0
	s_cbranch_scc1 .LBB155_81
; %bb.78:
	v_mov_b32_e32 v4, v59
	v_mov_b32_e32 v5, v60
	;; [unrolled: 1-line block ×29, first 2 shown]
	ds_write_b32 v2, v3
	s_waitcnt lgkmcnt(0)
	; wave barrier
	s_waitcnt lgkmcnt(0)
	s_and_saveexec_b64 s[2:3], vcc
	s_cbranch_execz .LBB155_80
; %bb.79:
	v_add_u32_e32 v62, -4, v2
	ds_read_b32 v62, v62
	s_waitcnt lgkmcnt(0)
	v_sub_f32_e32 v65, v30, v62
.LBB155_80:
	s_or_b64 exec, exec, s[2:3]
	v_sub_f32_e32 v64, v3, v61
	v_pk_add_f32 v[4:5], v[60:61], v[4:5] neg_lo:[0,1] neg_hi:[0,1]
	v_pk_add_f32 v[6:7], v[58:59], v[6:7] neg_lo:[0,1] neg_hi:[0,1]
	;; [unrolled: 1-line block ×14, first 2 shown]
	s_cbranch_execz .LBB155_82
	s_branch .LBB155_85
.LBB155_81:
                                        ; implicit-def: $vgpr65
                                        ; implicit-def: $vgpr4_vgpr5
                                        ; implicit-def: $vgpr6_vgpr7
                                        ; implicit-def: $vgpr8_vgpr9
                                        ; implicit-def: $vgpr10_vgpr11
                                        ; implicit-def: $vgpr12_vgpr13
                                        ; implicit-def: $vgpr14_vgpr15
                                        ; implicit-def: $vgpr16_vgpr17
                                        ; implicit-def: $vgpr18_vgpr19
                                        ; implicit-def: $vgpr20_vgpr21
                                        ; implicit-def: $vgpr22_vgpr23
                                        ; implicit-def: $vgpr24_vgpr25
                                        ; implicit-def: $vgpr26_vgpr27
                                        ; implicit-def: $vgpr28_vgpr29
                                        ; implicit-def: $vgpr32_vgpr33
                                        ; implicit-def: $vgpr64
.LBB155_82:
	v_mad_u32_u24 v4, v0, 31, 30
	v_cmp_gt_u32_e32 vcc, s10, v4
	v_mad_u32_u24 v6, v0, 31, 29
	v_mov_b32_e32 v4, v59
	v_mov_b32_e32 v5, v60
	v_mad_u32_u24 v7, v0, 31, 28
	v_pk_add_f32 v[4:5], v[60:61], v[4:5] neg_lo:[0,1] neg_hi:[0,1]
	v_cmp_gt_u32_e64 s[2:3], s10, v6
	v_mad_u32_u24 v8, v0, 31, 27
	v_mov_b32_e32 v6, v57
	v_cndmask_b32_e64 v5, v61, v5, s[2:3]
	v_cmp_gt_u32_e64 s[2:3], s10, v7
	v_mov_b32_e32 v7, v58
	v_mad_u32_u24 v9, v0, 31, 26
	v_cndmask_b32_e64 v4, v60, v4, s[2:3]
	v_pk_add_f32 v[6:7], v[58:59], v[6:7] neg_lo:[0,1] neg_hi:[0,1]
	v_cmp_gt_u32_e64 s[2:3], s10, v8
	v_mad_u32_u24 v10, v0, 31, 25
	v_mov_b32_e32 v8, v55
	v_cndmask_b32_e64 v7, v59, v7, s[2:3]
	v_cmp_gt_u32_e64 s[2:3], s10, v9
	v_mov_b32_e32 v9, v56
	v_mad_u32_u24 v11, v0, 31, 24
	v_cndmask_b32_e64 v6, v58, v6, s[2:3]
	;; [unrolled: 9-line block ×12, first 2 shown]
	v_pk_add_f32 v[28:29], v[36:37], v[28:29] neg_lo:[0,1] neg_hi:[0,1]
	v_cmp_gt_u32_e64 s[2:3], s10, v32
	v_mov_b32_e32 v32, v31
	v_mul_u32_u24_e32 v63, 31, v0
	v_cndmask_b32_e64 v29, v37, v29, s[2:3]
	v_cmp_gt_u32_e64 s[2:3], s10, v33
	v_mov_b32_e32 v33, v34
	v_pk_add_f32 v[32:33], v[34:35], v[32:33] neg_lo:[0,1] neg_hi:[0,1]
	v_cndmask_b32_e64 v28, v36, v28, s[2:3]
	v_mad_u32_u24 v36, v0, 31, 3
	v_mad_u32_u24 v37, v0, 31, 2
	v_cmp_gt_u32_e64 s[2:3], s10, v36
	v_cmp_ne_u32_e64 s[4:5], 0, v0
	v_cmp_gt_u32_e64 s[6:7], s10, v63
	v_cndmask_b32_e64 v33, v35, v33, s[2:3]
	v_cmp_gt_u32_e64 s[2:3], s10, v37
	v_sub_f32_e32 v62, v3, v61
	s_and_b64 s[6:7], s[4:5], s[6:7]
	v_cndmask_b32_e64 v32, v34, v32, s[2:3]
	v_mad_u32_u24 v34, v0, 31, 1
	v_cmp_gt_u32_e64 s[2:3], s10, v34
	ds_write_b32 v2, v3
	s_waitcnt lgkmcnt(0)
	; wave barrier
	s_waitcnt lgkmcnt(0)
	s_and_saveexec_b64 s[4:5], s[6:7]
	s_cbranch_execz .LBB155_84
; %bb.83:
	v_add_u32_e32 v34, -4, v2
	ds_read_b32 v34, v34
	s_waitcnt lgkmcnt(0)
	v_sub_f32_e32 v30, v30, v34
.LBB155_84:
	s_or_b64 exec, exec, s[4:5]
	v_cndmask_b32_e32 v64, v3, v62, vcc
	v_cndmask_b32_e64 v1, v31, v1, s[2:3]
	v_mov_b32_e32 v65, v30
.LBB155_85:
	s_add_u32 s4, s8, s14
	s_addc_u32 s5, s9, s15
	s_and_b64 vcc, exec, s[0:1]
	s_waitcnt lgkmcnt(0)
	; wave barrier
	s_waitcnt lgkmcnt(0)
	s_cbranch_vccz .LBB155_147
; %bb.86:
	s_movk_i32 s2, 0x7c
	v_mul_i32_i24_e32 v67, 0xffffff88, v0
	v_mul_u32_u24_e32 v66, 0x7c, v0
	v_mad_u32_u24 v3, v0, s2, v67
	ds_write2_b32 v66, v65, v1 offset1:1
	ds_write2_b32 v66, v32, v33 offset0:2 offset1:3
	ds_write2_b32 v66, v28, v29 offset0:4 offset1:5
	;; [unrolled: 1-line block ×14, first 2 shown]
	ds_write_b32 v66, v64 offset:120
	s_waitcnt lgkmcnt(0)
	; wave barrier
	s_waitcnt lgkmcnt(0)
	ds_read2st64_b32 v[62:63], v3 offset0:1 offset1:2
	ds_read2st64_b32 v[60:61], v3 offset0:3 offset1:4
	;; [unrolled: 1-line block ×15, first 2 shown]
	s_mov_b32 s13, 0
	s_add_i32 s11, s11, s10
	s_lshl_b64 s[0:1], s[12:13], 2
	s_add_u32 s0, s4, s0
	s_addc_u32 s1, s5, s1
	v_mov_b32_e32 v3, 0
	v_lshl_add_u64 v[34:35], s[0:1], 0, v[2:3]
	v_cmp_gt_u32_e32 vcc, s11, v0
	s_and_saveexec_b64 s[0:1], vcc
	s_cbranch_execz .LBB155_88
; %bb.87:
	v_add_u32_e32 v3, v66, v67
	ds_read_b32 v3, v3
	s_waitcnt lgkmcnt(0)
	global_store_dword v[34:35], v3, off
.LBB155_88:
	s_or_b64 exec, exec, s[0:1]
	v_or_b32_e32 v3, 64, v0
	v_cmp_gt_u32_e32 vcc, s11, v3
	s_and_saveexec_b64 s[0:1], vcc
	s_cbranch_execz .LBB155_90
; %bb.89:
	s_waitcnt lgkmcnt(14)
	global_store_dword v[34:35], v62, off offset:256
.LBB155_90:
	s_or_b64 exec, exec, s[0:1]
	v_or_b32_e32 v3, 0x80, v0
	v_cmp_gt_u32_e32 vcc, s11, v3
	s_and_saveexec_b64 s[0:1], vcc
	s_cbranch_execz .LBB155_92
; %bb.91:
	s_waitcnt lgkmcnt(14)
	global_store_dword v[34:35], v63, off offset:512
.LBB155_92:
	;; [unrolled: 9-line block ×15, first 2 shown]
	s_or_b64 exec, exec, s[0:1]
	v_or_b32_e32 v3, 0x400, v0
	v_cmp_gt_u32_e32 vcc, s11, v3
	s_and_saveexec_b64 s[0:1], vcc
	s_cbranch_execz .LBB155_120
; %bb.119:
	s_waitcnt lgkmcnt(8)
	v_add_co_u32_e32 v50, vcc, 0x1000, v34
	s_nop 1
	v_addc_co_u32_e32 v51, vcc, 0, v35, vcc
	s_waitcnt lgkmcnt(7)
	global_store_dword v[50:51], v49, off
.LBB155_120:
	s_or_b64 exec, exec, s[0:1]
	v_or_b32_e32 v3, 0x440, v0
	v_cmp_gt_u32_e32 vcc, s11, v3
	s_and_saveexec_b64 s[0:1], vcc
	s_cbranch_execz .LBB155_122
; %bb.121:
	s_waitcnt lgkmcnt(7)
	v_add_co_u32_e32 v48, vcc, 0x1000, v34
	s_nop 1
	v_addc_co_u32_e32 v49, vcc, 0, v35, vcc
	s_waitcnt lgkmcnt(6)
	global_store_dword v[48:49], v46, off offset:256
.LBB155_122:
	s_or_b64 exec, exec, s[0:1]
	v_or_b32_e32 v3, 0x480, v0
	v_cmp_gt_u32_e32 vcc, s11, v3
	s_and_saveexec_b64 s[0:1], vcc
	s_cbranch_execz .LBB155_124
; %bb.123:
	s_waitcnt lgkmcnt(7)
	v_add_co_u32_e32 v48, vcc, 0x1000, v34
	s_nop 1
	v_addc_co_u32_e32 v49, vcc, 0, v35, vcc
	s_waitcnt lgkmcnt(6)
	global_store_dword v[48:49], v47, off offset:512
.LBB155_124:
	;; [unrolled: 13-line block ×13, first 2 shown]
	s_or_b64 exec, exec, s[0:1]
	v_or_b32_e32 v3, 0x780, v0
	v_cmp_gt_u32_e64 s[0:1], s11, v3
	s_branch .LBB155_149
.LBB155_147:
	s_mov_b64 s[0:1], 0
                                        ; implicit-def: $vgpr31
                                        ; implicit-def: $vgpr34_vgpr35
	s_cbranch_execz .LBB155_149
; %bb.148:
	s_mov_b32 s13, 0
	s_lshl_b64 s[2:3], s[12:13], 2
	v_mul_u32_u24_e32 v3, 0x7c, v0
	s_add_u32 s2, s4, s2
	s_movk_i32 s4, 0x7c
	ds_write2_b32 v3, v65, v1 offset1:1
	ds_write2_b32 v3, v32, v33 offset0:2 offset1:3
	ds_write2_b32 v3, v28, v29 offset0:4 offset1:5
	;; [unrolled: 1-line block ×14, first 2 shown]
	ds_write_b32 v3, v64 offset:120
	v_mul_i32_i24_e32 v1, 0xffffff88, v0
	v_mad_u32_u24 v3, v0, s4, v1
	s_addc_u32 s3, s5, s3
	s_waitcnt lgkmcnt(0)
	; wave barrier
	s_waitcnt lgkmcnt(0)
	ds_read2st64_b32 v[0:1], v3 offset1:1
	ds_read2st64_b32 v[4:5], v3 offset0:2 offset1:3
	ds_read2st64_b32 v[6:7], v3 offset0:4 offset1:5
	;; [unrolled: 1-line block ×14, first 2 shown]
	ds_read_b32 v31, v3 offset:7680
	v_mov_b32_e32 v3, 0
	v_lshl_add_u64 v[34:35], s[2:3], 0, v[2:3]
	s_waitcnt lgkmcnt(14)
	global_store_dword v2, v0, s[2:3]
	global_store_dword v2, v1, s[2:3] offset:256
	global_store_dword v2, v4, s[2:3] offset:512
	;; [unrolled: 1-line block ×3, first 2 shown]
	s_waitcnt lgkmcnt(13)
	global_store_dword v2, v6, s[2:3] offset:1024
	global_store_dword v2, v7, s[2:3] offset:1280
	s_waitcnt lgkmcnt(12)
	global_store_dword v2, v8, s[2:3] offset:1536
	global_store_dword v2, v9, s[2:3] offset:1792
	;; [unrolled: 3-line block ×6, first 2 shown]
	s_movk_i32 s2, 0x1000
	v_add_co_u32_e32 v0, vcc, s2, v34
	s_or_b64 s[0:1], s[0:1], exec
	s_nop 0
	v_addc_co_u32_e32 v1, vcc, 0, v35, vcc
	s_waitcnt lgkmcnt(7)
	global_store_dword v[0:1], v18, off
	global_store_dword v[0:1], v19, off offset:256
	s_waitcnt lgkmcnt(6)
	global_store_dword v[0:1], v20, off offset:512
	global_store_dword v[0:1], v21, off offset:768
	s_waitcnt lgkmcnt(5)
	global_store_dword v[0:1], v22, off offset:1024
	;; [unrolled: 3-line block ×6, first 2 shown]
	global_store_dword v[0:1], v33, off offset:3328
.LBB155_149:
	s_and_saveexec_b64 s[2:3], s[0:1]
	s_cbranch_execnz .LBB155_151
; %bb.150:
	s_endpgm
.LBB155_151:
	v_add_co_u32_e32 v0, vcc, 0x1000, v34
	s_nop 1
	v_addc_co_u32_e32 v1, vcc, 0, v35, vcc
	s_waitcnt lgkmcnt(0)
	global_store_dword v[0:1], v31, off offset:3584
	s_endpgm
	.section	.rodata,"a",@progbits
	.p2align	6, 0x0
	.amdhsa_kernel _ZN7rocprim17ROCPRIM_400000_NS6detail17trampoline_kernelINS0_14default_configENS1_35adjacent_difference_config_selectorILb0EfEEZNS1_24adjacent_difference_implIS3_Lb0ELb0EPfS7_N6thrust23THRUST_200600_302600_NS5minusIfEEEE10hipError_tPvRmT2_T3_mT4_P12ihipStream_tbEUlT_E_NS1_11comp_targetILNS1_3genE5ELNS1_11target_archE942ELNS1_3gpuE9ELNS1_3repE0EEENS1_30default_config_static_selectorELNS0_4arch9wavefront6targetE1EEEvT1_
		.amdhsa_group_segment_fixed_size 7936
		.amdhsa_private_segment_fixed_size 0
		.amdhsa_kernarg_size 56
		.amdhsa_user_sgpr_count 2
		.amdhsa_user_sgpr_dispatch_ptr 0
		.amdhsa_user_sgpr_queue_ptr 0
		.amdhsa_user_sgpr_kernarg_segment_ptr 1
		.amdhsa_user_sgpr_dispatch_id 0
		.amdhsa_user_sgpr_kernarg_preload_length 0
		.amdhsa_user_sgpr_kernarg_preload_offset 0
		.amdhsa_user_sgpr_private_segment_size 0
		.amdhsa_uses_dynamic_stack 0
		.amdhsa_enable_private_segment 0
		.amdhsa_system_sgpr_workgroup_id_x 1
		.amdhsa_system_sgpr_workgroup_id_y 0
		.amdhsa_system_sgpr_workgroup_id_z 0
		.amdhsa_system_sgpr_workgroup_info 0
		.amdhsa_system_vgpr_workitem_id 0
		.amdhsa_next_free_vgpr 68
		.amdhsa_next_free_sgpr 23
		.amdhsa_accum_offset 68
		.amdhsa_reserve_vcc 1
		.amdhsa_float_round_mode_32 0
		.amdhsa_float_round_mode_16_64 0
		.amdhsa_float_denorm_mode_32 3
		.amdhsa_float_denorm_mode_16_64 3
		.amdhsa_dx10_clamp 1
		.amdhsa_ieee_mode 1
		.amdhsa_fp16_overflow 0
		.amdhsa_tg_split 0
		.amdhsa_exception_fp_ieee_invalid_op 0
		.amdhsa_exception_fp_denorm_src 0
		.amdhsa_exception_fp_ieee_div_zero 0
		.amdhsa_exception_fp_ieee_overflow 0
		.amdhsa_exception_fp_ieee_underflow 0
		.amdhsa_exception_fp_ieee_inexact 0
		.amdhsa_exception_int_div_zero 0
	.end_amdhsa_kernel
	.section	.text._ZN7rocprim17ROCPRIM_400000_NS6detail17trampoline_kernelINS0_14default_configENS1_35adjacent_difference_config_selectorILb0EfEEZNS1_24adjacent_difference_implIS3_Lb0ELb0EPfS7_N6thrust23THRUST_200600_302600_NS5minusIfEEEE10hipError_tPvRmT2_T3_mT4_P12ihipStream_tbEUlT_E_NS1_11comp_targetILNS1_3genE5ELNS1_11target_archE942ELNS1_3gpuE9ELNS1_3repE0EEENS1_30default_config_static_selectorELNS0_4arch9wavefront6targetE1EEEvT1_,"axG",@progbits,_ZN7rocprim17ROCPRIM_400000_NS6detail17trampoline_kernelINS0_14default_configENS1_35adjacent_difference_config_selectorILb0EfEEZNS1_24adjacent_difference_implIS3_Lb0ELb0EPfS7_N6thrust23THRUST_200600_302600_NS5minusIfEEEE10hipError_tPvRmT2_T3_mT4_P12ihipStream_tbEUlT_E_NS1_11comp_targetILNS1_3genE5ELNS1_11target_archE942ELNS1_3gpuE9ELNS1_3repE0EEENS1_30default_config_static_selectorELNS0_4arch9wavefront6targetE1EEEvT1_,comdat
.Lfunc_end155:
	.size	_ZN7rocprim17ROCPRIM_400000_NS6detail17trampoline_kernelINS0_14default_configENS1_35adjacent_difference_config_selectorILb0EfEEZNS1_24adjacent_difference_implIS3_Lb0ELb0EPfS7_N6thrust23THRUST_200600_302600_NS5minusIfEEEE10hipError_tPvRmT2_T3_mT4_P12ihipStream_tbEUlT_E_NS1_11comp_targetILNS1_3genE5ELNS1_11target_archE942ELNS1_3gpuE9ELNS1_3repE0EEENS1_30default_config_static_selectorELNS0_4arch9wavefront6targetE1EEEvT1_, .Lfunc_end155-_ZN7rocprim17ROCPRIM_400000_NS6detail17trampoline_kernelINS0_14default_configENS1_35adjacent_difference_config_selectorILb0EfEEZNS1_24adjacent_difference_implIS3_Lb0ELb0EPfS7_N6thrust23THRUST_200600_302600_NS5minusIfEEEE10hipError_tPvRmT2_T3_mT4_P12ihipStream_tbEUlT_E_NS1_11comp_targetILNS1_3genE5ELNS1_11target_archE942ELNS1_3gpuE9ELNS1_3repE0EEENS1_30default_config_static_selectorELNS0_4arch9wavefront6targetE1EEEvT1_
                                        ; -- End function
	.section	.AMDGPU.csdata,"",@progbits
; Kernel info:
; codeLenInByte = 7172
; NumSgprs: 29
; NumVgprs: 68
; NumAgprs: 0
; TotalNumVgprs: 68
; ScratchSize: 0
; MemoryBound: 0
; FloatMode: 240
; IeeeMode: 1
; LDSByteSize: 7936 bytes/workgroup (compile time only)
; SGPRBlocks: 3
; VGPRBlocks: 8
; NumSGPRsForWavesPerEU: 29
; NumVGPRsForWavesPerEU: 68
; AccumOffset: 68
; Occupancy: 2
; WaveLimiterHint : 1
; COMPUTE_PGM_RSRC2:SCRATCH_EN: 0
; COMPUTE_PGM_RSRC2:USER_SGPR: 2
; COMPUTE_PGM_RSRC2:TRAP_HANDLER: 0
; COMPUTE_PGM_RSRC2:TGID_X_EN: 1
; COMPUTE_PGM_RSRC2:TGID_Y_EN: 0
; COMPUTE_PGM_RSRC2:TGID_Z_EN: 0
; COMPUTE_PGM_RSRC2:TIDIG_COMP_CNT: 0
; COMPUTE_PGM_RSRC3_GFX90A:ACCUM_OFFSET: 16
; COMPUTE_PGM_RSRC3_GFX90A:TG_SPLIT: 0
	.section	.text._ZN7rocprim17ROCPRIM_400000_NS6detail17trampoline_kernelINS0_14default_configENS1_35adjacent_difference_config_selectorILb0EfEEZNS1_24adjacent_difference_implIS3_Lb0ELb0EPfS7_N6thrust23THRUST_200600_302600_NS5minusIfEEEE10hipError_tPvRmT2_T3_mT4_P12ihipStream_tbEUlT_E_NS1_11comp_targetILNS1_3genE4ELNS1_11target_archE910ELNS1_3gpuE8ELNS1_3repE0EEENS1_30default_config_static_selectorELNS0_4arch9wavefront6targetE1EEEvT1_,"axG",@progbits,_ZN7rocprim17ROCPRIM_400000_NS6detail17trampoline_kernelINS0_14default_configENS1_35adjacent_difference_config_selectorILb0EfEEZNS1_24adjacent_difference_implIS3_Lb0ELb0EPfS7_N6thrust23THRUST_200600_302600_NS5minusIfEEEE10hipError_tPvRmT2_T3_mT4_P12ihipStream_tbEUlT_E_NS1_11comp_targetILNS1_3genE4ELNS1_11target_archE910ELNS1_3gpuE8ELNS1_3repE0EEENS1_30default_config_static_selectorELNS0_4arch9wavefront6targetE1EEEvT1_,comdat
	.protected	_ZN7rocprim17ROCPRIM_400000_NS6detail17trampoline_kernelINS0_14default_configENS1_35adjacent_difference_config_selectorILb0EfEEZNS1_24adjacent_difference_implIS3_Lb0ELb0EPfS7_N6thrust23THRUST_200600_302600_NS5minusIfEEEE10hipError_tPvRmT2_T3_mT4_P12ihipStream_tbEUlT_E_NS1_11comp_targetILNS1_3genE4ELNS1_11target_archE910ELNS1_3gpuE8ELNS1_3repE0EEENS1_30default_config_static_selectorELNS0_4arch9wavefront6targetE1EEEvT1_ ; -- Begin function _ZN7rocprim17ROCPRIM_400000_NS6detail17trampoline_kernelINS0_14default_configENS1_35adjacent_difference_config_selectorILb0EfEEZNS1_24adjacent_difference_implIS3_Lb0ELb0EPfS7_N6thrust23THRUST_200600_302600_NS5minusIfEEEE10hipError_tPvRmT2_T3_mT4_P12ihipStream_tbEUlT_E_NS1_11comp_targetILNS1_3genE4ELNS1_11target_archE910ELNS1_3gpuE8ELNS1_3repE0EEENS1_30default_config_static_selectorELNS0_4arch9wavefront6targetE1EEEvT1_
	.globl	_ZN7rocprim17ROCPRIM_400000_NS6detail17trampoline_kernelINS0_14default_configENS1_35adjacent_difference_config_selectorILb0EfEEZNS1_24adjacent_difference_implIS3_Lb0ELb0EPfS7_N6thrust23THRUST_200600_302600_NS5minusIfEEEE10hipError_tPvRmT2_T3_mT4_P12ihipStream_tbEUlT_E_NS1_11comp_targetILNS1_3genE4ELNS1_11target_archE910ELNS1_3gpuE8ELNS1_3repE0EEENS1_30default_config_static_selectorELNS0_4arch9wavefront6targetE1EEEvT1_
	.p2align	8
	.type	_ZN7rocprim17ROCPRIM_400000_NS6detail17trampoline_kernelINS0_14default_configENS1_35adjacent_difference_config_selectorILb0EfEEZNS1_24adjacent_difference_implIS3_Lb0ELb0EPfS7_N6thrust23THRUST_200600_302600_NS5minusIfEEEE10hipError_tPvRmT2_T3_mT4_P12ihipStream_tbEUlT_E_NS1_11comp_targetILNS1_3genE4ELNS1_11target_archE910ELNS1_3gpuE8ELNS1_3repE0EEENS1_30default_config_static_selectorELNS0_4arch9wavefront6targetE1EEEvT1_,@function
_ZN7rocprim17ROCPRIM_400000_NS6detail17trampoline_kernelINS0_14default_configENS1_35adjacent_difference_config_selectorILb0EfEEZNS1_24adjacent_difference_implIS3_Lb0ELb0EPfS7_N6thrust23THRUST_200600_302600_NS5minusIfEEEE10hipError_tPvRmT2_T3_mT4_P12ihipStream_tbEUlT_E_NS1_11comp_targetILNS1_3genE4ELNS1_11target_archE910ELNS1_3gpuE8ELNS1_3repE0EEENS1_30default_config_static_selectorELNS0_4arch9wavefront6targetE1EEEvT1_: ; @_ZN7rocprim17ROCPRIM_400000_NS6detail17trampoline_kernelINS0_14default_configENS1_35adjacent_difference_config_selectorILb0EfEEZNS1_24adjacent_difference_implIS3_Lb0ELb0EPfS7_N6thrust23THRUST_200600_302600_NS5minusIfEEEE10hipError_tPvRmT2_T3_mT4_P12ihipStream_tbEUlT_E_NS1_11comp_targetILNS1_3genE4ELNS1_11target_archE910ELNS1_3gpuE8ELNS1_3repE0EEENS1_30default_config_static_selectorELNS0_4arch9wavefront6targetE1EEEvT1_
; %bb.0:
	.section	.rodata,"a",@progbits
	.p2align	6, 0x0
	.amdhsa_kernel _ZN7rocprim17ROCPRIM_400000_NS6detail17trampoline_kernelINS0_14default_configENS1_35adjacent_difference_config_selectorILb0EfEEZNS1_24adjacent_difference_implIS3_Lb0ELb0EPfS7_N6thrust23THRUST_200600_302600_NS5minusIfEEEE10hipError_tPvRmT2_T3_mT4_P12ihipStream_tbEUlT_E_NS1_11comp_targetILNS1_3genE4ELNS1_11target_archE910ELNS1_3gpuE8ELNS1_3repE0EEENS1_30default_config_static_selectorELNS0_4arch9wavefront6targetE1EEEvT1_
		.amdhsa_group_segment_fixed_size 0
		.amdhsa_private_segment_fixed_size 0
		.amdhsa_kernarg_size 56
		.amdhsa_user_sgpr_count 2
		.amdhsa_user_sgpr_dispatch_ptr 0
		.amdhsa_user_sgpr_queue_ptr 0
		.amdhsa_user_sgpr_kernarg_segment_ptr 1
		.amdhsa_user_sgpr_dispatch_id 0
		.amdhsa_user_sgpr_kernarg_preload_length 0
		.amdhsa_user_sgpr_kernarg_preload_offset 0
		.amdhsa_user_sgpr_private_segment_size 0
		.amdhsa_uses_dynamic_stack 0
		.amdhsa_enable_private_segment 0
		.amdhsa_system_sgpr_workgroup_id_x 1
		.amdhsa_system_sgpr_workgroup_id_y 0
		.amdhsa_system_sgpr_workgroup_id_z 0
		.amdhsa_system_sgpr_workgroup_info 0
		.amdhsa_system_vgpr_workitem_id 0
		.amdhsa_next_free_vgpr 1
		.amdhsa_next_free_sgpr 0
		.amdhsa_accum_offset 4
		.amdhsa_reserve_vcc 0
		.amdhsa_float_round_mode_32 0
		.amdhsa_float_round_mode_16_64 0
		.amdhsa_float_denorm_mode_32 3
		.amdhsa_float_denorm_mode_16_64 3
		.amdhsa_dx10_clamp 1
		.amdhsa_ieee_mode 1
		.amdhsa_fp16_overflow 0
		.amdhsa_tg_split 0
		.amdhsa_exception_fp_ieee_invalid_op 0
		.amdhsa_exception_fp_denorm_src 0
		.amdhsa_exception_fp_ieee_div_zero 0
		.amdhsa_exception_fp_ieee_overflow 0
		.amdhsa_exception_fp_ieee_underflow 0
		.amdhsa_exception_fp_ieee_inexact 0
		.amdhsa_exception_int_div_zero 0
	.end_amdhsa_kernel
	.section	.text._ZN7rocprim17ROCPRIM_400000_NS6detail17trampoline_kernelINS0_14default_configENS1_35adjacent_difference_config_selectorILb0EfEEZNS1_24adjacent_difference_implIS3_Lb0ELb0EPfS7_N6thrust23THRUST_200600_302600_NS5minusIfEEEE10hipError_tPvRmT2_T3_mT4_P12ihipStream_tbEUlT_E_NS1_11comp_targetILNS1_3genE4ELNS1_11target_archE910ELNS1_3gpuE8ELNS1_3repE0EEENS1_30default_config_static_selectorELNS0_4arch9wavefront6targetE1EEEvT1_,"axG",@progbits,_ZN7rocprim17ROCPRIM_400000_NS6detail17trampoline_kernelINS0_14default_configENS1_35adjacent_difference_config_selectorILb0EfEEZNS1_24adjacent_difference_implIS3_Lb0ELb0EPfS7_N6thrust23THRUST_200600_302600_NS5minusIfEEEE10hipError_tPvRmT2_T3_mT4_P12ihipStream_tbEUlT_E_NS1_11comp_targetILNS1_3genE4ELNS1_11target_archE910ELNS1_3gpuE8ELNS1_3repE0EEENS1_30default_config_static_selectorELNS0_4arch9wavefront6targetE1EEEvT1_,comdat
.Lfunc_end156:
	.size	_ZN7rocprim17ROCPRIM_400000_NS6detail17trampoline_kernelINS0_14default_configENS1_35adjacent_difference_config_selectorILb0EfEEZNS1_24adjacent_difference_implIS3_Lb0ELb0EPfS7_N6thrust23THRUST_200600_302600_NS5minusIfEEEE10hipError_tPvRmT2_T3_mT4_P12ihipStream_tbEUlT_E_NS1_11comp_targetILNS1_3genE4ELNS1_11target_archE910ELNS1_3gpuE8ELNS1_3repE0EEENS1_30default_config_static_selectorELNS0_4arch9wavefront6targetE1EEEvT1_, .Lfunc_end156-_ZN7rocprim17ROCPRIM_400000_NS6detail17trampoline_kernelINS0_14default_configENS1_35adjacent_difference_config_selectorILb0EfEEZNS1_24adjacent_difference_implIS3_Lb0ELb0EPfS7_N6thrust23THRUST_200600_302600_NS5minusIfEEEE10hipError_tPvRmT2_T3_mT4_P12ihipStream_tbEUlT_E_NS1_11comp_targetILNS1_3genE4ELNS1_11target_archE910ELNS1_3gpuE8ELNS1_3repE0EEENS1_30default_config_static_selectorELNS0_4arch9wavefront6targetE1EEEvT1_
                                        ; -- End function
	.section	.AMDGPU.csdata,"",@progbits
; Kernel info:
; codeLenInByte = 0
; NumSgprs: 6
; NumVgprs: 0
; NumAgprs: 0
; TotalNumVgprs: 0
; ScratchSize: 0
; MemoryBound: 0
; FloatMode: 240
; IeeeMode: 1
; LDSByteSize: 0 bytes/workgroup (compile time only)
; SGPRBlocks: 0
; VGPRBlocks: 0
; NumSGPRsForWavesPerEU: 6
; NumVGPRsForWavesPerEU: 1
; AccumOffset: 4
; Occupancy: 8
; WaveLimiterHint : 0
; COMPUTE_PGM_RSRC2:SCRATCH_EN: 0
; COMPUTE_PGM_RSRC2:USER_SGPR: 2
; COMPUTE_PGM_RSRC2:TRAP_HANDLER: 0
; COMPUTE_PGM_RSRC2:TGID_X_EN: 1
; COMPUTE_PGM_RSRC2:TGID_Y_EN: 0
; COMPUTE_PGM_RSRC2:TGID_Z_EN: 0
; COMPUTE_PGM_RSRC2:TIDIG_COMP_CNT: 0
; COMPUTE_PGM_RSRC3_GFX90A:ACCUM_OFFSET: 0
; COMPUTE_PGM_RSRC3_GFX90A:TG_SPLIT: 0
	.section	.text._ZN7rocprim17ROCPRIM_400000_NS6detail17trampoline_kernelINS0_14default_configENS1_35adjacent_difference_config_selectorILb0EfEEZNS1_24adjacent_difference_implIS3_Lb0ELb0EPfS7_N6thrust23THRUST_200600_302600_NS5minusIfEEEE10hipError_tPvRmT2_T3_mT4_P12ihipStream_tbEUlT_E_NS1_11comp_targetILNS1_3genE3ELNS1_11target_archE908ELNS1_3gpuE7ELNS1_3repE0EEENS1_30default_config_static_selectorELNS0_4arch9wavefront6targetE1EEEvT1_,"axG",@progbits,_ZN7rocprim17ROCPRIM_400000_NS6detail17trampoline_kernelINS0_14default_configENS1_35adjacent_difference_config_selectorILb0EfEEZNS1_24adjacent_difference_implIS3_Lb0ELb0EPfS7_N6thrust23THRUST_200600_302600_NS5minusIfEEEE10hipError_tPvRmT2_T3_mT4_P12ihipStream_tbEUlT_E_NS1_11comp_targetILNS1_3genE3ELNS1_11target_archE908ELNS1_3gpuE7ELNS1_3repE0EEENS1_30default_config_static_selectorELNS0_4arch9wavefront6targetE1EEEvT1_,comdat
	.protected	_ZN7rocprim17ROCPRIM_400000_NS6detail17trampoline_kernelINS0_14default_configENS1_35adjacent_difference_config_selectorILb0EfEEZNS1_24adjacent_difference_implIS3_Lb0ELb0EPfS7_N6thrust23THRUST_200600_302600_NS5minusIfEEEE10hipError_tPvRmT2_T3_mT4_P12ihipStream_tbEUlT_E_NS1_11comp_targetILNS1_3genE3ELNS1_11target_archE908ELNS1_3gpuE7ELNS1_3repE0EEENS1_30default_config_static_selectorELNS0_4arch9wavefront6targetE1EEEvT1_ ; -- Begin function _ZN7rocprim17ROCPRIM_400000_NS6detail17trampoline_kernelINS0_14default_configENS1_35adjacent_difference_config_selectorILb0EfEEZNS1_24adjacent_difference_implIS3_Lb0ELb0EPfS7_N6thrust23THRUST_200600_302600_NS5minusIfEEEE10hipError_tPvRmT2_T3_mT4_P12ihipStream_tbEUlT_E_NS1_11comp_targetILNS1_3genE3ELNS1_11target_archE908ELNS1_3gpuE7ELNS1_3repE0EEENS1_30default_config_static_selectorELNS0_4arch9wavefront6targetE1EEEvT1_
	.globl	_ZN7rocprim17ROCPRIM_400000_NS6detail17trampoline_kernelINS0_14default_configENS1_35adjacent_difference_config_selectorILb0EfEEZNS1_24adjacent_difference_implIS3_Lb0ELb0EPfS7_N6thrust23THRUST_200600_302600_NS5minusIfEEEE10hipError_tPvRmT2_T3_mT4_P12ihipStream_tbEUlT_E_NS1_11comp_targetILNS1_3genE3ELNS1_11target_archE908ELNS1_3gpuE7ELNS1_3repE0EEENS1_30default_config_static_selectorELNS0_4arch9wavefront6targetE1EEEvT1_
	.p2align	8
	.type	_ZN7rocprim17ROCPRIM_400000_NS6detail17trampoline_kernelINS0_14default_configENS1_35adjacent_difference_config_selectorILb0EfEEZNS1_24adjacent_difference_implIS3_Lb0ELb0EPfS7_N6thrust23THRUST_200600_302600_NS5minusIfEEEE10hipError_tPvRmT2_T3_mT4_P12ihipStream_tbEUlT_E_NS1_11comp_targetILNS1_3genE3ELNS1_11target_archE908ELNS1_3gpuE7ELNS1_3repE0EEENS1_30default_config_static_selectorELNS0_4arch9wavefront6targetE1EEEvT1_,@function
_ZN7rocprim17ROCPRIM_400000_NS6detail17trampoline_kernelINS0_14default_configENS1_35adjacent_difference_config_selectorILb0EfEEZNS1_24adjacent_difference_implIS3_Lb0ELb0EPfS7_N6thrust23THRUST_200600_302600_NS5minusIfEEEE10hipError_tPvRmT2_T3_mT4_P12ihipStream_tbEUlT_E_NS1_11comp_targetILNS1_3genE3ELNS1_11target_archE908ELNS1_3gpuE7ELNS1_3repE0EEENS1_30default_config_static_selectorELNS0_4arch9wavefront6targetE1EEEvT1_: ; @_ZN7rocprim17ROCPRIM_400000_NS6detail17trampoline_kernelINS0_14default_configENS1_35adjacent_difference_config_selectorILb0EfEEZNS1_24adjacent_difference_implIS3_Lb0ELb0EPfS7_N6thrust23THRUST_200600_302600_NS5minusIfEEEE10hipError_tPvRmT2_T3_mT4_P12ihipStream_tbEUlT_E_NS1_11comp_targetILNS1_3genE3ELNS1_11target_archE908ELNS1_3gpuE7ELNS1_3repE0EEENS1_30default_config_static_selectorELNS0_4arch9wavefront6targetE1EEEvT1_
; %bb.0:
	.section	.rodata,"a",@progbits
	.p2align	6, 0x0
	.amdhsa_kernel _ZN7rocprim17ROCPRIM_400000_NS6detail17trampoline_kernelINS0_14default_configENS1_35adjacent_difference_config_selectorILb0EfEEZNS1_24adjacent_difference_implIS3_Lb0ELb0EPfS7_N6thrust23THRUST_200600_302600_NS5minusIfEEEE10hipError_tPvRmT2_T3_mT4_P12ihipStream_tbEUlT_E_NS1_11comp_targetILNS1_3genE3ELNS1_11target_archE908ELNS1_3gpuE7ELNS1_3repE0EEENS1_30default_config_static_selectorELNS0_4arch9wavefront6targetE1EEEvT1_
		.amdhsa_group_segment_fixed_size 0
		.amdhsa_private_segment_fixed_size 0
		.amdhsa_kernarg_size 56
		.amdhsa_user_sgpr_count 2
		.amdhsa_user_sgpr_dispatch_ptr 0
		.amdhsa_user_sgpr_queue_ptr 0
		.amdhsa_user_sgpr_kernarg_segment_ptr 1
		.amdhsa_user_sgpr_dispatch_id 0
		.amdhsa_user_sgpr_kernarg_preload_length 0
		.amdhsa_user_sgpr_kernarg_preload_offset 0
		.amdhsa_user_sgpr_private_segment_size 0
		.amdhsa_uses_dynamic_stack 0
		.amdhsa_enable_private_segment 0
		.amdhsa_system_sgpr_workgroup_id_x 1
		.amdhsa_system_sgpr_workgroup_id_y 0
		.amdhsa_system_sgpr_workgroup_id_z 0
		.amdhsa_system_sgpr_workgroup_info 0
		.amdhsa_system_vgpr_workitem_id 0
		.amdhsa_next_free_vgpr 1
		.amdhsa_next_free_sgpr 0
		.amdhsa_accum_offset 4
		.amdhsa_reserve_vcc 0
		.amdhsa_float_round_mode_32 0
		.amdhsa_float_round_mode_16_64 0
		.amdhsa_float_denorm_mode_32 3
		.amdhsa_float_denorm_mode_16_64 3
		.amdhsa_dx10_clamp 1
		.amdhsa_ieee_mode 1
		.amdhsa_fp16_overflow 0
		.amdhsa_tg_split 0
		.amdhsa_exception_fp_ieee_invalid_op 0
		.amdhsa_exception_fp_denorm_src 0
		.amdhsa_exception_fp_ieee_div_zero 0
		.amdhsa_exception_fp_ieee_overflow 0
		.amdhsa_exception_fp_ieee_underflow 0
		.amdhsa_exception_fp_ieee_inexact 0
		.amdhsa_exception_int_div_zero 0
	.end_amdhsa_kernel
	.section	.text._ZN7rocprim17ROCPRIM_400000_NS6detail17trampoline_kernelINS0_14default_configENS1_35adjacent_difference_config_selectorILb0EfEEZNS1_24adjacent_difference_implIS3_Lb0ELb0EPfS7_N6thrust23THRUST_200600_302600_NS5minusIfEEEE10hipError_tPvRmT2_T3_mT4_P12ihipStream_tbEUlT_E_NS1_11comp_targetILNS1_3genE3ELNS1_11target_archE908ELNS1_3gpuE7ELNS1_3repE0EEENS1_30default_config_static_selectorELNS0_4arch9wavefront6targetE1EEEvT1_,"axG",@progbits,_ZN7rocprim17ROCPRIM_400000_NS6detail17trampoline_kernelINS0_14default_configENS1_35adjacent_difference_config_selectorILb0EfEEZNS1_24adjacent_difference_implIS3_Lb0ELb0EPfS7_N6thrust23THRUST_200600_302600_NS5minusIfEEEE10hipError_tPvRmT2_T3_mT4_P12ihipStream_tbEUlT_E_NS1_11comp_targetILNS1_3genE3ELNS1_11target_archE908ELNS1_3gpuE7ELNS1_3repE0EEENS1_30default_config_static_selectorELNS0_4arch9wavefront6targetE1EEEvT1_,comdat
.Lfunc_end157:
	.size	_ZN7rocprim17ROCPRIM_400000_NS6detail17trampoline_kernelINS0_14default_configENS1_35adjacent_difference_config_selectorILb0EfEEZNS1_24adjacent_difference_implIS3_Lb0ELb0EPfS7_N6thrust23THRUST_200600_302600_NS5minusIfEEEE10hipError_tPvRmT2_T3_mT4_P12ihipStream_tbEUlT_E_NS1_11comp_targetILNS1_3genE3ELNS1_11target_archE908ELNS1_3gpuE7ELNS1_3repE0EEENS1_30default_config_static_selectorELNS0_4arch9wavefront6targetE1EEEvT1_, .Lfunc_end157-_ZN7rocprim17ROCPRIM_400000_NS6detail17trampoline_kernelINS0_14default_configENS1_35adjacent_difference_config_selectorILb0EfEEZNS1_24adjacent_difference_implIS3_Lb0ELb0EPfS7_N6thrust23THRUST_200600_302600_NS5minusIfEEEE10hipError_tPvRmT2_T3_mT4_P12ihipStream_tbEUlT_E_NS1_11comp_targetILNS1_3genE3ELNS1_11target_archE908ELNS1_3gpuE7ELNS1_3repE0EEENS1_30default_config_static_selectorELNS0_4arch9wavefront6targetE1EEEvT1_
                                        ; -- End function
	.section	.AMDGPU.csdata,"",@progbits
; Kernel info:
; codeLenInByte = 0
; NumSgprs: 6
; NumVgprs: 0
; NumAgprs: 0
; TotalNumVgprs: 0
; ScratchSize: 0
; MemoryBound: 0
; FloatMode: 240
; IeeeMode: 1
; LDSByteSize: 0 bytes/workgroup (compile time only)
; SGPRBlocks: 0
; VGPRBlocks: 0
; NumSGPRsForWavesPerEU: 6
; NumVGPRsForWavesPerEU: 1
; AccumOffset: 4
; Occupancy: 8
; WaveLimiterHint : 0
; COMPUTE_PGM_RSRC2:SCRATCH_EN: 0
; COMPUTE_PGM_RSRC2:USER_SGPR: 2
; COMPUTE_PGM_RSRC2:TRAP_HANDLER: 0
; COMPUTE_PGM_RSRC2:TGID_X_EN: 1
; COMPUTE_PGM_RSRC2:TGID_Y_EN: 0
; COMPUTE_PGM_RSRC2:TGID_Z_EN: 0
; COMPUTE_PGM_RSRC2:TIDIG_COMP_CNT: 0
; COMPUTE_PGM_RSRC3_GFX90A:ACCUM_OFFSET: 0
; COMPUTE_PGM_RSRC3_GFX90A:TG_SPLIT: 0
	.section	.text._ZN7rocprim17ROCPRIM_400000_NS6detail17trampoline_kernelINS0_14default_configENS1_35adjacent_difference_config_selectorILb0EfEEZNS1_24adjacent_difference_implIS3_Lb0ELb0EPfS7_N6thrust23THRUST_200600_302600_NS5minusIfEEEE10hipError_tPvRmT2_T3_mT4_P12ihipStream_tbEUlT_E_NS1_11comp_targetILNS1_3genE2ELNS1_11target_archE906ELNS1_3gpuE6ELNS1_3repE0EEENS1_30default_config_static_selectorELNS0_4arch9wavefront6targetE1EEEvT1_,"axG",@progbits,_ZN7rocprim17ROCPRIM_400000_NS6detail17trampoline_kernelINS0_14default_configENS1_35adjacent_difference_config_selectorILb0EfEEZNS1_24adjacent_difference_implIS3_Lb0ELb0EPfS7_N6thrust23THRUST_200600_302600_NS5minusIfEEEE10hipError_tPvRmT2_T3_mT4_P12ihipStream_tbEUlT_E_NS1_11comp_targetILNS1_3genE2ELNS1_11target_archE906ELNS1_3gpuE6ELNS1_3repE0EEENS1_30default_config_static_selectorELNS0_4arch9wavefront6targetE1EEEvT1_,comdat
	.protected	_ZN7rocprim17ROCPRIM_400000_NS6detail17trampoline_kernelINS0_14default_configENS1_35adjacent_difference_config_selectorILb0EfEEZNS1_24adjacent_difference_implIS3_Lb0ELb0EPfS7_N6thrust23THRUST_200600_302600_NS5minusIfEEEE10hipError_tPvRmT2_T3_mT4_P12ihipStream_tbEUlT_E_NS1_11comp_targetILNS1_3genE2ELNS1_11target_archE906ELNS1_3gpuE6ELNS1_3repE0EEENS1_30default_config_static_selectorELNS0_4arch9wavefront6targetE1EEEvT1_ ; -- Begin function _ZN7rocprim17ROCPRIM_400000_NS6detail17trampoline_kernelINS0_14default_configENS1_35adjacent_difference_config_selectorILb0EfEEZNS1_24adjacent_difference_implIS3_Lb0ELb0EPfS7_N6thrust23THRUST_200600_302600_NS5minusIfEEEE10hipError_tPvRmT2_T3_mT4_P12ihipStream_tbEUlT_E_NS1_11comp_targetILNS1_3genE2ELNS1_11target_archE906ELNS1_3gpuE6ELNS1_3repE0EEENS1_30default_config_static_selectorELNS0_4arch9wavefront6targetE1EEEvT1_
	.globl	_ZN7rocprim17ROCPRIM_400000_NS6detail17trampoline_kernelINS0_14default_configENS1_35adjacent_difference_config_selectorILb0EfEEZNS1_24adjacent_difference_implIS3_Lb0ELb0EPfS7_N6thrust23THRUST_200600_302600_NS5minusIfEEEE10hipError_tPvRmT2_T3_mT4_P12ihipStream_tbEUlT_E_NS1_11comp_targetILNS1_3genE2ELNS1_11target_archE906ELNS1_3gpuE6ELNS1_3repE0EEENS1_30default_config_static_selectorELNS0_4arch9wavefront6targetE1EEEvT1_
	.p2align	8
	.type	_ZN7rocprim17ROCPRIM_400000_NS6detail17trampoline_kernelINS0_14default_configENS1_35adjacent_difference_config_selectorILb0EfEEZNS1_24adjacent_difference_implIS3_Lb0ELb0EPfS7_N6thrust23THRUST_200600_302600_NS5minusIfEEEE10hipError_tPvRmT2_T3_mT4_P12ihipStream_tbEUlT_E_NS1_11comp_targetILNS1_3genE2ELNS1_11target_archE906ELNS1_3gpuE6ELNS1_3repE0EEENS1_30default_config_static_selectorELNS0_4arch9wavefront6targetE1EEEvT1_,@function
_ZN7rocprim17ROCPRIM_400000_NS6detail17trampoline_kernelINS0_14default_configENS1_35adjacent_difference_config_selectorILb0EfEEZNS1_24adjacent_difference_implIS3_Lb0ELb0EPfS7_N6thrust23THRUST_200600_302600_NS5minusIfEEEE10hipError_tPvRmT2_T3_mT4_P12ihipStream_tbEUlT_E_NS1_11comp_targetILNS1_3genE2ELNS1_11target_archE906ELNS1_3gpuE6ELNS1_3repE0EEENS1_30default_config_static_selectorELNS0_4arch9wavefront6targetE1EEEvT1_: ; @_ZN7rocprim17ROCPRIM_400000_NS6detail17trampoline_kernelINS0_14default_configENS1_35adjacent_difference_config_selectorILb0EfEEZNS1_24adjacent_difference_implIS3_Lb0ELb0EPfS7_N6thrust23THRUST_200600_302600_NS5minusIfEEEE10hipError_tPvRmT2_T3_mT4_P12ihipStream_tbEUlT_E_NS1_11comp_targetILNS1_3genE2ELNS1_11target_archE906ELNS1_3gpuE6ELNS1_3repE0EEENS1_30default_config_static_selectorELNS0_4arch9wavefront6targetE1EEEvT1_
; %bb.0:
	.section	.rodata,"a",@progbits
	.p2align	6, 0x0
	.amdhsa_kernel _ZN7rocprim17ROCPRIM_400000_NS6detail17trampoline_kernelINS0_14default_configENS1_35adjacent_difference_config_selectorILb0EfEEZNS1_24adjacent_difference_implIS3_Lb0ELb0EPfS7_N6thrust23THRUST_200600_302600_NS5minusIfEEEE10hipError_tPvRmT2_T3_mT4_P12ihipStream_tbEUlT_E_NS1_11comp_targetILNS1_3genE2ELNS1_11target_archE906ELNS1_3gpuE6ELNS1_3repE0EEENS1_30default_config_static_selectorELNS0_4arch9wavefront6targetE1EEEvT1_
		.amdhsa_group_segment_fixed_size 0
		.amdhsa_private_segment_fixed_size 0
		.amdhsa_kernarg_size 56
		.amdhsa_user_sgpr_count 2
		.amdhsa_user_sgpr_dispatch_ptr 0
		.amdhsa_user_sgpr_queue_ptr 0
		.amdhsa_user_sgpr_kernarg_segment_ptr 1
		.amdhsa_user_sgpr_dispatch_id 0
		.amdhsa_user_sgpr_kernarg_preload_length 0
		.amdhsa_user_sgpr_kernarg_preload_offset 0
		.amdhsa_user_sgpr_private_segment_size 0
		.amdhsa_uses_dynamic_stack 0
		.amdhsa_enable_private_segment 0
		.amdhsa_system_sgpr_workgroup_id_x 1
		.amdhsa_system_sgpr_workgroup_id_y 0
		.amdhsa_system_sgpr_workgroup_id_z 0
		.amdhsa_system_sgpr_workgroup_info 0
		.amdhsa_system_vgpr_workitem_id 0
		.amdhsa_next_free_vgpr 1
		.amdhsa_next_free_sgpr 0
		.amdhsa_accum_offset 4
		.amdhsa_reserve_vcc 0
		.amdhsa_float_round_mode_32 0
		.amdhsa_float_round_mode_16_64 0
		.amdhsa_float_denorm_mode_32 3
		.amdhsa_float_denorm_mode_16_64 3
		.amdhsa_dx10_clamp 1
		.amdhsa_ieee_mode 1
		.amdhsa_fp16_overflow 0
		.amdhsa_tg_split 0
		.amdhsa_exception_fp_ieee_invalid_op 0
		.amdhsa_exception_fp_denorm_src 0
		.amdhsa_exception_fp_ieee_div_zero 0
		.amdhsa_exception_fp_ieee_overflow 0
		.amdhsa_exception_fp_ieee_underflow 0
		.amdhsa_exception_fp_ieee_inexact 0
		.amdhsa_exception_int_div_zero 0
	.end_amdhsa_kernel
	.section	.text._ZN7rocprim17ROCPRIM_400000_NS6detail17trampoline_kernelINS0_14default_configENS1_35adjacent_difference_config_selectorILb0EfEEZNS1_24adjacent_difference_implIS3_Lb0ELb0EPfS7_N6thrust23THRUST_200600_302600_NS5minusIfEEEE10hipError_tPvRmT2_T3_mT4_P12ihipStream_tbEUlT_E_NS1_11comp_targetILNS1_3genE2ELNS1_11target_archE906ELNS1_3gpuE6ELNS1_3repE0EEENS1_30default_config_static_selectorELNS0_4arch9wavefront6targetE1EEEvT1_,"axG",@progbits,_ZN7rocprim17ROCPRIM_400000_NS6detail17trampoline_kernelINS0_14default_configENS1_35adjacent_difference_config_selectorILb0EfEEZNS1_24adjacent_difference_implIS3_Lb0ELb0EPfS7_N6thrust23THRUST_200600_302600_NS5minusIfEEEE10hipError_tPvRmT2_T3_mT4_P12ihipStream_tbEUlT_E_NS1_11comp_targetILNS1_3genE2ELNS1_11target_archE906ELNS1_3gpuE6ELNS1_3repE0EEENS1_30default_config_static_selectorELNS0_4arch9wavefront6targetE1EEEvT1_,comdat
.Lfunc_end158:
	.size	_ZN7rocprim17ROCPRIM_400000_NS6detail17trampoline_kernelINS0_14default_configENS1_35adjacent_difference_config_selectorILb0EfEEZNS1_24adjacent_difference_implIS3_Lb0ELb0EPfS7_N6thrust23THRUST_200600_302600_NS5minusIfEEEE10hipError_tPvRmT2_T3_mT4_P12ihipStream_tbEUlT_E_NS1_11comp_targetILNS1_3genE2ELNS1_11target_archE906ELNS1_3gpuE6ELNS1_3repE0EEENS1_30default_config_static_selectorELNS0_4arch9wavefront6targetE1EEEvT1_, .Lfunc_end158-_ZN7rocprim17ROCPRIM_400000_NS6detail17trampoline_kernelINS0_14default_configENS1_35adjacent_difference_config_selectorILb0EfEEZNS1_24adjacent_difference_implIS3_Lb0ELb0EPfS7_N6thrust23THRUST_200600_302600_NS5minusIfEEEE10hipError_tPvRmT2_T3_mT4_P12ihipStream_tbEUlT_E_NS1_11comp_targetILNS1_3genE2ELNS1_11target_archE906ELNS1_3gpuE6ELNS1_3repE0EEENS1_30default_config_static_selectorELNS0_4arch9wavefront6targetE1EEEvT1_
                                        ; -- End function
	.section	.AMDGPU.csdata,"",@progbits
; Kernel info:
; codeLenInByte = 0
; NumSgprs: 6
; NumVgprs: 0
; NumAgprs: 0
; TotalNumVgprs: 0
; ScratchSize: 0
; MemoryBound: 0
; FloatMode: 240
; IeeeMode: 1
; LDSByteSize: 0 bytes/workgroup (compile time only)
; SGPRBlocks: 0
; VGPRBlocks: 0
; NumSGPRsForWavesPerEU: 6
; NumVGPRsForWavesPerEU: 1
; AccumOffset: 4
; Occupancy: 8
; WaveLimiterHint : 0
; COMPUTE_PGM_RSRC2:SCRATCH_EN: 0
; COMPUTE_PGM_RSRC2:USER_SGPR: 2
; COMPUTE_PGM_RSRC2:TRAP_HANDLER: 0
; COMPUTE_PGM_RSRC2:TGID_X_EN: 1
; COMPUTE_PGM_RSRC2:TGID_Y_EN: 0
; COMPUTE_PGM_RSRC2:TGID_Z_EN: 0
; COMPUTE_PGM_RSRC2:TIDIG_COMP_CNT: 0
; COMPUTE_PGM_RSRC3_GFX90A:ACCUM_OFFSET: 0
; COMPUTE_PGM_RSRC3_GFX90A:TG_SPLIT: 0
	.section	.text._ZN7rocprim17ROCPRIM_400000_NS6detail17trampoline_kernelINS0_14default_configENS1_35adjacent_difference_config_selectorILb0EfEEZNS1_24adjacent_difference_implIS3_Lb0ELb0EPfS7_N6thrust23THRUST_200600_302600_NS5minusIfEEEE10hipError_tPvRmT2_T3_mT4_P12ihipStream_tbEUlT_E_NS1_11comp_targetILNS1_3genE9ELNS1_11target_archE1100ELNS1_3gpuE3ELNS1_3repE0EEENS1_30default_config_static_selectorELNS0_4arch9wavefront6targetE1EEEvT1_,"axG",@progbits,_ZN7rocprim17ROCPRIM_400000_NS6detail17trampoline_kernelINS0_14default_configENS1_35adjacent_difference_config_selectorILb0EfEEZNS1_24adjacent_difference_implIS3_Lb0ELb0EPfS7_N6thrust23THRUST_200600_302600_NS5minusIfEEEE10hipError_tPvRmT2_T3_mT4_P12ihipStream_tbEUlT_E_NS1_11comp_targetILNS1_3genE9ELNS1_11target_archE1100ELNS1_3gpuE3ELNS1_3repE0EEENS1_30default_config_static_selectorELNS0_4arch9wavefront6targetE1EEEvT1_,comdat
	.protected	_ZN7rocprim17ROCPRIM_400000_NS6detail17trampoline_kernelINS0_14default_configENS1_35adjacent_difference_config_selectorILb0EfEEZNS1_24adjacent_difference_implIS3_Lb0ELb0EPfS7_N6thrust23THRUST_200600_302600_NS5minusIfEEEE10hipError_tPvRmT2_T3_mT4_P12ihipStream_tbEUlT_E_NS1_11comp_targetILNS1_3genE9ELNS1_11target_archE1100ELNS1_3gpuE3ELNS1_3repE0EEENS1_30default_config_static_selectorELNS0_4arch9wavefront6targetE1EEEvT1_ ; -- Begin function _ZN7rocprim17ROCPRIM_400000_NS6detail17trampoline_kernelINS0_14default_configENS1_35adjacent_difference_config_selectorILb0EfEEZNS1_24adjacent_difference_implIS3_Lb0ELb0EPfS7_N6thrust23THRUST_200600_302600_NS5minusIfEEEE10hipError_tPvRmT2_T3_mT4_P12ihipStream_tbEUlT_E_NS1_11comp_targetILNS1_3genE9ELNS1_11target_archE1100ELNS1_3gpuE3ELNS1_3repE0EEENS1_30default_config_static_selectorELNS0_4arch9wavefront6targetE1EEEvT1_
	.globl	_ZN7rocprim17ROCPRIM_400000_NS6detail17trampoline_kernelINS0_14default_configENS1_35adjacent_difference_config_selectorILb0EfEEZNS1_24adjacent_difference_implIS3_Lb0ELb0EPfS7_N6thrust23THRUST_200600_302600_NS5minusIfEEEE10hipError_tPvRmT2_T3_mT4_P12ihipStream_tbEUlT_E_NS1_11comp_targetILNS1_3genE9ELNS1_11target_archE1100ELNS1_3gpuE3ELNS1_3repE0EEENS1_30default_config_static_selectorELNS0_4arch9wavefront6targetE1EEEvT1_
	.p2align	8
	.type	_ZN7rocprim17ROCPRIM_400000_NS6detail17trampoline_kernelINS0_14default_configENS1_35adjacent_difference_config_selectorILb0EfEEZNS1_24adjacent_difference_implIS3_Lb0ELb0EPfS7_N6thrust23THRUST_200600_302600_NS5minusIfEEEE10hipError_tPvRmT2_T3_mT4_P12ihipStream_tbEUlT_E_NS1_11comp_targetILNS1_3genE9ELNS1_11target_archE1100ELNS1_3gpuE3ELNS1_3repE0EEENS1_30default_config_static_selectorELNS0_4arch9wavefront6targetE1EEEvT1_,@function
_ZN7rocprim17ROCPRIM_400000_NS6detail17trampoline_kernelINS0_14default_configENS1_35adjacent_difference_config_selectorILb0EfEEZNS1_24adjacent_difference_implIS3_Lb0ELb0EPfS7_N6thrust23THRUST_200600_302600_NS5minusIfEEEE10hipError_tPvRmT2_T3_mT4_P12ihipStream_tbEUlT_E_NS1_11comp_targetILNS1_3genE9ELNS1_11target_archE1100ELNS1_3gpuE3ELNS1_3repE0EEENS1_30default_config_static_selectorELNS0_4arch9wavefront6targetE1EEEvT1_: ; @_ZN7rocprim17ROCPRIM_400000_NS6detail17trampoline_kernelINS0_14default_configENS1_35adjacent_difference_config_selectorILb0EfEEZNS1_24adjacent_difference_implIS3_Lb0ELb0EPfS7_N6thrust23THRUST_200600_302600_NS5minusIfEEEE10hipError_tPvRmT2_T3_mT4_P12ihipStream_tbEUlT_E_NS1_11comp_targetILNS1_3genE9ELNS1_11target_archE1100ELNS1_3gpuE3ELNS1_3repE0EEENS1_30default_config_static_selectorELNS0_4arch9wavefront6targetE1EEEvT1_
; %bb.0:
	.section	.rodata,"a",@progbits
	.p2align	6, 0x0
	.amdhsa_kernel _ZN7rocprim17ROCPRIM_400000_NS6detail17trampoline_kernelINS0_14default_configENS1_35adjacent_difference_config_selectorILb0EfEEZNS1_24adjacent_difference_implIS3_Lb0ELb0EPfS7_N6thrust23THRUST_200600_302600_NS5minusIfEEEE10hipError_tPvRmT2_T3_mT4_P12ihipStream_tbEUlT_E_NS1_11comp_targetILNS1_3genE9ELNS1_11target_archE1100ELNS1_3gpuE3ELNS1_3repE0EEENS1_30default_config_static_selectorELNS0_4arch9wavefront6targetE1EEEvT1_
		.amdhsa_group_segment_fixed_size 0
		.amdhsa_private_segment_fixed_size 0
		.amdhsa_kernarg_size 56
		.amdhsa_user_sgpr_count 2
		.amdhsa_user_sgpr_dispatch_ptr 0
		.amdhsa_user_sgpr_queue_ptr 0
		.amdhsa_user_sgpr_kernarg_segment_ptr 1
		.amdhsa_user_sgpr_dispatch_id 0
		.amdhsa_user_sgpr_kernarg_preload_length 0
		.amdhsa_user_sgpr_kernarg_preload_offset 0
		.amdhsa_user_sgpr_private_segment_size 0
		.amdhsa_uses_dynamic_stack 0
		.amdhsa_enable_private_segment 0
		.amdhsa_system_sgpr_workgroup_id_x 1
		.amdhsa_system_sgpr_workgroup_id_y 0
		.amdhsa_system_sgpr_workgroup_id_z 0
		.amdhsa_system_sgpr_workgroup_info 0
		.amdhsa_system_vgpr_workitem_id 0
		.amdhsa_next_free_vgpr 1
		.amdhsa_next_free_sgpr 0
		.amdhsa_accum_offset 4
		.amdhsa_reserve_vcc 0
		.amdhsa_float_round_mode_32 0
		.amdhsa_float_round_mode_16_64 0
		.amdhsa_float_denorm_mode_32 3
		.amdhsa_float_denorm_mode_16_64 3
		.amdhsa_dx10_clamp 1
		.amdhsa_ieee_mode 1
		.amdhsa_fp16_overflow 0
		.amdhsa_tg_split 0
		.amdhsa_exception_fp_ieee_invalid_op 0
		.amdhsa_exception_fp_denorm_src 0
		.amdhsa_exception_fp_ieee_div_zero 0
		.amdhsa_exception_fp_ieee_overflow 0
		.amdhsa_exception_fp_ieee_underflow 0
		.amdhsa_exception_fp_ieee_inexact 0
		.amdhsa_exception_int_div_zero 0
	.end_amdhsa_kernel
	.section	.text._ZN7rocprim17ROCPRIM_400000_NS6detail17trampoline_kernelINS0_14default_configENS1_35adjacent_difference_config_selectorILb0EfEEZNS1_24adjacent_difference_implIS3_Lb0ELb0EPfS7_N6thrust23THRUST_200600_302600_NS5minusIfEEEE10hipError_tPvRmT2_T3_mT4_P12ihipStream_tbEUlT_E_NS1_11comp_targetILNS1_3genE9ELNS1_11target_archE1100ELNS1_3gpuE3ELNS1_3repE0EEENS1_30default_config_static_selectorELNS0_4arch9wavefront6targetE1EEEvT1_,"axG",@progbits,_ZN7rocprim17ROCPRIM_400000_NS6detail17trampoline_kernelINS0_14default_configENS1_35adjacent_difference_config_selectorILb0EfEEZNS1_24adjacent_difference_implIS3_Lb0ELb0EPfS7_N6thrust23THRUST_200600_302600_NS5minusIfEEEE10hipError_tPvRmT2_T3_mT4_P12ihipStream_tbEUlT_E_NS1_11comp_targetILNS1_3genE9ELNS1_11target_archE1100ELNS1_3gpuE3ELNS1_3repE0EEENS1_30default_config_static_selectorELNS0_4arch9wavefront6targetE1EEEvT1_,comdat
.Lfunc_end159:
	.size	_ZN7rocprim17ROCPRIM_400000_NS6detail17trampoline_kernelINS0_14default_configENS1_35adjacent_difference_config_selectorILb0EfEEZNS1_24adjacent_difference_implIS3_Lb0ELb0EPfS7_N6thrust23THRUST_200600_302600_NS5minusIfEEEE10hipError_tPvRmT2_T3_mT4_P12ihipStream_tbEUlT_E_NS1_11comp_targetILNS1_3genE9ELNS1_11target_archE1100ELNS1_3gpuE3ELNS1_3repE0EEENS1_30default_config_static_selectorELNS0_4arch9wavefront6targetE1EEEvT1_, .Lfunc_end159-_ZN7rocprim17ROCPRIM_400000_NS6detail17trampoline_kernelINS0_14default_configENS1_35adjacent_difference_config_selectorILb0EfEEZNS1_24adjacent_difference_implIS3_Lb0ELb0EPfS7_N6thrust23THRUST_200600_302600_NS5minusIfEEEE10hipError_tPvRmT2_T3_mT4_P12ihipStream_tbEUlT_E_NS1_11comp_targetILNS1_3genE9ELNS1_11target_archE1100ELNS1_3gpuE3ELNS1_3repE0EEENS1_30default_config_static_selectorELNS0_4arch9wavefront6targetE1EEEvT1_
                                        ; -- End function
	.section	.AMDGPU.csdata,"",@progbits
; Kernel info:
; codeLenInByte = 0
; NumSgprs: 6
; NumVgprs: 0
; NumAgprs: 0
; TotalNumVgprs: 0
; ScratchSize: 0
; MemoryBound: 0
; FloatMode: 240
; IeeeMode: 1
; LDSByteSize: 0 bytes/workgroup (compile time only)
; SGPRBlocks: 0
; VGPRBlocks: 0
; NumSGPRsForWavesPerEU: 6
; NumVGPRsForWavesPerEU: 1
; AccumOffset: 4
; Occupancy: 8
; WaveLimiterHint : 0
; COMPUTE_PGM_RSRC2:SCRATCH_EN: 0
; COMPUTE_PGM_RSRC2:USER_SGPR: 2
; COMPUTE_PGM_RSRC2:TRAP_HANDLER: 0
; COMPUTE_PGM_RSRC2:TGID_X_EN: 1
; COMPUTE_PGM_RSRC2:TGID_Y_EN: 0
; COMPUTE_PGM_RSRC2:TGID_Z_EN: 0
; COMPUTE_PGM_RSRC2:TIDIG_COMP_CNT: 0
; COMPUTE_PGM_RSRC3_GFX90A:ACCUM_OFFSET: 0
; COMPUTE_PGM_RSRC3_GFX90A:TG_SPLIT: 0
	.section	.text._ZN7rocprim17ROCPRIM_400000_NS6detail17trampoline_kernelINS0_14default_configENS1_35adjacent_difference_config_selectorILb0EfEEZNS1_24adjacent_difference_implIS3_Lb0ELb0EPfS7_N6thrust23THRUST_200600_302600_NS5minusIfEEEE10hipError_tPvRmT2_T3_mT4_P12ihipStream_tbEUlT_E_NS1_11comp_targetILNS1_3genE8ELNS1_11target_archE1030ELNS1_3gpuE2ELNS1_3repE0EEENS1_30default_config_static_selectorELNS0_4arch9wavefront6targetE1EEEvT1_,"axG",@progbits,_ZN7rocprim17ROCPRIM_400000_NS6detail17trampoline_kernelINS0_14default_configENS1_35adjacent_difference_config_selectorILb0EfEEZNS1_24adjacent_difference_implIS3_Lb0ELb0EPfS7_N6thrust23THRUST_200600_302600_NS5minusIfEEEE10hipError_tPvRmT2_T3_mT4_P12ihipStream_tbEUlT_E_NS1_11comp_targetILNS1_3genE8ELNS1_11target_archE1030ELNS1_3gpuE2ELNS1_3repE0EEENS1_30default_config_static_selectorELNS0_4arch9wavefront6targetE1EEEvT1_,comdat
	.protected	_ZN7rocprim17ROCPRIM_400000_NS6detail17trampoline_kernelINS0_14default_configENS1_35adjacent_difference_config_selectorILb0EfEEZNS1_24adjacent_difference_implIS3_Lb0ELb0EPfS7_N6thrust23THRUST_200600_302600_NS5minusIfEEEE10hipError_tPvRmT2_T3_mT4_P12ihipStream_tbEUlT_E_NS1_11comp_targetILNS1_3genE8ELNS1_11target_archE1030ELNS1_3gpuE2ELNS1_3repE0EEENS1_30default_config_static_selectorELNS0_4arch9wavefront6targetE1EEEvT1_ ; -- Begin function _ZN7rocprim17ROCPRIM_400000_NS6detail17trampoline_kernelINS0_14default_configENS1_35adjacent_difference_config_selectorILb0EfEEZNS1_24adjacent_difference_implIS3_Lb0ELb0EPfS7_N6thrust23THRUST_200600_302600_NS5minusIfEEEE10hipError_tPvRmT2_T3_mT4_P12ihipStream_tbEUlT_E_NS1_11comp_targetILNS1_3genE8ELNS1_11target_archE1030ELNS1_3gpuE2ELNS1_3repE0EEENS1_30default_config_static_selectorELNS0_4arch9wavefront6targetE1EEEvT1_
	.globl	_ZN7rocprim17ROCPRIM_400000_NS6detail17trampoline_kernelINS0_14default_configENS1_35adjacent_difference_config_selectorILb0EfEEZNS1_24adjacent_difference_implIS3_Lb0ELb0EPfS7_N6thrust23THRUST_200600_302600_NS5minusIfEEEE10hipError_tPvRmT2_T3_mT4_P12ihipStream_tbEUlT_E_NS1_11comp_targetILNS1_3genE8ELNS1_11target_archE1030ELNS1_3gpuE2ELNS1_3repE0EEENS1_30default_config_static_selectorELNS0_4arch9wavefront6targetE1EEEvT1_
	.p2align	8
	.type	_ZN7rocprim17ROCPRIM_400000_NS6detail17trampoline_kernelINS0_14default_configENS1_35adjacent_difference_config_selectorILb0EfEEZNS1_24adjacent_difference_implIS3_Lb0ELb0EPfS7_N6thrust23THRUST_200600_302600_NS5minusIfEEEE10hipError_tPvRmT2_T3_mT4_P12ihipStream_tbEUlT_E_NS1_11comp_targetILNS1_3genE8ELNS1_11target_archE1030ELNS1_3gpuE2ELNS1_3repE0EEENS1_30default_config_static_selectorELNS0_4arch9wavefront6targetE1EEEvT1_,@function
_ZN7rocprim17ROCPRIM_400000_NS6detail17trampoline_kernelINS0_14default_configENS1_35adjacent_difference_config_selectorILb0EfEEZNS1_24adjacent_difference_implIS3_Lb0ELb0EPfS7_N6thrust23THRUST_200600_302600_NS5minusIfEEEE10hipError_tPvRmT2_T3_mT4_P12ihipStream_tbEUlT_E_NS1_11comp_targetILNS1_3genE8ELNS1_11target_archE1030ELNS1_3gpuE2ELNS1_3repE0EEENS1_30default_config_static_selectorELNS0_4arch9wavefront6targetE1EEEvT1_: ; @_ZN7rocprim17ROCPRIM_400000_NS6detail17trampoline_kernelINS0_14default_configENS1_35adjacent_difference_config_selectorILb0EfEEZNS1_24adjacent_difference_implIS3_Lb0ELb0EPfS7_N6thrust23THRUST_200600_302600_NS5minusIfEEEE10hipError_tPvRmT2_T3_mT4_P12ihipStream_tbEUlT_E_NS1_11comp_targetILNS1_3genE8ELNS1_11target_archE1030ELNS1_3gpuE2ELNS1_3repE0EEENS1_30default_config_static_selectorELNS0_4arch9wavefront6targetE1EEEvT1_
; %bb.0:
	.section	.rodata,"a",@progbits
	.p2align	6, 0x0
	.amdhsa_kernel _ZN7rocprim17ROCPRIM_400000_NS6detail17trampoline_kernelINS0_14default_configENS1_35adjacent_difference_config_selectorILb0EfEEZNS1_24adjacent_difference_implIS3_Lb0ELb0EPfS7_N6thrust23THRUST_200600_302600_NS5minusIfEEEE10hipError_tPvRmT2_T3_mT4_P12ihipStream_tbEUlT_E_NS1_11comp_targetILNS1_3genE8ELNS1_11target_archE1030ELNS1_3gpuE2ELNS1_3repE0EEENS1_30default_config_static_selectorELNS0_4arch9wavefront6targetE1EEEvT1_
		.amdhsa_group_segment_fixed_size 0
		.amdhsa_private_segment_fixed_size 0
		.amdhsa_kernarg_size 56
		.amdhsa_user_sgpr_count 2
		.amdhsa_user_sgpr_dispatch_ptr 0
		.amdhsa_user_sgpr_queue_ptr 0
		.amdhsa_user_sgpr_kernarg_segment_ptr 1
		.amdhsa_user_sgpr_dispatch_id 0
		.amdhsa_user_sgpr_kernarg_preload_length 0
		.amdhsa_user_sgpr_kernarg_preload_offset 0
		.amdhsa_user_sgpr_private_segment_size 0
		.amdhsa_uses_dynamic_stack 0
		.amdhsa_enable_private_segment 0
		.amdhsa_system_sgpr_workgroup_id_x 1
		.amdhsa_system_sgpr_workgroup_id_y 0
		.amdhsa_system_sgpr_workgroup_id_z 0
		.amdhsa_system_sgpr_workgroup_info 0
		.amdhsa_system_vgpr_workitem_id 0
		.amdhsa_next_free_vgpr 1
		.amdhsa_next_free_sgpr 0
		.amdhsa_accum_offset 4
		.amdhsa_reserve_vcc 0
		.amdhsa_float_round_mode_32 0
		.amdhsa_float_round_mode_16_64 0
		.amdhsa_float_denorm_mode_32 3
		.amdhsa_float_denorm_mode_16_64 3
		.amdhsa_dx10_clamp 1
		.amdhsa_ieee_mode 1
		.amdhsa_fp16_overflow 0
		.amdhsa_tg_split 0
		.amdhsa_exception_fp_ieee_invalid_op 0
		.amdhsa_exception_fp_denorm_src 0
		.amdhsa_exception_fp_ieee_div_zero 0
		.amdhsa_exception_fp_ieee_overflow 0
		.amdhsa_exception_fp_ieee_underflow 0
		.amdhsa_exception_fp_ieee_inexact 0
		.amdhsa_exception_int_div_zero 0
	.end_amdhsa_kernel
	.section	.text._ZN7rocprim17ROCPRIM_400000_NS6detail17trampoline_kernelINS0_14default_configENS1_35adjacent_difference_config_selectorILb0EfEEZNS1_24adjacent_difference_implIS3_Lb0ELb0EPfS7_N6thrust23THRUST_200600_302600_NS5minusIfEEEE10hipError_tPvRmT2_T3_mT4_P12ihipStream_tbEUlT_E_NS1_11comp_targetILNS1_3genE8ELNS1_11target_archE1030ELNS1_3gpuE2ELNS1_3repE0EEENS1_30default_config_static_selectorELNS0_4arch9wavefront6targetE1EEEvT1_,"axG",@progbits,_ZN7rocprim17ROCPRIM_400000_NS6detail17trampoline_kernelINS0_14default_configENS1_35adjacent_difference_config_selectorILb0EfEEZNS1_24adjacent_difference_implIS3_Lb0ELb0EPfS7_N6thrust23THRUST_200600_302600_NS5minusIfEEEE10hipError_tPvRmT2_T3_mT4_P12ihipStream_tbEUlT_E_NS1_11comp_targetILNS1_3genE8ELNS1_11target_archE1030ELNS1_3gpuE2ELNS1_3repE0EEENS1_30default_config_static_selectorELNS0_4arch9wavefront6targetE1EEEvT1_,comdat
.Lfunc_end160:
	.size	_ZN7rocprim17ROCPRIM_400000_NS6detail17trampoline_kernelINS0_14default_configENS1_35adjacent_difference_config_selectorILb0EfEEZNS1_24adjacent_difference_implIS3_Lb0ELb0EPfS7_N6thrust23THRUST_200600_302600_NS5minusIfEEEE10hipError_tPvRmT2_T3_mT4_P12ihipStream_tbEUlT_E_NS1_11comp_targetILNS1_3genE8ELNS1_11target_archE1030ELNS1_3gpuE2ELNS1_3repE0EEENS1_30default_config_static_selectorELNS0_4arch9wavefront6targetE1EEEvT1_, .Lfunc_end160-_ZN7rocprim17ROCPRIM_400000_NS6detail17trampoline_kernelINS0_14default_configENS1_35adjacent_difference_config_selectorILb0EfEEZNS1_24adjacent_difference_implIS3_Lb0ELb0EPfS7_N6thrust23THRUST_200600_302600_NS5minusIfEEEE10hipError_tPvRmT2_T3_mT4_P12ihipStream_tbEUlT_E_NS1_11comp_targetILNS1_3genE8ELNS1_11target_archE1030ELNS1_3gpuE2ELNS1_3repE0EEENS1_30default_config_static_selectorELNS0_4arch9wavefront6targetE1EEEvT1_
                                        ; -- End function
	.section	.AMDGPU.csdata,"",@progbits
; Kernel info:
; codeLenInByte = 0
; NumSgprs: 6
; NumVgprs: 0
; NumAgprs: 0
; TotalNumVgprs: 0
; ScratchSize: 0
; MemoryBound: 0
; FloatMode: 240
; IeeeMode: 1
; LDSByteSize: 0 bytes/workgroup (compile time only)
; SGPRBlocks: 0
; VGPRBlocks: 0
; NumSGPRsForWavesPerEU: 6
; NumVGPRsForWavesPerEU: 1
; AccumOffset: 4
; Occupancy: 8
; WaveLimiterHint : 0
; COMPUTE_PGM_RSRC2:SCRATCH_EN: 0
; COMPUTE_PGM_RSRC2:USER_SGPR: 2
; COMPUTE_PGM_RSRC2:TRAP_HANDLER: 0
; COMPUTE_PGM_RSRC2:TGID_X_EN: 1
; COMPUTE_PGM_RSRC2:TGID_Y_EN: 0
; COMPUTE_PGM_RSRC2:TGID_Z_EN: 0
; COMPUTE_PGM_RSRC2:TIDIG_COMP_CNT: 0
; COMPUTE_PGM_RSRC3_GFX90A:ACCUM_OFFSET: 0
; COMPUTE_PGM_RSRC3_GFX90A:TG_SPLIT: 0
	.section	.text._ZN7rocprim17ROCPRIM_400000_NS6detail17trampoline_kernelINS0_14default_configENS1_25transform_config_selectorIfLb0EEEZNS1_14transform_implILb0ES3_S5_NS0_18transform_iteratorINS0_17counting_iteratorImlEEZNS1_24adjacent_difference_implIS3_Lb1ELb0EPfSB_N6thrust23THRUST_200600_302600_NS5minusIfEEEE10hipError_tPvRmT2_T3_mT4_P12ihipStream_tbEUlmE_fEESB_NS0_8identityIvEEEESG_SJ_SK_mSL_SN_bEUlT_E_NS1_11comp_targetILNS1_3genE0ELNS1_11target_archE4294967295ELNS1_3gpuE0ELNS1_3repE0EEENS1_30default_config_static_selectorELNS0_4arch9wavefront6targetE1EEEvT1_,"axG",@progbits,_ZN7rocprim17ROCPRIM_400000_NS6detail17trampoline_kernelINS0_14default_configENS1_25transform_config_selectorIfLb0EEEZNS1_14transform_implILb0ES3_S5_NS0_18transform_iteratorINS0_17counting_iteratorImlEEZNS1_24adjacent_difference_implIS3_Lb1ELb0EPfSB_N6thrust23THRUST_200600_302600_NS5minusIfEEEE10hipError_tPvRmT2_T3_mT4_P12ihipStream_tbEUlmE_fEESB_NS0_8identityIvEEEESG_SJ_SK_mSL_SN_bEUlT_E_NS1_11comp_targetILNS1_3genE0ELNS1_11target_archE4294967295ELNS1_3gpuE0ELNS1_3repE0EEENS1_30default_config_static_selectorELNS0_4arch9wavefront6targetE1EEEvT1_,comdat
	.protected	_ZN7rocprim17ROCPRIM_400000_NS6detail17trampoline_kernelINS0_14default_configENS1_25transform_config_selectorIfLb0EEEZNS1_14transform_implILb0ES3_S5_NS0_18transform_iteratorINS0_17counting_iteratorImlEEZNS1_24adjacent_difference_implIS3_Lb1ELb0EPfSB_N6thrust23THRUST_200600_302600_NS5minusIfEEEE10hipError_tPvRmT2_T3_mT4_P12ihipStream_tbEUlmE_fEESB_NS0_8identityIvEEEESG_SJ_SK_mSL_SN_bEUlT_E_NS1_11comp_targetILNS1_3genE0ELNS1_11target_archE4294967295ELNS1_3gpuE0ELNS1_3repE0EEENS1_30default_config_static_selectorELNS0_4arch9wavefront6targetE1EEEvT1_ ; -- Begin function _ZN7rocprim17ROCPRIM_400000_NS6detail17trampoline_kernelINS0_14default_configENS1_25transform_config_selectorIfLb0EEEZNS1_14transform_implILb0ES3_S5_NS0_18transform_iteratorINS0_17counting_iteratorImlEEZNS1_24adjacent_difference_implIS3_Lb1ELb0EPfSB_N6thrust23THRUST_200600_302600_NS5minusIfEEEE10hipError_tPvRmT2_T3_mT4_P12ihipStream_tbEUlmE_fEESB_NS0_8identityIvEEEESG_SJ_SK_mSL_SN_bEUlT_E_NS1_11comp_targetILNS1_3genE0ELNS1_11target_archE4294967295ELNS1_3gpuE0ELNS1_3repE0EEENS1_30default_config_static_selectorELNS0_4arch9wavefront6targetE1EEEvT1_
	.globl	_ZN7rocprim17ROCPRIM_400000_NS6detail17trampoline_kernelINS0_14default_configENS1_25transform_config_selectorIfLb0EEEZNS1_14transform_implILb0ES3_S5_NS0_18transform_iteratorINS0_17counting_iteratorImlEEZNS1_24adjacent_difference_implIS3_Lb1ELb0EPfSB_N6thrust23THRUST_200600_302600_NS5minusIfEEEE10hipError_tPvRmT2_T3_mT4_P12ihipStream_tbEUlmE_fEESB_NS0_8identityIvEEEESG_SJ_SK_mSL_SN_bEUlT_E_NS1_11comp_targetILNS1_3genE0ELNS1_11target_archE4294967295ELNS1_3gpuE0ELNS1_3repE0EEENS1_30default_config_static_selectorELNS0_4arch9wavefront6targetE1EEEvT1_
	.p2align	8
	.type	_ZN7rocprim17ROCPRIM_400000_NS6detail17trampoline_kernelINS0_14default_configENS1_25transform_config_selectorIfLb0EEEZNS1_14transform_implILb0ES3_S5_NS0_18transform_iteratorINS0_17counting_iteratorImlEEZNS1_24adjacent_difference_implIS3_Lb1ELb0EPfSB_N6thrust23THRUST_200600_302600_NS5minusIfEEEE10hipError_tPvRmT2_T3_mT4_P12ihipStream_tbEUlmE_fEESB_NS0_8identityIvEEEESG_SJ_SK_mSL_SN_bEUlT_E_NS1_11comp_targetILNS1_3genE0ELNS1_11target_archE4294967295ELNS1_3gpuE0ELNS1_3repE0EEENS1_30default_config_static_selectorELNS0_4arch9wavefront6targetE1EEEvT1_,@function
_ZN7rocprim17ROCPRIM_400000_NS6detail17trampoline_kernelINS0_14default_configENS1_25transform_config_selectorIfLb0EEEZNS1_14transform_implILb0ES3_S5_NS0_18transform_iteratorINS0_17counting_iteratorImlEEZNS1_24adjacent_difference_implIS3_Lb1ELb0EPfSB_N6thrust23THRUST_200600_302600_NS5minusIfEEEE10hipError_tPvRmT2_T3_mT4_P12ihipStream_tbEUlmE_fEESB_NS0_8identityIvEEEESG_SJ_SK_mSL_SN_bEUlT_E_NS1_11comp_targetILNS1_3genE0ELNS1_11target_archE4294967295ELNS1_3gpuE0ELNS1_3repE0EEENS1_30default_config_static_selectorELNS0_4arch9wavefront6targetE1EEEvT1_: ; @_ZN7rocprim17ROCPRIM_400000_NS6detail17trampoline_kernelINS0_14default_configENS1_25transform_config_selectorIfLb0EEEZNS1_14transform_implILb0ES3_S5_NS0_18transform_iteratorINS0_17counting_iteratorImlEEZNS1_24adjacent_difference_implIS3_Lb1ELb0EPfSB_N6thrust23THRUST_200600_302600_NS5minusIfEEEE10hipError_tPvRmT2_T3_mT4_P12ihipStream_tbEUlmE_fEESB_NS0_8identityIvEEEESG_SJ_SK_mSL_SN_bEUlT_E_NS1_11comp_targetILNS1_3genE0ELNS1_11target_archE4294967295ELNS1_3gpuE0ELNS1_3repE0EEENS1_30default_config_static_selectorELNS0_4arch9wavefront6targetE1EEEvT1_
; %bb.0:
	.section	.rodata,"a",@progbits
	.p2align	6, 0x0
	.amdhsa_kernel _ZN7rocprim17ROCPRIM_400000_NS6detail17trampoline_kernelINS0_14default_configENS1_25transform_config_selectorIfLb0EEEZNS1_14transform_implILb0ES3_S5_NS0_18transform_iteratorINS0_17counting_iteratorImlEEZNS1_24adjacent_difference_implIS3_Lb1ELb0EPfSB_N6thrust23THRUST_200600_302600_NS5minusIfEEEE10hipError_tPvRmT2_T3_mT4_P12ihipStream_tbEUlmE_fEESB_NS0_8identityIvEEEESG_SJ_SK_mSL_SN_bEUlT_E_NS1_11comp_targetILNS1_3genE0ELNS1_11target_archE4294967295ELNS1_3gpuE0ELNS1_3repE0EEENS1_30default_config_static_selectorELNS0_4arch9wavefront6targetE1EEEvT1_
		.amdhsa_group_segment_fixed_size 0
		.amdhsa_private_segment_fixed_size 0
		.amdhsa_kernarg_size 56
		.amdhsa_user_sgpr_count 2
		.amdhsa_user_sgpr_dispatch_ptr 0
		.amdhsa_user_sgpr_queue_ptr 0
		.amdhsa_user_sgpr_kernarg_segment_ptr 1
		.amdhsa_user_sgpr_dispatch_id 0
		.amdhsa_user_sgpr_kernarg_preload_length 0
		.amdhsa_user_sgpr_kernarg_preload_offset 0
		.amdhsa_user_sgpr_private_segment_size 0
		.amdhsa_uses_dynamic_stack 0
		.amdhsa_enable_private_segment 0
		.amdhsa_system_sgpr_workgroup_id_x 1
		.amdhsa_system_sgpr_workgroup_id_y 0
		.amdhsa_system_sgpr_workgroup_id_z 0
		.amdhsa_system_sgpr_workgroup_info 0
		.amdhsa_system_vgpr_workitem_id 0
		.amdhsa_next_free_vgpr 1
		.amdhsa_next_free_sgpr 0
		.amdhsa_accum_offset 4
		.amdhsa_reserve_vcc 0
		.amdhsa_float_round_mode_32 0
		.amdhsa_float_round_mode_16_64 0
		.amdhsa_float_denorm_mode_32 3
		.amdhsa_float_denorm_mode_16_64 3
		.amdhsa_dx10_clamp 1
		.amdhsa_ieee_mode 1
		.amdhsa_fp16_overflow 0
		.amdhsa_tg_split 0
		.amdhsa_exception_fp_ieee_invalid_op 0
		.amdhsa_exception_fp_denorm_src 0
		.amdhsa_exception_fp_ieee_div_zero 0
		.amdhsa_exception_fp_ieee_overflow 0
		.amdhsa_exception_fp_ieee_underflow 0
		.amdhsa_exception_fp_ieee_inexact 0
		.amdhsa_exception_int_div_zero 0
	.end_amdhsa_kernel
	.section	.text._ZN7rocprim17ROCPRIM_400000_NS6detail17trampoline_kernelINS0_14default_configENS1_25transform_config_selectorIfLb0EEEZNS1_14transform_implILb0ES3_S5_NS0_18transform_iteratorINS0_17counting_iteratorImlEEZNS1_24adjacent_difference_implIS3_Lb1ELb0EPfSB_N6thrust23THRUST_200600_302600_NS5minusIfEEEE10hipError_tPvRmT2_T3_mT4_P12ihipStream_tbEUlmE_fEESB_NS0_8identityIvEEEESG_SJ_SK_mSL_SN_bEUlT_E_NS1_11comp_targetILNS1_3genE0ELNS1_11target_archE4294967295ELNS1_3gpuE0ELNS1_3repE0EEENS1_30default_config_static_selectorELNS0_4arch9wavefront6targetE1EEEvT1_,"axG",@progbits,_ZN7rocprim17ROCPRIM_400000_NS6detail17trampoline_kernelINS0_14default_configENS1_25transform_config_selectorIfLb0EEEZNS1_14transform_implILb0ES3_S5_NS0_18transform_iteratorINS0_17counting_iteratorImlEEZNS1_24adjacent_difference_implIS3_Lb1ELb0EPfSB_N6thrust23THRUST_200600_302600_NS5minusIfEEEE10hipError_tPvRmT2_T3_mT4_P12ihipStream_tbEUlmE_fEESB_NS0_8identityIvEEEESG_SJ_SK_mSL_SN_bEUlT_E_NS1_11comp_targetILNS1_3genE0ELNS1_11target_archE4294967295ELNS1_3gpuE0ELNS1_3repE0EEENS1_30default_config_static_selectorELNS0_4arch9wavefront6targetE1EEEvT1_,comdat
.Lfunc_end161:
	.size	_ZN7rocprim17ROCPRIM_400000_NS6detail17trampoline_kernelINS0_14default_configENS1_25transform_config_selectorIfLb0EEEZNS1_14transform_implILb0ES3_S5_NS0_18transform_iteratorINS0_17counting_iteratorImlEEZNS1_24adjacent_difference_implIS3_Lb1ELb0EPfSB_N6thrust23THRUST_200600_302600_NS5minusIfEEEE10hipError_tPvRmT2_T3_mT4_P12ihipStream_tbEUlmE_fEESB_NS0_8identityIvEEEESG_SJ_SK_mSL_SN_bEUlT_E_NS1_11comp_targetILNS1_3genE0ELNS1_11target_archE4294967295ELNS1_3gpuE0ELNS1_3repE0EEENS1_30default_config_static_selectorELNS0_4arch9wavefront6targetE1EEEvT1_, .Lfunc_end161-_ZN7rocprim17ROCPRIM_400000_NS6detail17trampoline_kernelINS0_14default_configENS1_25transform_config_selectorIfLb0EEEZNS1_14transform_implILb0ES3_S5_NS0_18transform_iteratorINS0_17counting_iteratorImlEEZNS1_24adjacent_difference_implIS3_Lb1ELb0EPfSB_N6thrust23THRUST_200600_302600_NS5minusIfEEEE10hipError_tPvRmT2_T3_mT4_P12ihipStream_tbEUlmE_fEESB_NS0_8identityIvEEEESG_SJ_SK_mSL_SN_bEUlT_E_NS1_11comp_targetILNS1_3genE0ELNS1_11target_archE4294967295ELNS1_3gpuE0ELNS1_3repE0EEENS1_30default_config_static_selectorELNS0_4arch9wavefront6targetE1EEEvT1_
                                        ; -- End function
	.section	.AMDGPU.csdata,"",@progbits
; Kernel info:
; codeLenInByte = 0
; NumSgprs: 6
; NumVgprs: 0
; NumAgprs: 0
; TotalNumVgprs: 0
; ScratchSize: 0
; MemoryBound: 0
; FloatMode: 240
; IeeeMode: 1
; LDSByteSize: 0 bytes/workgroup (compile time only)
; SGPRBlocks: 0
; VGPRBlocks: 0
; NumSGPRsForWavesPerEU: 6
; NumVGPRsForWavesPerEU: 1
; AccumOffset: 4
; Occupancy: 8
; WaveLimiterHint : 0
; COMPUTE_PGM_RSRC2:SCRATCH_EN: 0
; COMPUTE_PGM_RSRC2:USER_SGPR: 2
; COMPUTE_PGM_RSRC2:TRAP_HANDLER: 0
; COMPUTE_PGM_RSRC2:TGID_X_EN: 1
; COMPUTE_PGM_RSRC2:TGID_Y_EN: 0
; COMPUTE_PGM_RSRC2:TGID_Z_EN: 0
; COMPUTE_PGM_RSRC2:TIDIG_COMP_CNT: 0
; COMPUTE_PGM_RSRC3_GFX90A:ACCUM_OFFSET: 0
; COMPUTE_PGM_RSRC3_GFX90A:TG_SPLIT: 0
	.section	.text._ZN7rocprim17ROCPRIM_400000_NS6detail17trampoline_kernelINS0_14default_configENS1_25transform_config_selectorIfLb0EEEZNS1_14transform_implILb0ES3_S5_NS0_18transform_iteratorINS0_17counting_iteratorImlEEZNS1_24adjacent_difference_implIS3_Lb1ELb0EPfSB_N6thrust23THRUST_200600_302600_NS5minusIfEEEE10hipError_tPvRmT2_T3_mT4_P12ihipStream_tbEUlmE_fEESB_NS0_8identityIvEEEESG_SJ_SK_mSL_SN_bEUlT_E_NS1_11comp_targetILNS1_3genE5ELNS1_11target_archE942ELNS1_3gpuE9ELNS1_3repE0EEENS1_30default_config_static_selectorELNS0_4arch9wavefront6targetE1EEEvT1_,"axG",@progbits,_ZN7rocprim17ROCPRIM_400000_NS6detail17trampoline_kernelINS0_14default_configENS1_25transform_config_selectorIfLb0EEEZNS1_14transform_implILb0ES3_S5_NS0_18transform_iteratorINS0_17counting_iteratorImlEEZNS1_24adjacent_difference_implIS3_Lb1ELb0EPfSB_N6thrust23THRUST_200600_302600_NS5minusIfEEEE10hipError_tPvRmT2_T3_mT4_P12ihipStream_tbEUlmE_fEESB_NS0_8identityIvEEEESG_SJ_SK_mSL_SN_bEUlT_E_NS1_11comp_targetILNS1_3genE5ELNS1_11target_archE942ELNS1_3gpuE9ELNS1_3repE0EEENS1_30default_config_static_selectorELNS0_4arch9wavefront6targetE1EEEvT1_,comdat
	.protected	_ZN7rocprim17ROCPRIM_400000_NS6detail17trampoline_kernelINS0_14default_configENS1_25transform_config_selectorIfLb0EEEZNS1_14transform_implILb0ES3_S5_NS0_18transform_iteratorINS0_17counting_iteratorImlEEZNS1_24adjacent_difference_implIS3_Lb1ELb0EPfSB_N6thrust23THRUST_200600_302600_NS5minusIfEEEE10hipError_tPvRmT2_T3_mT4_P12ihipStream_tbEUlmE_fEESB_NS0_8identityIvEEEESG_SJ_SK_mSL_SN_bEUlT_E_NS1_11comp_targetILNS1_3genE5ELNS1_11target_archE942ELNS1_3gpuE9ELNS1_3repE0EEENS1_30default_config_static_selectorELNS0_4arch9wavefront6targetE1EEEvT1_ ; -- Begin function _ZN7rocprim17ROCPRIM_400000_NS6detail17trampoline_kernelINS0_14default_configENS1_25transform_config_selectorIfLb0EEEZNS1_14transform_implILb0ES3_S5_NS0_18transform_iteratorINS0_17counting_iteratorImlEEZNS1_24adjacent_difference_implIS3_Lb1ELb0EPfSB_N6thrust23THRUST_200600_302600_NS5minusIfEEEE10hipError_tPvRmT2_T3_mT4_P12ihipStream_tbEUlmE_fEESB_NS0_8identityIvEEEESG_SJ_SK_mSL_SN_bEUlT_E_NS1_11comp_targetILNS1_3genE5ELNS1_11target_archE942ELNS1_3gpuE9ELNS1_3repE0EEENS1_30default_config_static_selectorELNS0_4arch9wavefront6targetE1EEEvT1_
	.globl	_ZN7rocprim17ROCPRIM_400000_NS6detail17trampoline_kernelINS0_14default_configENS1_25transform_config_selectorIfLb0EEEZNS1_14transform_implILb0ES3_S5_NS0_18transform_iteratorINS0_17counting_iteratorImlEEZNS1_24adjacent_difference_implIS3_Lb1ELb0EPfSB_N6thrust23THRUST_200600_302600_NS5minusIfEEEE10hipError_tPvRmT2_T3_mT4_P12ihipStream_tbEUlmE_fEESB_NS0_8identityIvEEEESG_SJ_SK_mSL_SN_bEUlT_E_NS1_11comp_targetILNS1_3genE5ELNS1_11target_archE942ELNS1_3gpuE9ELNS1_3repE0EEENS1_30default_config_static_selectorELNS0_4arch9wavefront6targetE1EEEvT1_
	.p2align	8
	.type	_ZN7rocprim17ROCPRIM_400000_NS6detail17trampoline_kernelINS0_14default_configENS1_25transform_config_selectorIfLb0EEEZNS1_14transform_implILb0ES3_S5_NS0_18transform_iteratorINS0_17counting_iteratorImlEEZNS1_24adjacent_difference_implIS3_Lb1ELb0EPfSB_N6thrust23THRUST_200600_302600_NS5minusIfEEEE10hipError_tPvRmT2_T3_mT4_P12ihipStream_tbEUlmE_fEESB_NS0_8identityIvEEEESG_SJ_SK_mSL_SN_bEUlT_E_NS1_11comp_targetILNS1_3genE5ELNS1_11target_archE942ELNS1_3gpuE9ELNS1_3repE0EEENS1_30default_config_static_selectorELNS0_4arch9wavefront6targetE1EEEvT1_,@function
_ZN7rocprim17ROCPRIM_400000_NS6detail17trampoline_kernelINS0_14default_configENS1_25transform_config_selectorIfLb0EEEZNS1_14transform_implILb0ES3_S5_NS0_18transform_iteratorINS0_17counting_iteratorImlEEZNS1_24adjacent_difference_implIS3_Lb1ELb0EPfSB_N6thrust23THRUST_200600_302600_NS5minusIfEEEE10hipError_tPvRmT2_T3_mT4_P12ihipStream_tbEUlmE_fEESB_NS0_8identityIvEEEESG_SJ_SK_mSL_SN_bEUlT_E_NS1_11comp_targetILNS1_3genE5ELNS1_11target_archE942ELNS1_3gpuE9ELNS1_3repE0EEENS1_30default_config_static_selectorELNS0_4arch9wavefront6targetE1EEEvT1_: ; @_ZN7rocprim17ROCPRIM_400000_NS6detail17trampoline_kernelINS0_14default_configENS1_25transform_config_selectorIfLb0EEEZNS1_14transform_implILb0ES3_S5_NS0_18transform_iteratorINS0_17counting_iteratorImlEEZNS1_24adjacent_difference_implIS3_Lb1ELb0EPfSB_N6thrust23THRUST_200600_302600_NS5minusIfEEEE10hipError_tPvRmT2_T3_mT4_P12ihipStream_tbEUlmE_fEESB_NS0_8identityIvEEEESG_SJ_SK_mSL_SN_bEUlT_E_NS1_11comp_targetILNS1_3genE5ELNS1_11target_archE942ELNS1_3gpuE9ELNS1_3repE0EEENS1_30default_config_static_selectorELNS0_4arch9wavefront6targetE1EEEvT1_
; %bb.0:
	s_load_dwordx4 s[8:11], s[0:1], 0x18
	s_load_dwordx2 s[14:15], s[0:1], 0x28
	s_load_dwordx4 s[4:7], s[0:1], 0x0
	s_load_dword s12, s[0:1], 0x10
	s_load_dword s3, s[0:1], 0x38
	s_waitcnt lgkmcnt(0)
	s_lshl_b64 s[0:1], s[8:9], 2
	s_add_u32 s18, s14, s0
	s_addc_u32 s19, s15, s1
	s_lshl_b32 s14, s2, 10
	s_add_i32 s3, s3, -1
	s_add_u32 s0, s4, s14
	s_addc_u32 s1, s5, 0
	s_add_u32 s16, s0, s8
	s_addc_u32 s17, s1, s9
	s_mov_b32 s15, 0
	s_cmp_lg_u32 s2, s3
	v_lshlrev_b32_e32 v6, 2, v0
	s_cbranch_scc0 .LBB162_2
; %bb.1:
	v_mov_b32_e32 v1, 0
	v_lshl_add_u64 v[2:3], s[16:17], 0, v[0:1]
	v_mad_u64_u32 v[4:5], s[0:1], v2, s12, 0
	v_mov_b32_e32 v2, v5
	v_mad_u64_u32 v[2:3], s[0:1], v3, s12, v[2:3]
	s_mov_b32 s13, s15
	v_mov_b32_e32 v5, v2
	v_lshl_add_u64 v[2:3], v[4:5], 2, s[6:7]
	s_lshl_b64 s[0:1], s[12:13], 10
	v_lshl_add_u64 v[4:5], v[2:3], 0, s[0:1]
	v_lshl_add_u64 v[8:9], v[4:5], 0, s[0:1]
	global_load_dword v10, v[2:3], off
	global_load_dword v11, v[4:5], off
	;; [unrolled: 1-line block ×3, first 2 shown]
	v_lshl_add_u64 v[2:3], v[8:9], 0, s[0:1]
	global_load_dword v2, v[2:3], off
	s_lshl_b64 s[2:3], s[14:15], 2
	s_add_u32 s2, s18, s2
	v_mov_b32_e32 v7, v1
	s_addc_u32 s3, s19, s3
	v_lshl_add_u64 v[8:9], s[2:3], 0, v[6:7]
	s_mov_b64 s[8:9], -1
	s_waitcnt vmcnt(3)
	global_store_dword v6, v10, s[2:3]
	s_waitcnt vmcnt(3)
	global_store_dword v6, v11, s[2:3] offset:1024
	s_waitcnt vmcnt(3)
	global_store_dword v6, v12, s[2:3] offset:2048
	s_cbranch_execz .LBB162_3
	s_branch .LBB162_17
.LBB162_2:
	s_mov_b64 s[8:9], 0
                                        ; implicit-def: $vgpr2
                                        ; implicit-def: $vgpr8_vgpr9
.LBB162_3:
	s_sub_i32 s10, s10, s14
	v_cmp_gt_u32_e32 vcc, s10, v0
                                        ; implicit-def: $vgpr2_vgpr3_vgpr4_vgpr5
	s_and_saveexec_b64 s[0:1], vcc
	s_cbranch_execz .LBB162_5
; %bb.4:
	v_mov_b32_e32 v1, 0
	s_waitcnt vmcnt(3)
	v_lshl_add_u64 v[2:3], s[16:17], 0, v[0:1]
	v_mad_u64_u32 v[4:5], s[2:3], v2, s12, 0
	v_mov_b32_e32 v2, v5
	v_mad_u64_u32 v[2:3], s[2:3], v3, s12, v[2:3]
	v_mov_b32_e32 v5, v2
	v_lshl_add_u64 v[2:3], v[4:5], 2, s[6:7]
	global_load_dword v2, v[2:3], off
.LBB162_5:
	s_or_b64 exec, exec, s[0:1]
	v_or_b32_e32 v8, 0x100, v0
	v_cmp_gt_u32_e64 s[0:1], s10, v8
	s_and_saveexec_b64 s[2:3], s[0:1]
	s_cbranch_execz .LBB162_7
; %bb.6:
	v_mov_b32_e32 v9, 0
	v_lshl_add_u64 v[8:9], s[16:17], 0, v[8:9]
	v_mad_u64_u32 v[10:11], s[4:5], v8, s12, 0
	v_mov_b32_e32 v8, v11
	v_mad_u64_u32 v[8:9], s[4:5], v9, s12, v[8:9]
	v_mov_b32_e32 v11, v8
	v_lshl_add_u64 v[8:9], v[10:11], 2, s[6:7]
	global_load_dword v3, v[8:9], off
.LBB162_7:
	s_or_b64 exec, exec, s[2:3]
	v_or_b32_e32 v8, 0x200, v0
	v_cmp_gt_u32_e64 s[2:3], s10, v8
	s_and_saveexec_b64 s[4:5], s[2:3]
	s_cbranch_execz .LBB162_9
; %bb.8:
	v_mov_b32_e32 v9, 0
	v_lshl_add_u64 v[8:9], s[16:17], 0, v[8:9]
	v_mad_u64_u32 v[10:11], s[20:21], v8, s12, 0
	v_mov_b32_e32 v4, v11
	v_mad_u64_u32 v[8:9], s[20:21], v9, s12, v[4:5]
	v_mov_b32_e32 v11, v8
	v_lshl_add_u64 v[8:9], v[10:11], 2, s[6:7]
	global_load_dword v4, v[8:9], off
.LBB162_9:
	;; [unrolled: 15-line block ×3, first 2 shown]
	s_or_b64 exec, exec, s[10:11]
	s_lshl_b64 s[6:7], s[14:15], 2
	s_add_u32 s6, s18, s6
	s_addc_u32 s7, s19, s7
	v_mov_b32_e32 v7, 0
	v_lshl_add_u64 v[8:9], s[6:7], 0, v[6:7]
	s_and_saveexec_b64 s[6:7], vcc
	s_cbranch_execnz .LBB162_20
; %bb.12:
	s_or_b64 exec, exec, s[6:7]
	s_and_saveexec_b64 s[6:7], s[0:1]
	s_cbranch_execnz .LBB162_21
.LBB162_13:
	s_or_b64 exec, exec, s[6:7]
	s_and_saveexec_b64 s[0:1], s[2:3]
	s_cbranch_execnz .LBB162_22
.LBB162_14:
	s_or_b64 exec, exec, s[0:1]
                                        ; implicit-def: $vgpr2
	s_and_saveexec_b64 s[0:1], s[4:5]
	s_cbranch_execz .LBB162_16
.LBB162_15:
	s_waitcnt vmcnt(0)
	v_cndmask_b32_e64 v2, v5, v5, s[4:5]
	s_or_b64 s[8:9], s[8:9], exec
.LBB162_16:
	s_or_b64 exec, exec, s[0:1]
.LBB162_17:
	s_and_saveexec_b64 s[0:1], s[8:9]
	s_cbranch_execnz .LBB162_19
; %bb.18:
	s_endpgm
.LBB162_19:
	s_waitcnt vmcnt(0)
	global_store_dword v[8:9], v2, off offset:3072
	s_endpgm
.LBB162_20:
	s_waitcnt vmcnt(0)
	global_store_dword v[8:9], v2, off
	s_or_b64 exec, exec, s[6:7]
	s_and_saveexec_b64 s[6:7], s[0:1]
	s_cbranch_execz .LBB162_13
.LBB162_21:
	s_waitcnt vmcnt(0)
	global_store_dword v[8:9], v3, off offset:1024
	s_or_b64 exec, exec, s[6:7]
	s_and_saveexec_b64 s[0:1], s[2:3]
	s_cbranch_execz .LBB162_14
.LBB162_22:
	s_waitcnt vmcnt(0)
	v_cndmask_b32_e64 v0, v4, v4, s[2:3]
	global_store_dword v[8:9], v0, off offset:2048
	s_or_b64 exec, exec, s[0:1]
                                        ; implicit-def: $vgpr2
	s_and_saveexec_b64 s[0:1], s[4:5]
	s_cbranch_execnz .LBB162_15
	s_branch .LBB162_16
	.section	.rodata,"a",@progbits
	.p2align	6, 0x0
	.amdhsa_kernel _ZN7rocprim17ROCPRIM_400000_NS6detail17trampoline_kernelINS0_14default_configENS1_25transform_config_selectorIfLb0EEEZNS1_14transform_implILb0ES3_S5_NS0_18transform_iteratorINS0_17counting_iteratorImlEEZNS1_24adjacent_difference_implIS3_Lb1ELb0EPfSB_N6thrust23THRUST_200600_302600_NS5minusIfEEEE10hipError_tPvRmT2_T3_mT4_P12ihipStream_tbEUlmE_fEESB_NS0_8identityIvEEEESG_SJ_SK_mSL_SN_bEUlT_E_NS1_11comp_targetILNS1_3genE5ELNS1_11target_archE942ELNS1_3gpuE9ELNS1_3repE0EEENS1_30default_config_static_selectorELNS0_4arch9wavefront6targetE1EEEvT1_
		.amdhsa_group_segment_fixed_size 0
		.amdhsa_private_segment_fixed_size 0
		.amdhsa_kernarg_size 312
		.amdhsa_user_sgpr_count 2
		.amdhsa_user_sgpr_dispatch_ptr 0
		.amdhsa_user_sgpr_queue_ptr 0
		.amdhsa_user_sgpr_kernarg_segment_ptr 1
		.amdhsa_user_sgpr_dispatch_id 0
		.amdhsa_user_sgpr_kernarg_preload_length 0
		.amdhsa_user_sgpr_kernarg_preload_offset 0
		.amdhsa_user_sgpr_private_segment_size 0
		.amdhsa_uses_dynamic_stack 0
		.amdhsa_enable_private_segment 0
		.amdhsa_system_sgpr_workgroup_id_x 1
		.amdhsa_system_sgpr_workgroup_id_y 0
		.amdhsa_system_sgpr_workgroup_id_z 0
		.amdhsa_system_sgpr_workgroup_info 0
		.amdhsa_system_vgpr_workitem_id 0
		.amdhsa_next_free_vgpr 13
		.amdhsa_next_free_sgpr 22
		.amdhsa_accum_offset 16
		.amdhsa_reserve_vcc 1
		.amdhsa_float_round_mode_32 0
		.amdhsa_float_round_mode_16_64 0
		.amdhsa_float_denorm_mode_32 3
		.amdhsa_float_denorm_mode_16_64 3
		.amdhsa_dx10_clamp 1
		.amdhsa_ieee_mode 1
		.amdhsa_fp16_overflow 0
		.amdhsa_tg_split 0
		.amdhsa_exception_fp_ieee_invalid_op 0
		.amdhsa_exception_fp_denorm_src 0
		.amdhsa_exception_fp_ieee_div_zero 0
		.amdhsa_exception_fp_ieee_overflow 0
		.amdhsa_exception_fp_ieee_underflow 0
		.amdhsa_exception_fp_ieee_inexact 0
		.amdhsa_exception_int_div_zero 0
	.end_amdhsa_kernel
	.section	.text._ZN7rocprim17ROCPRIM_400000_NS6detail17trampoline_kernelINS0_14default_configENS1_25transform_config_selectorIfLb0EEEZNS1_14transform_implILb0ES3_S5_NS0_18transform_iteratorINS0_17counting_iteratorImlEEZNS1_24adjacent_difference_implIS3_Lb1ELb0EPfSB_N6thrust23THRUST_200600_302600_NS5minusIfEEEE10hipError_tPvRmT2_T3_mT4_P12ihipStream_tbEUlmE_fEESB_NS0_8identityIvEEEESG_SJ_SK_mSL_SN_bEUlT_E_NS1_11comp_targetILNS1_3genE5ELNS1_11target_archE942ELNS1_3gpuE9ELNS1_3repE0EEENS1_30default_config_static_selectorELNS0_4arch9wavefront6targetE1EEEvT1_,"axG",@progbits,_ZN7rocprim17ROCPRIM_400000_NS6detail17trampoline_kernelINS0_14default_configENS1_25transform_config_selectorIfLb0EEEZNS1_14transform_implILb0ES3_S5_NS0_18transform_iteratorINS0_17counting_iteratorImlEEZNS1_24adjacent_difference_implIS3_Lb1ELb0EPfSB_N6thrust23THRUST_200600_302600_NS5minusIfEEEE10hipError_tPvRmT2_T3_mT4_P12ihipStream_tbEUlmE_fEESB_NS0_8identityIvEEEESG_SJ_SK_mSL_SN_bEUlT_E_NS1_11comp_targetILNS1_3genE5ELNS1_11target_archE942ELNS1_3gpuE9ELNS1_3repE0EEENS1_30default_config_static_selectorELNS0_4arch9wavefront6targetE1EEEvT1_,comdat
.Lfunc_end162:
	.size	_ZN7rocprim17ROCPRIM_400000_NS6detail17trampoline_kernelINS0_14default_configENS1_25transform_config_selectorIfLb0EEEZNS1_14transform_implILb0ES3_S5_NS0_18transform_iteratorINS0_17counting_iteratorImlEEZNS1_24adjacent_difference_implIS3_Lb1ELb0EPfSB_N6thrust23THRUST_200600_302600_NS5minusIfEEEE10hipError_tPvRmT2_T3_mT4_P12ihipStream_tbEUlmE_fEESB_NS0_8identityIvEEEESG_SJ_SK_mSL_SN_bEUlT_E_NS1_11comp_targetILNS1_3genE5ELNS1_11target_archE942ELNS1_3gpuE9ELNS1_3repE0EEENS1_30default_config_static_selectorELNS0_4arch9wavefront6targetE1EEEvT1_, .Lfunc_end162-_ZN7rocprim17ROCPRIM_400000_NS6detail17trampoline_kernelINS0_14default_configENS1_25transform_config_selectorIfLb0EEEZNS1_14transform_implILb0ES3_S5_NS0_18transform_iteratorINS0_17counting_iteratorImlEEZNS1_24adjacent_difference_implIS3_Lb1ELb0EPfSB_N6thrust23THRUST_200600_302600_NS5minusIfEEEE10hipError_tPvRmT2_T3_mT4_P12ihipStream_tbEUlmE_fEESB_NS0_8identityIvEEEESG_SJ_SK_mSL_SN_bEUlT_E_NS1_11comp_targetILNS1_3genE5ELNS1_11target_archE942ELNS1_3gpuE9ELNS1_3repE0EEENS1_30default_config_static_selectorELNS0_4arch9wavefront6targetE1EEEvT1_
                                        ; -- End function
	.section	.AMDGPU.csdata,"",@progbits
; Kernel info:
; codeLenInByte = 796
; NumSgprs: 28
; NumVgprs: 13
; NumAgprs: 0
; TotalNumVgprs: 13
; ScratchSize: 0
; MemoryBound: 0
; FloatMode: 240
; IeeeMode: 1
; LDSByteSize: 0 bytes/workgroup (compile time only)
; SGPRBlocks: 3
; VGPRBlocks: 1
; NumSGPRsForWavesPerEU: 28
; NumVGPRsForWavesPerEU: 13
; AccumOffset: 16
; Occupancy: 8
; WaveLimiterHint : 1
; COMPUTE_PGM_RSRC2:SCRATCH_EN: 0
; COMPUTE_PGM_RSRC2:USER_SGPR: 2
; COMPUTE_PGM_RSRC2:TRAP_HANDLER: 0
; COMPUTE_PGM_RSRC2:TGID_X_EN: 1
; COMPUTE_PGM_RSRC2:TGID_Y_EN: 0
; COMPUTE_PGM_RSRC2:TGID_Z_EN: 0
; COMPUTE_PGM_RSRC2:TIDIG_COMP_CNT: 0
; COMPUTE_PGM_RSRC3_GFX90A:ACCUM_OFFSET: 3
; COMPUTE_PGM_RSRC3_GFX90A:TG_SPLIT: 0
	.section	.text._ZN7rocprim17ROCPRIM_400000_NS6detail17trampoline_kernelINS0_14default_configENS1_25transform_config_selectorIfLb0EEEZNS1_14transform_implILb0ES3_S5_NS0_18transform_iteratorINS0_17counting_iteratorImlEEZNS1_24adjacent_difference_implIS3_Lb1ELb0EPfSB_N6thrust23THRUST_200600_302600_NS5minusIfEEEE10hipError_tPvRmT2_T3_mT4_P12ihipStream_tbEUlmE_fEESB_NS0_8identityIvEEEESG_SJ_SK_mSL_SN_bEUlT_E_NS1_11comp_targetILNS1_3genE4ELNS1_11target_archE910ELNS1_3gpuE8ELNS1_3repE0EEENS1_30default_config_static_selectorELNS0_4arch9wavefront6targetE1EEEvT1_,"axG",@progbits,_ZN7rocprim17ROCPRIM_400000_NS6detail17trampoline_kernelINS0_14default_configENS1_25transform_config_selectorIfLb0EEEZNS1_14transform_implILb0ES3_S5_NS0_18transform_iteratorINS0_17counting_iteratorImlEEZNS1_24adjacent_difference_implIS3_Lb1ELb0EPfSB_N6thrust23THRUST_200600_302600_NS5minusIfEEEE10hipError_tPvRmT2_T3_mT4_P12ihipStream_tbEUlmE_fEESB_NS0_8identityIvEEEESG_SJ_SK_mSL_SN_bEUlT_E_NS1_11comp_targetILNS1_3genE4ELNS1_11target_archE910ELNS1_3gpuE8ELNS1_3repE0EEENS1_30default_config_static_selectorELNS0_4arch9wavefront6targetE1EEEvT1_,comdat
	.protected	_ZN7rocprim17ROCPRIM_400000_NS6detail17trampoline_kernelINS0_14default_configENS1_25transform_config_selectorIfLb0EEEZNS1_14transform_implILb0ES3_S5_NS0_18transform_iteratorINS0_17counting_iteratorImlEEZNS1_24adjacent_difference_implIS3_Lb1ELb0EPfSB_N6thrust23THRUST_200600_302600_NS5minusIfEEEE10hipError_tPvRmT2_T3_mT4_P12ihipStream_tbEUlmE_fEESB_NS0_8identityIvEEEESG_SJ_SK_mSL_SN_bEUlT_E_NS1_11comp_targetILNS1_3genE4ELNS1_11target_archE910ELNS1_3gpuE8ELNS1_3repE0EEENS1_30default_config_static_selectorELNS0_4arch9wavefront6targetE1EEEvT1_ ; -- Begin function _ZN7rocprim17ROCPRIM_400000_NS6detail17trampoline_kernelINS0_14default_configENS1_25transform_config_selectorIfLb0EEEZNS1_14transform_implILb0ES3_S5_NS0_18transform_iteratorINS0_17counting_iteratorImlEEZNS1_24adjacent_difference_implIS3_Lb1ELb0EPfSB_N6thrust23THRUST_200600_302600_NS5minusIfEEEE10hipError_tPvRmT2_T3_mT4_P12ihipStream_tbEUlmE_fEESB_NS0_8identityIvEEEESG_SJ_SK_mSL_SN_bEUlT_E_NS1_11comp_targetILNS1_3genE4ELNS1_11target_archE910ELNS1_3gpuE8ELNS1_3repE0EEENS1_30default_config_static_selectorELNS0_4arch9wavefront6targetE1EEEvT1_
	.globl	_ZN7rocprim17ROCPRIM_400000_NS6detail17trampoline_kernelINS0_14default_configENS1_25transform_config_selectorIfLb0EEEZNS1_14transform_implILb0ES3_S5_NS0_18transform_iteratorINS0_17counting_iteratorImlEEZNS1_24adjacent_difference_implIS3_Lb1ELb0EPfSB_N6thrust23THRUST_200600_302600_NS5minusIfEEEE10hipError_tPvRmT2_T3_mT4_P12ihipStream_tbEUlmE_fEESB_NS0_8identityIvEEEESG_SJ_SK_mSL_SN_bEUlT_E_NS1_11comp_targetILNS1_3genE4ELNS1_11target_archE910ELNS1_3gpuE8ELNS1_3repE0EEENS1_30default_config_static_selectorELNS0_4arch9wavefront6targetE1EEEvT1_
	.p2align	8
	.type	_ZN7rocprim17ROCPRIM_400000_NS6detail17trampoline_kernelINS0_14default_configENS1_25transform_config_selectorIfLb0EEEZNS1_14transform_implILb0ES3_S5_NS0_18transform_iteratorINS0_17counting_iteratorImlEEZNS1_24adjacent_difference_implIS3_Lb1ELb0EPfSB_N6thrust23THRUST_200600_302600_NS5minusIfEEEE10hipError_tPvRmT2_T3_mT4_P12ihipStream_tbEUlmE_fEESB_NS0_8identityIvEEEESG_SJ_SK_mSL_SN_bEUlT_E_NS1_11comp_targetILNS1_3genE4ELNS1_11target_archE910ELNS1_3gpuE8ELNS1_3repE0EEENS1_30default_config_static_selectorELNS0_4arch9wavefront6targetE1EEEvT1_,@function
_ZN7rocprim17ROCPRIM_400000_NS6detail17trampoline_kernelINS0_14default_configENS1_25transform_config_selectorIfLb0EEEZNS1_14transform_implILb0ES3_S5_NS0_18transform_iteratorINS0_17counting_iteratorImlEEZNS1_24adjacent_difference_implIS3_Lb1ELb0EPfSB_N6thrust23THRUST_200600_302600_NS5minusIfEEEE10hipError_tPvRmT2_T3_mT4_P12ihipStream_tbEUlmE_fEESB_NS0_8identityIvEEEESG_SJ_SK_mSL_SN_bEUlT_E_NS1_11comp_targetILNS1_3genE4ELNS1_11target_archE910ELNS1_3gpuE8ELNS1_3repE0EEENS1_30default_config_static_selectorELNS0_4arch9wavefront6targetE1EEEvT1_: ; @_ZN7rocprim17ROCPRIM_400000_NS6detail17trampoline_kernelINS0_14default_configENS1_25transform_config_selectorIfLb0EEEZNS1_14transform_implILb0ES3_S5_NS0_18transform_iteratorINS0_17counting_iteratorImlEEZNS1_24adjacent_difference_implIS3_Lb1ELb0EPfSB_N6thrust23THRUST_200600_302600_NS5minusIfEEEE10hipError_tPvRmT2_T3_mT4_P12ihipStream_tbEUlmE_fEESB_NS0_8identityIvEEEESG_SJ_SK_mSL_SN_bEUlT_E_NS1_11comp_targetILNS1_3genE4ELNS1_11target_archE910ELNS1_3gpuE8ELNS1_3repE0EEENS1_30default_config_static_selectorELNS0_4arch9wavefront6targetE1EEEvT1_
; %bb.0:
	.section	.rodata,"a",@progbits
	.p2align	6, 0x0
	.amdhsa_kernel _ZN7rocprim17ROCPRIM_400000_NS6detail17trampoline_kernelINS0_14default_configENS1_25transform_config_selectorIfLb0EEEZNS1_14transform_implILb0ES3_S5_NS0_18transform_iteratorINS0_17counting_iteratorImlEEZNS1_24adjacent_difference_implIS3_Lb1ELb0EPfSB_N6thrust23THRUST_200600_302600_NS5minusIfEEEE10hipError_tPvRmT2_T3_mT4_P12ihipStream_tbEUlmE_fEESB_NS0_8identityIvEEEESG_SJ_SK_mSL_SN_bEUlT_E_NS1_11comp_targetILNS1_3genE4ELNS1_11target_archE910ELNS1_3gpuE8ELNS1_3repE0EEENS1_30default_config_static_selectorELNS0_4arch9wavefront6targetE1EEEvT1_
		.amdhsa_group_segment_fixed_size 0
		.amdhsa_private_segment_fixed_size 0
		.amdhsa_kernarg_size 56
		.amdhsa_user_sgpr_count 2
		.amdhsa_user_sgpr_dispatch_ptr 0
		.amdhsa_user_sgpr_queue_ptr 0
		.amdhsa_user_sgpr_kernarg_segment_ptr 1
		.amdhsa_user_sgpr_dispatch_id 0
		.amdhsa_user_sgpr_kernarg_preload_length 0
		.amdhsa_user_sgpr_kernarg_preload_offset 0
		.amdhsa_user_sgpr_private_segment_size 0
		.amdhsa_uses_dynamic_stack 0
		.amdhsa_enable_private_segment 0
		.amdhsa_system_sgpr_workgroup_id_x 1
		.amdhsa_system_sgpr_workgroup_id_y 0
		.amdhsa_system_sgpr_workgroup_id_z 0
		.amdhsa_system_sgpr_workgroup_info 0
		.amdhsa_system_vgpr_workitem_id 0
		.amdhsa_next_free_vgpr 1
		.amdhsa_next_free_sgpr 0
		.amdhsa_accum_offset 4
		.amdhsa_reserve_vcc 0
		.amdhsa_float_round_mode_32 0
		.amdhsa_float_round_mode_16_64 0
		.amdhsa_float_denorm_mode_32 3
		.amdhsa_float_denorm_mode_16_64 3
		.amdhsa_dx10_clamp 1
		.amdhsa_ieee_mode 1
		.amdhsa_fp16_overflow 0
		.amdhsa_tg_split 0
		.amdhsa_exception_fp_ieee_invalid_op 0
		.amdhsa_exception_fp_denorm_src 0
		.amdhsa_exception_fp_ieee_div_zero 0
		.amdhsa_exception_fp_ieee_overflow 0
		.amdhsa_exception_fp_ieee_underflow 0
		.amdhsa_exception_fp_ieee_inexact 0
		.amdhsa_exception_int_div_zero 0
	.end_amdhsa_kernel
	.section	.text._ZN7rocprim17ROCPRIM_400000_NS6detail17trampoline_kernelINS0_14default_configENS1_25transform_config_selectorIfLb0EEEZNS1_14transform_implILb0ES3_S5_NS0_18transform_iteratorINS0_17counting_iteratorImlEEZNS1_24adjacent_difference_implIS3_Lb1ELb0EPfSB_N6thrust23THRUST_200600_302600_NS5minusIfEEEE10hipError_tPvRmT2_T3_mT4_P12ihipStream_tbEUlmE_fEESB_NS0_8identityIvEEEESG_SJ_SK_mSL_SN_bEUlT_E_NS1_11comp_targetILNS1_3genE4ELNS1_11target_archE910ELNS1_3gpuE8ELNS1_3repE0EEENS1_30default_config_static_selectorELNS0_4arch9wavefront6targetE1EEEvT1_,"axG",@progbits,_ZN7rocprim17ROCPRIM_400000_NS6detail17trampoline_kernelINS0_14default_configENS1_25transform_config_selectorIfLb0EEEZNS1_14transform_implILb0ES3_S5_NS0_18transform_iteratorINS0_17counting_iteratorImlEEZNS1_24adjacent_difference_implIS3_Lb1ELb0EPfSB_N6thrust23THRUST_200600_302600_NS5minusIfEEEE10hipError_tPvRmT2_T3_mT4_P12ihipStream_tbEUlmE_fEESB_NS0_8identityIvEEEESG_SJ_SK_mSL_SN_bEUlT_E_NS1_11comp_targetILNS1_3genE4ELNS1_11target_archE910ELNS1_3gpuE8ELNS1_3repE0EEENS1_30default_config_static_selectorELNS0_4arch9wavefront6targetE1EEEvT1_,comdat
.Lfunc_end163:
	.size	_ZN7rocprim17ROCPRIM_400000_NS6detail17trampoline_kernelINS0_14default_configENS1_25transform_config_selectorIfLb0EEEZNS1_14transform_implILb0ES3_S5_NS0_18transform_iteratorINS0_17counting_iteratorImlEEZNS1_24adjacent_difference_implIS3_Lb1ELb0EPfSB_N6thrust23THRUST_200600_302600_NS5minusIfEEEE10hipError_tPvRmT2_T3_mT4_P12ihipStream_tbEUlmE_fEESB_NS0_8identityIvEEEESG_SJ_SK_mSL_SN_bEUlT_E_NS1_11comp_targetILNS1_3genE4ELNS1_11target_archE910ELNS1_3gpuE8ELNS1_3repE0EEENS1_30default_config_static_selectorELNS0_4arch9wavefront6targetE1EEEvT1_, .Lfunc_end163-_ZN7rocprim17ROCPRIM_400000_NS6detail17trampoline_kernelINS0_14default_configENS1_25transform_config_selectorIfLb0EEEZNS1_14transform_implILb0ES3_S5_NS0_18transform_iteratorINS0_17counting_iteratorImlEEZNS1_24adjacent_difference_implIS3_Lb1ELb0EPfSB_N6thrust23THRUST_200600_302600_NS5minusIfEEEE10hipError_tPvRmT2_T3_mT4_P12ihipStream_tbEUlmE_fEESB_NS0_8identityIvEEEESG_SJ_SK_mSL_SN_bEUlT_E_NS1_11comp_targetILNS1_3genE4ELNS1_11target_archE910ELNS1_3gpuE8ELNS1_3repE0EEENS1_30default_config_static_selectorELNS0_4arch9wavefront6targetE1EEEvT1_
                                        ; -- End function
	.section	.AMDGPU.csdata,"",@progbits
; Kernel info:
; codeLenInByte = 0
; NumSgprs: 6
; NumVgprs: 0
; NumAgprs: 0
; TotalNumVgprs: 0
; ScratchSize: 0
; MemoryBound: 0
; FloatMode: 240
; IeeeMode: 1
; LDSByteSize: 0 bytes/workgroup (compile time only)
; SGPRBlocks: 0
; VGPRBlocks: 0
; NumSGPRsForWavesPerEU: 6
; NumVGPRsForWavesPerEU: 1
; AccumOffset: 4
; Occupancy: 8
; WaveLimiterHint : 0
; COMPUTE_PGM_RSRC2:SCRATCH_EN: 0
; COMPUTE_PGM_RSRC2:USER_SGPR: 2
; COMPUTE_PGM_RSRC2:TRAP_HANDLER: 0
; COMPUTE_PGM_RSRC2:TGID_X_EN: 1
; COMPUTE_PGM_RSRC2:TGID_Y_EN: 0
; COMPUTE_PGM_RSRC2:TGID_Z_EN: 0
; COMPUTE_PGM_RSRC2:TIDIG_COMP_CNT: 0
; COMPUTE_PGM_RSRC3_GFX90A:ACCUM_OFFSET: 0
; COMPUTE_PGM_RSRC3_GFX90A:TG_SPLIT: 0
	.section	.text._ZN7rocprim17ROCPRIM_400000_NS6detail17trampoline_kernelINS0_14default_configENS1_25transform_config_selectorIfLb0EEEZNS1_14transform_implILb0ES3_S5_NS0_18transform_iteratorINS0_17counting_iteratorImlEEZNS1_24adjacent_difference_implIS3_Lb1ELb0EPfSB_N6thrust23THRUST_200600_302600_NS5minusIfEEEE10hipError_tPvRmT2_T3_mT4_P12ihipStream_tbEUlmE_fEESB_NS0_8identityIvEEEESG_SJ_SK_mSL_SN_bEUlT_E_NS1_11comp_targetILNS1_3genE3ELNS1_11target_archE908ELNS1_3gpuE7ELNS1_3repE0EEENS1_30default_config_static_selectorELNS0_4arch9wavefront6targetE1EEEvT1_,"axG",@progbits,_ZN7rocprim17ROCPRIM_400000_NS6detail17trampoline_kernelINS0_14default_configENS1_25transform_config_selectorIfLb0EEEZNS1_14transform_implILb0ES3_S5_NS0_18transform_iteratorINS0_17counting_iteratorImlEEZNS1_24adjacent_difference_implIS3_Lb1ELb0EPfSB_N6thrust23THRUST_200600_302600_NS5minusIfEEEE10hipError_tPvRmT2_T3_mT4_P12ihipStream_tbEUlmE_fEESB_NS0_8identityIvEEEESG_SJ_SK_mSL_SN_bEUlT_E_NS1_11comp_targetILNS1_3genE3ELNS1_11target_archE908ELNS1_3gpuE7ELNS1_3repE0EEENS1_30default_config_static_selectorELNS0_4arch9wavefront6targetE1EEEvT1_,comdat
	.protected	_ZN7rocprim17ROCPRIM_400000_NS6detail17trampoline_kernelINS0_14default_configENS1_25transform_config_selectorIfLb0EEEZNS1_14transform_implILb0ES3_S5_NS0_18transform_iteratorINS0_17counting_iteratorImlEEZNS1_24adjacent_difference_implIS3_Lb1ELb0EPfSB_N6thrust23THRUST_200600_302600_NS5minusIfEEEE10hipError_tPvRmT2_T3_mT4_P12ihipStream_tbEUlmE_fEESB_NS0_8identityIvEEEESG_SJ_SK_mSL_SN_bEUlT_E_NS1_11comp_targetILNS1_3genE3ELNS1_11target_archE908ELNS1_3gpuE7ELNS1_3repE0EEENS1_30default_config_static_selectorELNS0_4arch9wavefront6targetE1EEEvT1_ ; -- Begin function _ZN7rocprim17ROCPRIM_400000_NS6detail17trampoline_kernelINS0_14default_configENS1_25transform_config_selectorIfLb0EEEZNS1_14transform_implILb0ES3_S5_NS0_18transform_iteratorINS0_17counting_iteratorImlEEZNS1_24adjacent_difference_implIS3_Lb1ELb0EPfSB_N6thrust23THRUST_200600_302600_NS5minusIfEEEE10hipError_tPvRmT2_T3_mT4_P12ihipStream_tbEUlmE_fEESB_NS0_8identityIvEEEESG_SJ_SK_mSL_SN_bEUlT_E_NS1_11comp_targetILNS1_3genE3ELNS1_11target_archE908ELNS1_3gpuE7ELNS1_3repE0EEENS1_30default_config_static_selectorELNS0_4arch9wavefront6targetE1EEEvT1_
	.globl	_ZN7rocprim17ROCPRIM_400000_NS6detail17trampoline_kernelINS0_14default_configENS1_25transform_config_selectorIfLb0EEEZNS1_14transform_implILb0ES3_S5_NS0_18transform_iteratorINS0_17counting_iteratorImlEEZNS1_24adjacent_difference_implIS3_Lb1ELb0EPfSB_N6thrust23THRUST_200600_302600_NS5minusIfEEEE10hipError_tPvRmT2_T3_mT4_P12ihipStream_tbEUlmE_fEESB_NS0_8identityIvEEEESG_SJ_SK_mSL_SN_bEUlT_E_NS1_11comp_targetILNS1_3genE3ELNS1_11target_archE908ELNS1_3gpuE7ELNS1_3repE0EEENS1_30default_config_static_selectorELNS0_4arch9wavefront6targetE1EEEvT1_
	.p2align	8
	.type	_ZN7rocprim17ROCPRIM_400000_NS6detail17trampoline_kernelINS0_14default_configENS1_25transform_config_selectorIfLb0EEEZNS1_14transform_implILb0ES3_S5_NS0_18transform_iteratorINS0_17counting_iteratorImlEEZNS1_24adjacent_difference_implIS3_Lb1ELb0EPfSB_N6thrust23THRUST_200600_302600_NS5minusIfEEEE10hipError_tPvRmT2_T3_mT4_P12ihipStream_tbEUlmE_fEESB_NS0_8identityIvEEEESG_SJ_SK_mSL_SN_bEUlT_E_NS1_11comp_targetILNS1_3genE3ELNS1_11target_archE908ELNS1_3gpuE7ELNS1_3repE0EEENS1_30default_config_static_selectorELNS0_4arch9wavefront6targetE1EEEvT1_,@function
_ZN7rocprim17ROCPRIM_400000_NS6detail17trampoline_kernelINS0_14default_configENS1_25transform_config_selectorIfLb0EEEZNS1_14transform_implILb0ES3_S5_NS0_18transform_iteratorINS0_17counting_iteratorImlEEZNS1_24adjacent_difference_implIS3_Lb1ELb0EPfSB_N6thrust23THRUST_200600_302600_NS5minusIfEEEE10hipError_tPvRmT2_T3_mT4_P12ihipStream_tbEUlmE_fEESB_NS0_8identityIvEEEESG_SJ_SK_mSL_SN_bEUlT_E_NS1_11comp_targetILNS1_3genE3ELNS1_11target_archE908ELNS1_3gpuE7ELNS1_3repE0EEENS1_30default_config_static_selectorELNS0_4arch9wavefront6targetE1EEEvT1_: ; @_ZN7rocprim17ROCPRIM_400000_NS6detail17trampoline_kernelINS0_14default_configENS1_25transform_config_selectorIfLb0EEEZNS1_14transform_implILb0ES3_S5_NS0_18transform_iteratorINS0_17counting_iteratorImlEEZNS1_24adjacent_difference_implIS3_Lb1ELb0EPfSB_N6thrust23THRUST_200600_302600_NS5minusIfEEEE10hipError_tPvRmT2_T3_mT4_P12ihipStream_tbEUlmE_fEESB_NS0_8identityIvEEEESG_SJ_SK_mSL_SN_bEUlT_E_NS1_11comp_targetILNS1_3genE3ELNS1_11target_archE908ELNS1_3gpuE7ELNS1_3repE0EEENS1_30default_config_static_selectorELNS0_4arch9wavefront6targetE1EEEvT1_
; %bb.0:
	.section	.rodata,"a",@progbits
	.p2align	6, 0x0
	.amdhsa_kernel _ZN7rocprim17ROCPRIM_400000_NS6detail17trampoline_kernelINS0_14default_configENS1_25transform_config_selectorIfLb0EEEZNS1_14transform_implILb0ES3_S5_NS0_18transform_iteratorINS0_17counting_iteratorImlEEZNS1_24adjacent_difference_implIS3_Lb1ELb0EPfSB_N6thrust23THRUST_200600_302600_NS5minusIfEEEE10hipError_tPvRmT2_T3_mT4_P12ihipStream_tbEUlmE_fEESB_NS0_8identityIvEEEESG_SJ_SK_mSL_SN_bEUlT_E_NS1_11comp_targetILNS1_3genE3ELNS1_11target_archE908ELNS1_3gpuE7ELNS1_3repE0EEENS1_30default_config_static_selectorELNS0_4arch9wavefront6targetE1EEEvT1_
		.amdhsa_group_segment_fixed_size 0
		.amdhsa_private_segment_fixed_size 0
		.amdhsa_kernarg_size 56
		.amdhsa_user_sgpr_count 2
		.amdhsa_user_sgpr_dispatch_ptr 0
		.amdhsa_user_sgpr_queue_ptr 0
		.amdhsa_user_sgpr_kernarg_segment_ptr 1
		.amdhsa_user_sgpr_dispatch_id 0
		.amdhsa_user_sgpr_kernarg_preload_length 0
		.amdhsa_user_sgpr_kernarg_preload_offset 0
		.amdhsa_user_sgpr_private_segment_size 0
		.amdhsa_uses_dynamic_stack 0
		.amdhsa_enable_private_segment 0
		.amdhsa_system_sgpr_workgroup_id_x 1
		.amdhsa_system_sgpr_workgroup_id_y 0
		.amdhsa_system_sgpr_workgroup_id_z 0
		.amdhsa_system_sgpr_workgroup_info 0
		.amdhsa_system_vgpr_workitem_id 0
		.amdhsa_next_free_vgpr 1
		.amdhsa_next_free_sgpr 0
		.amdhsa_accum_offset 4
		.amdhsa_reserve_vcc 0
		.amdhsa_float_round_mode_32 0
		.amdhsa_float_round_mode_16_64 0
		.amdhsa_float_denorm_mode_32 3
		.amdhsa_float_denorm_mode_16_64 3
		.amdhsa_dx10_clamp 1
		.amdhsa_ieee_mode 1
		.amdhsa_fp16_overflow 0
		.amdhsa_tg_split 0
		.amdhsa_exception_fp_ieee_invalid_op 0
		.amdhsa_exception_fp_denorm_src 0
		.amdhsa_exception_fp_ieee_div_zero 0
		.amdhsa_exception_fp_ieee_overflow 0
		.amdhsa_exception_fp_ieee_underflow 0
		.amdhsa_exception_fp_ieee_inexact 0
		.amdhsa_exception_int_div_zero 0
	.end_amdhsa_kernel
	.section	.text._ZN7rocprim17ROCPRIM_400000_NS6detail17trampoline_kernelINS0_14default_configENS1_25transform_config_selectorIfLb0EEEZNS1_14transform_implILb0ES3_S5_NS0_18transform_iteratorINS0_17counting_iteratorImlEEZNS1_24adjacent_difference_implIS3_Lb1ELb0EPfSB_N6thrust23THRUST_200600_302600_NS5minusIfEEEE10hipError_tPvRmT2_T3_mT4_P12ihipStream_tbEUlmE_fEESB_NS0_8identityIvEEEESG_SJ_SK_mSL_SN_bEUlT_E_NS1_11comp_targetILNS1_3genE3ELNS1_11target_archE908ELNS1_3gpuE7ELNS1_3repE0EEENS1_30default_config_static_selectorELNS0_4arch9wavefront6targetE1EEEvT1_,"axG",@progbits,_ZN7rocprim17ROCPRIM_400000_NS6detail17trampoline_kernelINS0_14default_configENS1_25transform_config_selectorIfLb0EEEZNS1_14transform_implILb0ES3_S5_NS0_18transform_iteratorINS0_17counting_iteratorImlEEZNS1_24adjacent_difference_implIS3_Lb1ELb0EPfSB_N6thrust23THRUST_200600_302600_NS5minusIfEEEE10hipError_tPvRmT2_T3_mT4_P12ihipStream_tbEUlmE_fEESB_NS0_8identityIvEEEESG_SJ_SK_mSL_SN_bEUlT_E_NS1_11comp_targetILNS1_3genE3ELNS1_11target_archE908ELNS1_3gpuE7ELNS1_3repE0EEENS1_30default_config_static_selectorELNS0_4arch9wavefront6targetE1EEEvT1_,comdat
.Lfunc_end164:
	.size	_ZN7rocprim17ROCPRIM_400000_NS6detail17trampoline_kernelINS0_14default_configENS1_25transform_config_selectorIfLb0EEEZNS1_14transform_implILb0ES3_S5_NS0_18transform_iteratorINS0_17counting_iteratorImlEEZNS1_24adjacent_difference_implIS3_Lb1ELb0EPfSB_N6thrust23THRUST_200600_302600_NS5minusIfEEEE10hipError_tPvRmT2_T3_mT4_P12ihipStream_tbEUlmE_fEESB_NS0_8identityIvEEEESG_SJ_SK_mSL_SN_bEUlT_E_NS1_11comp_targetILNS1_3genE3ELNS1_11target_archE908ELNS1_3gpuE7ELNS1_3repE0EEENS1_30default_config_static_selectorELNS0_4arch9wavefront6targetE1EEEvT1_, .Lfunc_end164-_ZN7rocprim17ROCPRIM_400000_NS6detail17trampoline_kernelINS0_14default_configENS1_25transform_config_selectorIfLb0EEEZNS1_14transform_implILb0ES3_S5_NS0_18transform_iteratorINS0_17counting_iteratorImlEEZNS1_24adjacent_difference_implIS3_Lb1ELb0EPfSB_N6thrust23THRUST_200600_302600_NS5minusIfEEEE10hipError_tPvRmT2_T3_mT4_P12ihipStream_tbEUlmE_fEESB_NS0_8identityIvEEEESG_SJ_SK_mSL_SN_bEUlT_E_NS1_11comp_targetILNS1_3genE3ELNS1_11target_archE908ELNS1_3gpuE7ELNS1_3repE0EEENS1_30default_config_static_selectorELNS0_4arch9wavefront6targetE1EEEvT1_
                                        ; -- End function
	.section	.AMDGPU.csdata,"",@progbits
; Kernel info:
; codeLenInByte = 0
; NumSgprs: 6
; NumVgprs: 0
; NumAgprs: 0
; TotalNumVgprs: 0
; ScratchSize: 0
; MemoryBound: 0
; FloatMode: 240
; IeeeMode: 1
; LDSByteSize: 0 bytes/workgroup (compile time only)
; SGPRBlocks: 0
; VGPRBlocks: 0
; NumSGPRsForWavesPerEU: 6
; NumVGPRsForWavesPerEU: 1
; AccumOffset: 4
; Occupancy: 8
; WaveLimiterHint : 0
; COMPUTE_PGM_RSRC2:SCRATCH_EN: 0
; COMPUTE_PGM_RSRC2:USER_SGPR: 2
; COMPUTE_PGM_RSRC2:TRAP_HANDLER: 0
; COMPUTE_PGM_RSRC2:TGID_X_EN: 1
; COMPUTE_PGM_RSRC2:TGID_Y_EN: 0
; COMPUTE_PGM_RSRC2:TGID_Z_EN: 0
; COMPUTE_PGM_RSRC2:TIDIG_COMP_CNT: 0
; COMPUTE_PGM_RSRC3_GFX90A:ACCUM_OFFSET: 0
; COMPUTE_PGM_RSRC3_GFX90A:TG_SPLIT: 0
	.section	.text._ZN7rocprim17ROCPRIM_400000_NS6detail17trampoline_kernelINS0_14default_configENS1_25transform_config_selectorIfLb0EEEZNS1_14transform_implILb0ES3_S5_NS0_18transform_iteratorINS0_17counting_iteratorImlEEZNS1_24adjacent_difference_implIS3_Lb1ELb0EPfSB_N6thrust23THRUST_200600_302600_NS5minusIfEEEE10hipError_tPvRmT2_T3_mT4_P12ihipStream_tbEUlmE_fEESB_NS0_8identityIvEEEESG_SJ_SK_mSL_SN_bEUlT_E_NS1_11comp_targetILNS1_3genE2ELNS1_11target_archE906ELNS1_3gpuE6ELNS1_3repE0EEENS1_30default_config_static_selectorELNS0_4arch9wavefront6targetE1EEEvT1_,"axG",@progbits,_ZN7rocprim17ROCPRIM_400000_NS6detail17trampoline_kernelINS0_14default_configENS1_25transform_config_selectorIfLb0EEEZNS1_14transform_implILb0ES3_S5_NS0_18transform_iteratorINS0_17counting_iteratorImlEEZNS1_24adjacent_difference_implIS3_Lb1ELb0EPfSB_N6thrust23THRUST_200600_302600_NS5minusIfEEEE10hipError_tPvRmT2_T3_mT4_P12ihipStream_tbEUlmE_fEESB_NS0_8identityIvEEEESG_SJ_SK_mSL_SN_bEUlT_E_NS1_11comp_targetILNS1_3genE2ELNS1_11target_archE906ELNS1_3gpuE6ELNS1_3repE0EEENS1_30default_config_static_selectorELNS0_4arch9wavefront6targetE1EEEvT1_,comdat
	.protected	_ZN7rocprim17ROCPRIM_400000_NS6detail17trampoline_kernelINS0_14default_configENS1_25transform_config_selectorIfLb0EEEZNS1_14transform_implILb0ES3_S5_NS0_18transform_iteratorINS0_17counting_iteratorImlEEZNS1_24adjacent_difference_implIS3_Lb1ELb0EPfSB_N6thrust23THRUST_200600_302600_NS5minusIfEEEE10hipError_tPvRmT2_T3_mT4_P12ihipStream_tbEUlmE_fEESB_NS0_8identityIvEEEESG_SJ_SK_mSL_SN_bEUlT_E_NS1_11comp_targetILNS1_3genE2ELNS1_11target_archE906ELNS1_3gpuE6ELNS1_3repE0EEENS1_30default_config_static_selectorELNS0_4arch9wavefront6targetE1EEEvT1_ ; -- Begin function _ZN7rocprim17ROCPRIM_400000_NS6detail17trampoline_kernelINS0_14default_configENS1_25transform_config_selectorIfLb0EEEZNS1_14transform_implILb0ES3_S5_NS0_18transform_iteratorINS0_17counting_iteratorImlEEZNS1_24adjacent_difference_implIS3_Lb1ELb0EPfSB_N6thrust23THRUST_200600_302600_NS5minusIfEEEE10hipError_tPvRmT2_T3_mT4_P12ihipStream_tbEUlmE_fEESB_NS0_8identityIvEEEESG_SJ_SK_mSL_SN_bEUlT_E_NS1_11comp_targetILNS1_3genE2ELNS1_11target_archE906ELNS1_3gpuE6ELNS1_3repE0EEENS1_30default_config_static_selectorELNS0_4arch9wavefront6targetE1EEEvT1_
	.globl	_ZN7rocprim17ROCPRIM_400000_NS6detail17trampoline_kernelINS0_14default_configENS1_25transform_config_selectorIfLb0EEEZNS1_14transform_implILb0ES3_S5_NS0_18transform_iteratorINS0_17counting_iteratorImlEEZNS1_24adjacent_difference_implIS3_Lb1ELb0EPfSB_N6thrust23THRUST_200600_302600_NS5minusIfEEEE10hipError_tPvRmT2_T3_mT4_P12ihipStream_tbEUlmE_fEESB_NS0_8identityIvEEEESG_SJ_SK_mSL_SN_bEUlT_E_NS1_11comp_targetILNS1_3genE2ELNS1_11target_archE906ELNS1_3gpuE6ELNS1_3repE0EEENS1_30default_config_static_selectorELNS0_4arch9wavefront6targetE1EEEvT1_
	.p2align	8
	.type	_ZN7rocprim17ROCPRIM_400000_NS6detail17trampoline_kernelINS0_14default_configENS1_25transform_config_selectorIfLb0EEEZNS1_14transform_implILb0ES3_S5_NS0_18transform_iteratorINS0_17counting_iteratorImlEEZNS1_24adjacent_difference_implIS3_Lb1ELb0EPfSB_N6thrust23THRUST_200600_302600_NS5minusIfEEEE10hipError_tPvRmT2_T3_mT4_P12ihipStream_tbEUlmE_fEESB_NS0_8identityIvEEEESG_SJ_SK_mSL_SN_bEUlT_E_NS1_11comp_targetILNS1_3genE2ELNS1_11target_archE906ELNS1_3gpuE6ELNS1_3repE0EEENS1_30default_config_static_selectorELNS0_4arch9wavefront6targetE1EEEvT1_,@function
_ZN7rocprim17ROCPRIM_400000_NS6detail17trampoline_kernelINS0_14default_configENS1_25transform_config_selectorIfLb0EEEZNS1_14transform_implILb0ES3_S5_NS0_18transform_iteratorINS0_17counting_iteratorImlEEZNS1_24adjacent_difference_implIS3_Lb1ELb0EPfSB_N6thrust23THRUST_200600_302600_NS5minusIfEEEE10hipError_tPvRmT2_T3_mT4_P12ihipStream_tbEUlmE_fEESB_NS0_8identityIvEEEESG_SJ_SK_mSL_SN_bEUlT_E_NS1_11comp_targetILNS1_3genE2ELNS1_11target_archE906ELNS1_3gpuE6ELNS1_3repE0EEENS1_30default_config_static_selectorELNS0_4arch9wavefront6targetE1EEEvT1_: ; @_ZN7rocprim17ROCPRIM_400000_NS6detail17trampoline_kernelINS0_14default_configENS1_25transform_config_selectorIfLb0EEEZNS1_14transform_implILb0ES3_S5_NS0_18transform_iteratorINS0_17counting_iteratorImlEEZNS1_24adjacent_difference_implIS3_Lb1ELb0EPfSB_N6thrust23THRUST_200600_302600_NS5minusIfEEEE10hipError_tPvRmT2_T3_mT4_P12ihipStream_tbEUlmE_fEESB_NS0_8identityIvEEEESG_SJ_SK_mSL_SN_bEUlT_E_NS1_11comp_targetILNS1_3genE2ELNS1_11target_archE906ELNS1_3gpuE6ELNS1_3repE0EEENS1_30default_config_static_selectorELNS0_4arch9wavefront6targetE1EEEvT1_
; %bb.0:
	.section	.rodata,"a",@progbits
	.p2align	6, 0x0
	.amdhsa_kernel _ZN7rocprim17ROCPRIM_400000_NS6detail17trampoline_kernelINS0_14default_configENS1_25transform_config_selectorIfLb0EEEZNS1_14transform_implILb0ES3_S5_NS0_18transform_iteratorINS0_17counting_iteratorImlEEZNS1_24adjacent_difference_implIS3_Lb1ELb0EPfSB_N6thrust23THRUST_200600_302600_NS5minusIfEEEE10hipError_tPvRmT2_T3_mT4_P12ihipStream_tbEUlmE_fEESB_NS0_8identityIvEEEESG_SJ_SK_mSL_SN_bEUlT_E_NS1_11comp_targetILNS1_3genE2ELNS1_11target_archE906ELNS1_3gpuE6ELNS1_3repE0EEENS1_30default_config_static_selectorELNS0_4arch9wavefront6targetE1EEEvT1_
		.amdhsa_group_segment_fixed_size 0
		.amdhsa_private_segment_fixed_size 0
		.amdhsa_kernarg_size 56
		.amdhsa_user_sgpr_count 2
		.amdhsa_user_sgpr_dispatch_ptr 0
		.amdhsa_user_sgpr_queue_ptr 0
		.amdhsa_user_sgpr_kernarg_segment_ptr 1
		.amdhsa_user_sgpr_dispatch_id 0
		.amdhsa_user_sgpr_kernarg_preload_length 0
		.amdhsa_user_sgpr_kernarg_preload_offset 0
		.amdhsa_user_sgpr_private_segment_size 0
		.amdhsa_uses_dynamic_stack 0
		.amdhsa_enable_private_segment 0
		.amdhsa_system_sgpr_workgroup_id_x 1
		.amdhsa_system_sgpr_workgroup_id_y 0
		.amdhsa_system_sgpr_workgroup_id_z 0
		.amdhsa_system_sgpr_workgroup_info 0
		.amdhsa_system_vgpr_workitem_id 0
		.amdhsa_next_free_vgpr 1
		.amdhsa_next_free_sgpr 0
		.amdhsa_accum_offset 4
		.amdhsa_reserve_vcc 0
		.amdhsa_float_round_mode_32 0
		.amdhsa_float_round_mode_16_64 0
		.amdhsa_float_denorm_mode_32 3
		.amdhsa_float_denorm_mode_16_64 3
		.amdhsa_dx10_clamp 1
		.amdhsa_ieee_mode 1
		.amdhsa_fp16_overflow 0
		.amdhsa_tg_split 0
		.amdhsa_exception_fp_ieee_invalid_op 0
		.amdhsa_exception_fp_denorm_src 0
		.amdhsa_exception_fp_ieee_div_zero 0
		.amdhsa_exception_fp_ieee_overflow 0
		.amdhsa_exception_fp_ieee_underflow 0
		.amdhsa_exception_fp_ieee_inexact 0
		.amdhsa_exception_int_div_zero 0
	.end_amdhsa_kernel
	.section	.text._ZN7rocprim17ROCPRIM_400000_NS6detail17trampoline_kernelINS0_14default_configENS1_25transform_config_selectorIfLb0EEEZNS1_14transform_implILb0ES3_S5_NS0_18transform_iteratorINS0_17counting_iteratorImlEEZNS1_24adjacent_difference_implIS3_Lb1ELb0EPfSB_N6thrust23THRUST_200600_302600_NS5minusIfEEEE10hipError_tPvRmT2_T3_mT4_P12ihipStream_tbEUlmE_fEESB_NS0_8identityIvEEEESG_SJ_SK_mSL_SN_bEUlT_E_NS1_11comp_targetILNS1_3genE2ELNS1_11target_archE906ELNS1_3gpuE6ELNS1_3repE0EEENS1_30default_config_static_selectorELNS0_4arch9wavefront6targetE1EEEvT1_,"axG",@progbits,_ZN7rocprim17ROCPRIM_400000_NS6detail17trampoline_kernelINS0_14default_configENS1_25transform_config_selectorIfLb0EEEZNS1_14transform_implILb0ES3_S5_NS0_18transform_iteratorINS0_17counting_iteratorImlEEZNS1_24adjacent_difference_implIS3_Lb1ELb0EPfSB_N6thrust23THRUST_200600_302600_NS5minusIfEEEE10hipError_tPvRmT2_T3_mT4_P12ihipStream_tbEUlmE_fEESB_NS0_8identityIvEEEESG_SJ_SK_mSL_SN_bEUlT_E_NS1_11comp_targetILNS1_3genE2ELNS1_11target_archE906ELNS1_3gpuE6ELNS1_3repE0EEENS1_30default_config_static_selectorELNS0_4arch9wavefront6targetE1EEEvT1_,comdat
.Lfunc_end165:
	.size	_ZN7rocprim17ROCPRIM_400000_NS6detail17trampoline_kernelINS0_14default_configENS1_25transform_config_selectorIfLb0EEEZNS1_14transform_implILb0ES3_S5_NS0_18transform_iteratorINS0_17counting_iteratorImlEEZNS1_24adjacent_difference_implIS3_Lb1ELb0EPfSB_N6thrust23THRUST_200600_302600_NS5minusIfEEEE10hipError_tPvRmT2_T3_mT4_P12ihipStream_tbEUlmE_fEESB_NS0_8identityIvEEEESG_SJ_SK_mSL_SN_bEUlT_E_NS1_11comp_targetILNS1_3genE2ELNS1_11target_archE906ELNS1_3gpuE6ELNS1_3repE0EEENS1_30default_config_static_selectorELNS0_4arch9wavefront6targetE1EEEvT1_, .Lfunc_end165-_ZN7rocprim17ROCPRIM_400000_NS6detail17trampoline_kernelINS0_14default_configENS1_25transform_config_selectorIfLb0EEEZNS1_14transform_implILb0ES3_S5_NS0_18transform_iteratorINS0_17counting_iteratorImlEEZNS1_24adjacent_difference_implIS3_Lb1ELb0EPfSB_N6thrust23THRUST_200600_302600_NS5minusIfEEEE10hipError_tPvRmT2_T3_mT4_P12ihipStream_tbEUlmE_fEESB_NS0_8identityIvEEEESG_SJ_SK_mSL_SN_bEUlT_E_NS1_11comp_targetILNS1_3genE2ELNS1_11target_archE906ELNS1_3gpuE6ELNS1_3repE0EEENS1_30default_config_static_selectorELNS0_4arch9wavefront6targetE1EEEvT1_
                                        ; -- End function
	.section	.AMDGPU.csdata,"",@progbits
; Kernel info:
; codeLenInByte = 0
; NumSgprs: 6
; NumVgprs: 0
; NumAgprs: 0
; TotalNumVgprs: 0
; ScratchSize: 0
; MemoryBound: 0
; FloatMode: 240
; IeeeMode: 1
; LDSByteSize: 0 bytes/workgroup (compile time only)
; SGPRBlocks: 0
; VGPRBlocks: 0
; NumSGPRsForWavesPerEU: 6
; NumVGPRsForWavesPerEU: 1
; AccumOffset: 4
; Occupancy: 8
; WaveLimiterHint : 0
; COMPUTE_PGM_RSRC2:SCRATCH_EN: 0
; COMPUTE_PGM_RSRC2:USER_SGPR: 2
; COMPUTE_PGM_RSRC2:TRAP_HANDLER: 0
; COMPUTE_PGM_RSRC2:TGID_X_EN: 1
; COMPUTE_PGM_RSRC2:TGID_Y_EN: 0
; COMPUTE_PGM_RSRC2:TGID_Z_EN: 0
; COMPUTE_PGM_RSRC2:TIDIG_COMP_CNT: 0
; COMPUTE_PGM_RSRC3_GFX90A:ACCUM_OFFSET: 0
; COMPUTE_PGM_RSRC3_GFX90A:TG_SPLIT: 0
	.section	.text._ZN7rocprim17ROCPRIM_400000_NS6detail17trampoline_kernelINS0_14default_configENS1_25transform_config_selectorIfLb0EEEZNS1_14transform_implILb0ES3_S5_NS0_18transform_iteratorINS0_17counting_iteratorImlEEZNS1_24adjacent_difference_implIS3_Lb1ELb0EPfSB_N6thrust23THRUST_200600_302600_NS5minusIfEEEE10hipError_tPvRmT2_T3_mT4_P12ihipStream_tbEUlmE_fEESB_NS0_8identityIvEEEESG_SJ_SK_mSL_SN_bEUlT_E_NS1_11comp_targetILNS1_3genE10ELNS1_11target_archE1201ELNS1_3gpuE5ELNS1_3repE0EEENS1_30default_config_static_selectorELNS0_4arch9wavefront6targetE1EEEvT1_,"axG",@progbits,_ZN7rocprim17ROCPRIM_400000_NS6detail17trampoline_kernelINS0_14default_configENS1_25transform_config_selectorIfLb0EEEZNS1_14transform_implILb0ES3_S5_NS0_18transform_iteratorINS0_17counting_iteratorImlEEZNS1_24adjacent_difference_implIS3_Lb1ELb0EPfSB_N6thrust23THRUST_200600_302600_NS5minusIfEEEE10hipError_tPvRmT2_T3_mT4_P12ihipStream_tbEUlmE_fEESB_NS0_8identityIvEEEESG_SJ_SK_mSL_SN_bEUlT_E_NS1_11comp_targetILNS1_3genE10ELNS1_11target_archE1201ELNS1_3gpuE5ELNS1_3repE0EEENS1_30default_config_static_selectorELNS0_4arch9wavefront6targetE1EEEvT1_,comdat
	.protected	_ZN7rocprim17ROCPRIM_400000_NS6detail17trampoline_kernelINS0_14default_configENS1_25transform_config_selectorIfLb0EEEZNS1_14transform_implILb0ES3_S5_NS0_18transform_iteratorINS0_17counting_iteratorImlEEZNS1_24adjacent_difference_implIS3_Lb1ELb0EPfSB_N6thrust23THRUST_200600_302600_NS5minusIfEEEE10hipError_tPvRmT2_T3_mT4_P12ihipStream_tbEUlmE_fEESB_NS0_8identityIvEEEESG_SJ_SK_mSL_SN_bEUlT_E_NS1_11comp_targetILNS1_3genE10ELNS1_11target_archE1201ELNS1_3gpuE5ELNS1_3repE0EEENS1_30default_config_static_selectorELNS0_4arch9wavefront6targetE1EEEvT1_ ; -- Begin function _ZN7rocprim17ROCPRIM_400000_NS6detail17trampoline_kernelINS0_14default_configENS1_25transform_config_selectorIfLb0EEEZNS1_14transform_implILb0ES3_S5_NS0_18transform_iteratorINS0_17counting_iteratorImlEEZNS1_24adjacent_difference_implIS3_Lb1ELb0EPfSB_N6thrust23THRUST_200600_302600_NS5minusIfEEEE10hipError_tPvRmT2_T3_mT4_P12ihipStream_tbEUlmE_fEESB_NS0_8identityIvEEEESG_SJ_SK_mSL_SN_bEUlT_E_NS1_11comp_targetILNS1_3genE10ELNS1_11target_archE1201ELNS1_3gpuE5ELNS1_3repE0EEENS1_30default_config_static_selectorELNS0_4arch9wavefront6targetE1EEEvT1_
	.globl	_ZN7rocprim17ROCPRIM_400000_NS6detail17trampoline_kernelINS0_14default_configENS1_25transform_config_selectorIfLb0EEEZNS1_14transform_implILb0ES3_S5_NS0_18transform_iteratorINS0_17counting_iteratorImlEEZNS1_24adjacent_difference_implIS3_Lb1ELb0EPfSB_N6thrust23THRUST_200600_302600_NS5minusIfEEEE10hipError_tPvRmT2_T3_mT4_P12ihipStream_tbEUlmE_fEESB_NS0_8identityIvEEEESG_SJ_SK_mSL_SN_bEUlT_E_NS1_11comp_targetILNS1_3genE10ELNS1_11target_archE1201ELNS1_3gpuE5ELNS1_3repE0EEENS1_30default_config_static_selectorELNS0_4arch9wavefront6targetE1EEEvT1_
	.p2align	8
	.type	_ZN7rocprim17ROCPRIM_400000_NS6detail17trampoline_kernelINS0_14default_configENS1_25transform_config_selectorIfLb0EEEZNS1_14transform_implILb0ES3_S5_NS0_18transform_iteratorINS0_17counting_iteratorImlEEZNS1_24adjacent_difference_implIS3_Lb1ELb0EPfSB_N6thrust23THRUST_200600_302600_NS5minusIfEEEE10hipError_tPvRmT2_T3_mT4_P12ihipStream_tbEUlmE_fEESB_NS0_8identityIvEEEESG_SJ_SK_mSL_SN_bEUlT_E_NS1_11comp_targetILNS1_3genE10ELNS1_11target_archE1201ELNS1_3gpuE5ELNS1_3repE0EEENS1_30default_config_static_selectorELNS0_4arch9wavefront6targetE1EEEvT1_,@function
_ZN7rocprim17ROCPRIM_400000_NS6detail17trampoline_kernelINS0_14default_configENS1_25transform_config_selectorIfLb0EEEZNS1_14transform_implILb0ES3_S5_NS0_18transform_iteratorINS0_17counting_iteratorImlEEZNS1_24adjacent_difference_implIS3_Lb1ELb0EPfSB_N6thrust23THRUST_200600_302600_NS5minusIfEEEE10hipError_tPvRmT2_T3_mT4_P12ihipStream_tbEUlmE_fEESB_NS0_8identityIvEEEESG_SJ_SK_mSL_SN_bEUlT_E_NS1_11comp_targetILNS1_3genE10ELNS1_11target_archE1201ELNS1_3gpuE5ELNS1_3repE0EEENS1_30default_config_static_selectorELNS0_4arch9wavefront6targetE1EEEvT1_: ; @_ZN7rocprim17ROCPRIM_400000_NS6detail17trampoline_kernelINS0_14default_configENS1_25transform_config_selectorIfLb0EEEZNS1_14transform_implILb0ES3_S5_NS0_18transform_iteratorINS0_17counting_iteratorImlEEZNS1_24adjacent_difference_implIS3_Lb1ELb0EPfSB_N6thrust23THRUST_200600_302600_NS5minusIfEEEE10hipError_tPvRmT2_T3_mT4_P12ihipStream_tbEUlmE_fEESB_NS0_8identityIvEEEESG_SJ_SK_mSL_SN_bEUlT_E_NS1_11comp_targetILNS1_3genE10ELNS1_11target_archE1201ELNS1_3gpuE5ELNS1_3repE0EEENS1_30default_config_static_selectorELNS0_4arch9wavefront6targetE1EEEvT1_
; %bb.0:
	.section	.rodata,"a",@progbits
	.p2align	6, 0x0
	.amdhsa_kernel _ZN7rocprim17ROCPRIM_400000_NS6detail17trampoline_kernelINS0_14default_configENS1_25transform_config_selectorIfLb0EEEZNS1_14transform_implILb0ES3_S5_NS0_18transform_iteratorINS0_17counting_iteratorImlEEZNS1_24adjacent_difference_implIS3_Lb1ELb0EPfSB_N6thrust23THRUST_200600_302600_NS5minusIfEEEE10hipError_tPvRmT2_T3_mT4_P12ihipStream_tbEUlmE_fEESB_NS0_8identityIvEEEESG_SJ_SK_mSL_SN_bEUlT_E_NS1_11comp_targetILNS1_3genE10ELNS1_11target_archE1201ELNS1_3gpuE5ELNS1_3repE0EEENS1_30default_config_static_selectorELNS0_4arch9wavefront6targetE1EEEvT1_
		.amdhsa_group_segment_fixed_size 0
		.amdhsa_private_segment_fixed_size 0
		.amdhsa_kernarg_size 56
		.amdhsa_user_sgpr_count 2
		.amdhsa_user_sgpr_dispatch_ptr 0
		.amdhsa_user_sgpr_queue_ptr 0
		.amdhsa_user_sgpr_kernarg_segment_ptr 1
		.amdhsa_user_sgpr_dispatch_id 0
		.amdhsa_user_sgpr_kernarg_preload_length 0
		.amdhsa_user_sgpr_kernarg_preload_offset 0
		.amdhsa_user_sgpr_private_segment_size 0
		.amdhsa_uses_dynamic_stack 0
		.amdhsa_enable_private_segment 0
		.amdhsa_system_sgpr_workgroup_id_x 1
		.amdhsa_system_sgpr_workgroup_id_y 0
		.amdhsa_system_sgpr_workgroup_id_z 0
		.amdhsa_system_sgpr_workgroup_info 0
		.amdhsa_system_vgpr_workitem_id 0
		.amdhsa_next_free_vgpr 1
		.amdhsa_next_free_sgpr 0
		.amdhsa_accum_offset 4
		.amdhsa_reserve_vcc 0
		.amdhsa_float_round_mode_32 0
		.amdhsa_float_round_mode_16_64 0
		.amdhsa_float_denorm_mode_32 3
		.amdhsa_float_denorm_mode_16_64 3
		.amdhsa_dx10_clamp 1
		.amdhsa_ieee_mode 1
		.amdhsa_fp16_overflow 0
		.amdhsa_tg_split 0
		.amdhsa_exception_fp_ieee_invalid_op 0
		.amdhsa_exception_fp_denorm_src 0
		.amdhsa_exception_fp_ieee_div_zero 0
		.amdhsa_exception_fp_ieee_overflow 0
		.amdhsa_exception_fp_ieee_underflow 0
		.amdhsa_exception_fp_ieee_inexact 0
		.amdhsa_exception_int_div_zero 0
	.end_amdhsa_kernel
	.section	.text._ZN7rocprim17ROCPRIM_400000_NS6detail17trampoline_kernelINS0_14default_configENS1_25transform_config_selectorIfLb0EEEZNS1_14transform_implILb0ES3_S5_NS0_18transform_iteratorINS0_17counting_iteratorImlEEZNS1_24adjacent_difference_implIS3_Lb1ELb0EPfSB_N6thrust23THRUST_200600_302600_NS5minusIfEEEE10hipError_tPvRmT2_T3_mT4_P12ihipStream_tbEUlmE_fEESB_NS0_8identityIvEEEESG_SJ_SK_mSL_SN_bEUlT_E_NS1_11comp_targetILNS1_3genE10ELNS1_11target_archE1201ELNS1_3gpuE5ELNS1_3repE0EEENS1_30default_config_static_selectorELNS0_4arch9wavefront6targetE1EEEvT1_,"axG",@progbits,_ZN7rocprim17ROCPRIM_400000_NS6detail17trampoline_kernelINS0_14default_configENS1_25transform_config_selectorIfLb0EEEZNS1_14transform_implILb0ES3_S5_NS0_18transform_iteratorINS0_17counting_iteratorImlEEZNS1_24adjacent_difference_implIS3_Lb1ELb0EPfSB_N6thrust23THRUST_200600_302600_NS5minusIfEEEE10hipError_tPvRmT2_T3_mT4_P12ihipStream_tbEUlmE_fEESB_NS0_8identityIvEEEESG_SJ_SK_mSL_SN_bEUlT_E_NS1_11comp_targetILNS1_3genE10ELNS1_11target_archE1201ELNS1_3gpuE5ELNS1_3repE0EEENS1_30default_config_static_selectorELNS0_4arch9wavefront6targetE1EEEvT1_,comdat
.Lfunc_end166:
	.size	_ZN7rocprim17ROCPRIM_400000_NS6detail17trampoline_kernelINS0_14default_configENS1_25transform_config_selectorIfLb0EEEZNS1_14transform_implILb0ES3_S5_NS0_18transform_iteratorINS0_17counting_iteratorImlEEZNS1_24adjacent_difference_implIS3_Lb1ELb0EPfSB_N6thrust23THRUST_200600_302600_NS5minusIfEEEE10hipError_tPvRmT2_T3_mT4_P12ihipStream_tbEUlmE_fEESB_NS0_8identityIvEEEESG_SJ_SK_mSL_SN_bEUlT_E_NS1_11comp_targetILNS1_3genE10ELNS1_11target_archE1201ELNS1_3gpuE5ELNS1_3repE0EEENS1_30default_config_static_selectorELNS0_4arch9wavefront6targetE1EEEvT1_, .Lfunc_end166-_ZN7rocprim17ROCPRIM_400000_NS6detail17trampoline_kernelINS0_14default_configENS1_25transform_config_selectorIfLb0EEEZNS1_14transform_implILb0ES3_S5_NS0_18transform_iteratorINS0_17counting_iteratorImlEEZNS1_24adjacent_difference_implIS3_Lb1ELb0EPfSB_N6thrust23THRUST_200600_302600_NS5minusIfEEEE10hipError_tPvRmT2_T3_mT4_P12ihipStream_tbEUlmE_fEESB_NS0_8identityIvEEEESG_SJ_SK_mSL_SN_bEUlT_E_NS1_11comp_targetILNS1_3genE10ELNS1_11target_archE1201ELNS1_3gpuE5ELNS1_3repE0EEENS1_30default_config_static_selectorELNS0_4arch9wavefront6targetE1EEEvT1_
                                        ; -- End function
	.section	.AMDGPU.csdata,"",@progbits
; Kernel info:
; codeLenInByte = 0
; NumSgprs: 6
; NumVgprs: 0
; NumAgprs: 0
; TotalNumVgprs: 0
; ScratchSize: 0
; MemoryBound: 0
; FloatMode: 240
; IeeeMode: 1
; LDSByteSize: 0 bytes/workgroup (compile time only)
; SGPRBlocks: 0
; VGPRBlocks: 0
; NumSGPRsForWavesPerEU: 6
; NumVGPRsForWavesPerEU: 1
; AccumOffset: 4
; Occupancy: 8
; WaveLimiterHint : 0
; COMPUTE_PGM_RSRC2:SCRATCH_EN: 0
; COMPUTE_PGM_RSRC2:USER_SGPR: 2
; COMPUTE_PGM_RSRC2:TRAP_HANDLER: 0
; COMPUTE_PGM_RSRC2:TGID_X_EN: 1
; COMPUTE_PGM_RSRC2:TGID_Y_EN: 0
; COMPUTE_PGM_RSRC2:TGID_Z_EN: 0
; COMPUTE_PGM_RSRC2:TIDIG_COMP_CNT: 0
; COMPUTE_PGM_RSRC3_GFX90A:ACCUM_OFFSET: 0
; COMPUTE_PGM_RSRC3_GFX90A:TG_SPLIT: 0
	.section	.text._ZN7rocprim17ROCPRIM_400000_NS6detail17trampoline_kernelINS0_14default_configENS1_25transform_config_selectorIfLb0EEEZNS1_14transform_implILb0ES3_S5_NS0_18transform_iteratorINS0_17counting_iteratorImlEEZNS1_24adjacent_difference_implIS3_Lb1ELb0EPfSB_N6thrust23THRUST_200600_302600_NS5minusIfEEEE10hipError_tPvRmT2_T3_mT4_P12ihipStream_tbEUlmE_fEESB_NS0_8identityIvEEEESG_SJ_SK_mSL_SN_bEUlT_E_NS1_11comp_targetILNS1_3genE10ELNS1_11target_archE1200ELNS1_3gpuE4ELNS1_3repE0EEENS1_30default_config_static_selectorELNS0_4arch9wavefront6targetE1EEEvT1_,"axG",@progbits,_ZN7rocprim17ROCPRIM_400000_NS6detail17trampoline_kernelINS0_14default_configENS1_25transform_config_selectorIfLb0EEEZNS1_14transform_implILb0ES3_S5_NS0_18transform_iteratorINS0_17counting_iteratorImlEEZNS1_24adjacent_difference_implIS3_Lb1ELb0EPfSB_N6thrust23THRUST_200600_302600_NS5minusIfEEEE10hipError_tPvRmT2_T3_mT4_P12ihipStream_tbEUlmE_fEESB_NS0_8identityIvEEEESG_SJ_SK_mSL_SN_bEUlT_E_NS1_11comp_targetILNS1_3genE10ELNS1_11target_archE1200ELNS1_3gpuE4ELNS1_3repE0EEENS1_30default_config_static_selectorELNS0_4arch9wavefront6targetE1EEEvT1_,comdat
	.protected	_ZN7rocprim17ROCPRIM_400000_NS6detail17trampoline_kernelINS0_14default_configENS1_25transform_config_selectorIfLb0EEEZNS1_14transform_implILb0ES3_S5_NS0_18transform_iteratorINS0_17counting_iteratorImlEEZNS1_24adjacent_difference_implIS3_Lb1ELb0EPfSB_N6thrust23THRUST_200600_302600_NS5minusIfEEEE10hipError_tPvRmT2_T3_mT4_P12ihipStream_tbEUlmE_fEESB_NS0_8identityIvEEEESG_SJ_SK_mSL_SN_bEUlT_E_NS1_11comp_targetILNS1_3genE10ELNS1_11target_archE1200ELNS1_3gpuE4ELNS1_3repE0EEENS1_30default_config_static_selectorELNS0_4arch9wavefront6targetE1EEEvT1_ ; -- Begin function _ZN7rocprim17ROCPRIM_400000_NS6detail17trampoline_kernelINS0_14default_configENS1_25transform_config_selectorIfLb0EEEZNS1_14transform_implILb0ES3_S5_NS0_18transform_iteratorINS0_17counting_iteratorImlEEZNS1_24adjacent_difference_implIS3_Lb1ELb0EPfSB_N6thrust23THRUST_200600_302600_NS5minusIfEEEE10hipError_tPvRmT2_T3_mT4_P12ihipStream_tbEUlmE_fEESB_NS0_8identityIvEEEESG_SJ_SK_mSL_SN_bEUlT_E_NS1_11comp_targetILNS1_3genE10ELNS1_11target_archE1200ELNS1_3gpuE4ELNS1_3repE0EEENS1_30default_config_static_selectorELNS0_4arch9wavefront6targetE1EEEvT1_
	.globl	_ZN7rocprim17ROCPRIM_400000_NS6detail17trampoline_kernelINS0_14default_configENS1_25transform_config_selectorIfLb0EEEZNS1_14transform_implILb0ES3_S5_NS0_18transform_iteratorINS0_17counting_iteratorImlEEZNS1_24adjacent_difference_implIS3_Lb1ELb0EPfSB_N6thrust23THRUST_200600_302600_NS5minusIfEEEE10hipError_tPvRmT2_T3_mT4_P12ihipStream_tbEUlmE_fEESB_NS0_8identityIvEEEESG_SJ_SK_mSL_SN_bEUlT_E_NS1_11comp_targetILNS1_3genE10ELNS1_11target_archE1200ELNS1_3gpuE4ELNS1_3repE0EEENS1_30default_config_static_selectorELNS0_4arch9wavefront6targetE1EEEvT1_
	.p2align	8
	.type	_ZN7rocprim17ROCPRIM_400000_NS6detail17trampoline_kernelINS0_14default_configENS1_25transform_config_selectorIfLb0EEEZNS1_14transform_implILb0ES3_S5_NS0_18transform_iteratorINS0_17counting_iteratorImlEEZNS1_24adjacent_difference_implIS3_Lb1ELb0EPfSB_N6thrust23THRUST_200600_302600_NS5minusIfEEEE10hipError_tPvRmT2_T3_mT4_P12ihipStream_tbEUlmE_fEESB_NS0_8identityIvEEEESG_SJ_SK_mSL_SN_bEUlT_E_NS1_11comp_targetILNS1_3genE10ELNS1_11target_archE1200ELNS1_3gpuE4ELNS1_3repE0EEENS1_30default_config_static_selectorELNS0_4arch9wavefront6targetE1EEEvT1_,@function
_ZN7rocprim17ROCPRIM_400000_NS6detail17trampoline_kernelINS0_14default_configENS1_25transform_config_selectorIfLb0EEEZNS1_14transform_implILb0ES3_S5_NS0_18transform_iteratorINS0_17counting_iteratorImlEEZNS1_24adjacent_difference_implIS3_Lb1ELb0EPfSB_N6thrust23THRUST_200600_302600_NS5minusIfEEEE10hipError_tPvRmT2_T3_mT4_P12ihipStream_tbEUlmE_fEESB_NS0_8identityIvEEEESG_SJ_SK_mSL_SN_bEUlT_E_NS1_11comp_targetILNS1_3genE10ELNS1_11target_archE1200ELNS1_3gpuE4ELNS1_3repE0EEENS1_30default_config_static_selectorELNS0_4arch9wavefront6targetE1EEEvT1_: ; @_ZN7rocprim17ROCPRIM_400000_NS6detail17trampoline_kernelINS0_14default_configENS1_25transform_config_selectorIfLb0EEEZNS1_14transform_implILb0ES3_S5_NS0_18transform_iteratorINS0_17counting_iteratorImlEEZNS1_24adjacent_difference_implIS3_Lb1ELb0EPfSB_N6thrust23THRUST_200600_302600_NS5minusIfEEEE10hipError_tPvRmT2_T3_mT4_P12ihipStream_tbEUlmE_fEESB_NS0_8identityIvEEEESG_SJ_SK_mSL_SN_bEUlT_E_NS1_11comp_targetILNS1_3genE10ELNS1_11target_archE1200ELNS1_3gpuE4ELNS1_3repE0EEENS1_30default_config_static_selectorELNS0_4arch9wavefront6targetE1EEEvT1_
; %bb.0:
	.section	.rodata,"a",@progbits
	.p2align	6, 0x0
	.amdhsa_kernel _ZN7rocprim17ROCPRIM_400000_NS6detail17trampoline_kernelINS0_14default_configENS1_25transform_config_selectorIfLb0EEEZNS1_14transform_implILb0ES3_S5_NS0_18transform_iteratorINS0_17counting_iteratorImlEEZNS1_24adjacent_difference_implIS3_Lb1ELb0EPfSB_N6thrust23THRUST_200600_302600_NS5minusIfEEEE10hipError_tPvRmT2_T3_mT4_P12ihipStream_tbEUlmE_fEESB_NS0_8identityIvEEEESG_SJ_SK_mSL_SN_bEUlT_E_NS1_11comp_targetILNS1_3genE10ELNS1_11target_archE1200ELNS1_3gpuE4ELNS1_3repE0EEENS1_30default_config_static_selectorELNS0_4arch9wavefront6targetE1EEEvT1_
		.amdhsa_group_segment_fixed_size 0
		.amdhsa_private_segment_fixed_size 0
		.amdhsa_kernarg_size 56
		.amdhsa_user_sgpr_count 2
		.amdhsa_user_sgpr_dispatch_ptr 0
		.amdhsa_user_sgpr_queue_ptr 0
		.amdhsa_user_sgpr_kernarg_segment_ptr 1
		.amdhsa_user_sgpr_dispatch_id 0
		.amdhsa_user_sgpr_kernarg_preload_length 0
		.amdhsa_user_sgpr_kernarg_preload_offset 0
		.amdhsa_user_sgpr_private_segment_size 0
		.amdhsa_uses_dynamic_stack 0
		.amdhsa_enable_private_segment 0
		.amdhsa_system_sgpr_workgroup_id_x 1
		.amdhsa_system_sgpr_workgroup_id_y 0
		.amdhsa_system_sgpr_workgroup_id_z 0
		.amdhsa_system_sgpr_workgroup_info 0
		.amdhsa_system_vgpr_workitem_id 0
		.amdhsa_next_free_vgpr 1
		.amdhsa_next_free_sgpr 0
		.amdhsa_accum_offset 4
		.amdhsa_reserve_vcc 0
		.amdhsa_float_round_mode_32 0
		.amdhsa_float_round_mode_16_64 0
		.amdhsa_float_denorm_mode_32 3
		.amdhsa_float_denorm_mode_16_64 3
		.amdhsa_dx10_clamp 1
		.amdhsa_ieee_mode 1
		.amdhsa_fp16_overflow 0
		.amdhsa_tg_split 0
		.amdhsa_exception_fp_ieee_invalid_op 0
		.amdhsa_exception_fp_denorm_src 0
		.amdhsa_exception_fp_ieee_div_zero 0
		.amdhsa_exception_fp_ieee_overflow 0
		.amdhsa_exception_fp_ieee_underflow 0
		.amdhsa_exception_fp_ieee_inexact 0
		.amdhsa_exception_int_div_zero 0
	.end_amdhsa_kernel
	.section	.text._ZN7rocprim17ROCPRIM_400000_NS6detail17trampoline_kernelINS0_14default_configENS1_25transform_config_selectorIfLb0EEEZNS1_14transform_implILb0ES3_S5_NS0_18transform_iteratorINS0_17counting_iteratorImlEEZNS1_24adjacent_difference_implIS3_Lb1ELb0EPfSB_N6thrust23THRUST_200600_302600_NS5minusIfEEEE10hipError_tPvRmT2_T3_mT4_P12ihipStream_tbEUlmE_fEESB_NS0_8identityIvEEEESG_SJ_SK_mSL_SN_bEUlT_E_NS1_11comp_targetILNS1_3genE10ELNS1_11target_archE1200ELNS1_3gpuE4ELNS1_3repE0EEENS1_30default_config_static_selectorELNS0_4arch9wavefront6targetE1EEEvT1_,"axG",@progbits,_ZN7rocprim17ROCPRIM_400000_NS6detail17trampoline_kernelINS0_14default_configENS1_25transform_config_selectorIfLb0EEEZNS1_14transform_implILb0ES3_S5_NS0_18transform_iteratorINS0_17counting_iteratorImlEEZNS1_24adjacent_difference_implIS3_Lb1ELb0EPfSB_N6thrust23THRUST_200600_302600_NS5minusIfEEEE10hipError_tPvRmT2_T3_mT4_P12ihipStream_tbEUlmE_fEESB_NS0_8identityIvEEEESG_SJ_SK_mSL_SN_bEUlT_E_NS1_11comp_targetILNS1_3genE10ELNS1_11target_archE1200ELNS1_3gpuE4ELNS1_3repE0EEENS1_30default_config_static_selectorELNS0_4arch9wavefront6targetE1EEEvT1_,comdat
.Lfunc_end167:
	.size	_ZN7rocprim17ROCPRIM_400000_NS6detail17trampoline_kernelINS0_14default_configENS1_25transform_config_selectorIfLb0EEEZNS1_14transform_implILb0ES3_S5_NS0_18transform_iteratorINS0_17counting_iteratorImlEEZNS1_24adjacent_difference_implIS3_Lb1ELb0EPfSB_N6thrust23THRUST_200600_302600_NS5minusIfEEEE10hipError_tPvRmT2_T3_mT4_P12ihipStream_tbEUlmE_fEESB_NS0_8identityIvEEEESG_SJ_SK_mSL_SN_bEUlT_E_NS1_11comp_targetILNS1_3genE10ELNS1_11target_archE1200ELNS1_3gpuE4ELNS1_3repE0EEENS1_30default_config_static_selectorELNS0_4arch9wavefront6targetE1EEEvT1_, .Lfunc_end167-_ZN7rocprim17ROCPRIM_400000_NS6detail17trampoline_kernelINS0_14default_configENS1_25transform_config_selectorIfLb0EEEZNS1_14transform_implILb0ES3_S5_NS0_18transform_iteratorINS0_17counting_iteratorImlEEZNS1_24adjacent_difference_implIS3_Lb1ELb0EPfSB_N6thrust23THRUST_200600_302600_NS5minusIfEEEE10hipError_tPvRmT2_T3_mT4_P12ihipStream_tbEUlmE_fEESB_NS0_8identityIvEEEESG_SJ_SK_mSL_SN_bEUlT_E_NS1_11comp_targetILNS1_3genE10ELNS1_11target_archE1200ELNS1_3gpuE4ELNS1_3repE0EEENS1_30default_config_static_selectorELNS0_4arch9wavefront6targetE1EEEvT1_
                                        ; -- End function
	.section	.AMDGPU.csdata,"",@progbits
; Kernel info:
; codeLenInByte = 0
; NumSgprs: 6
; NumVgprs: 0
; NumAgprs: 0
; TotalNumVgprs: 0
; ScratchSize: 0
; MemoryBound: 0
; FloatMode: 240
; IeeeMode: 1
; LDSByteSize: 0 bytes/workgroup (compile time only)
; SGPRBlocks: 0
; VGPRBlocks: 0
; NumSGPRsForWavesPerEU: 6
; NumVGPRsForWavesPerEU: 1
; AccumOffset: 4
; Occupancy: 8
; WaveLimiterHint : 0
; COMPUTE_PGM_RSRC2:SCRATCH_EN: 0
; COMPUTE_PGM_RSRC2:USER_SGPR: 2
; COMPUTE_PGM_RSRC2:TRAP_HANDLER: 0
; COMPUTE_PGM_RSRC2:TGID_X_EN: 1
; COMPUTE_PGM_RSRC2:TGID_Y_EN: 0
; COMPUTE_PGM_RSRC2:TGID_Z_EN: 0
; COMPUTE_PGM_RSRC2:TIDIG_COMP_CNT: 0
; COMPUTE_PGM_RSRC3_GFX90A:ACCUM_OFFSET: 0
; COMPUTE_PGM_RSRC3_GFX90A:TG_SPLIT: 0
	.section	.text._ZN7rocprim17ROCPRIM_400000_NS6detail17trampoline_kernelINS0_14default_configENS1_25transform_config_selectorIfLb0EEEZNS1_14transform_implILb0ES3_S5_NS0_18transform_iteratorINS0_17counting_iteratorImlEEZNS1_24adjacent_difference_implIS3_Lb1ELb0EPfSB_N6thrust23THRUST_200600_302600_NS5minusIfEEEE10hipError_tPvRmT2_T3_mT4_P12ihipStream_tbEUlmE_fEESB_NS0_8identityIvEEEESG_SJ_SK_mSL_SN_bEUlT_E_NS1_11comp_targetILNS1_3genE9ELNS1_11target_archE1100ELNS1_3gpuE3ELNS1_3repE0EEENS1_30default_config_static_selectorELNS0_4arch9wavefront6targetE1EEEvT1_,"axG",@progbits,_ZN7rocprim17ROCPRIM_400000_NS6detail17trampoline_kernelINS0_14default_configENS1_25transform_config_selectorIfLb0EEEZNS1_14transform_implILb0ES3_S5_NS0_18transform_iteratorINS0_17counting_iteratorImlEEZNS1_24adjacent_difference_implIS3_Lb1ELb0EPfSB_N6thrust23THRUST_200600_302600_NS5minusIfEEEE10hipError_tPvRmT2_T3_mT4_P12ihipStream_tbEUlmE_fEESB_NS0_8identityIvEEEESG_SJ_SK_mSL_SN_bEUlT_E_NS1_11comp_targetILNS1_3genE9ELNS1_11target_archE1100ELNS1_3gpuE3ELNS1_3repE0EEENS1_30default_config_static_selectorELNS0_4arch9wavefront6targetE1EEEvT1_,comdat
	.protected	_ZN7rocprim17ROCPRIM_400000_NS6detail17trampoline_kernelINS0_14default_configENS1_25transform_config_selectorIfLb0EEEZNS1_14transform_implILb0ES3_S5_NS0_18transform_iteratorINS0_17counting_iteratorImlEEZNS1_24adjacent_difference_implIS3_Lb1ELb0EPfSB_N6thrust23THRUST_200600_302600_NS5minusIfEEEE10hipError_tPvRmT2_T3_mT4_P12ihipStream_tbEUlmE_fEESB_NS0_8identityIvEEEESG_SJ_SK_mSL_SN_bEUlT_E_NS1_11comp_targetILNS1_3genE9ELNS1_11target_archE1100ELNS1_3gpuE3ELNS1_3repE0EEENS1_30default_config_static_selectorELNS0_4arch9wavefront6targetE1EEEvT1_ ; -- Begin function _ZN7rocprim17ROCPRIM_400000_NS6detail17trampoline_kernelINS0_14default_configENS1_25transform_config_selectorIfLb0EEEZNS1_14transform_implILb0ES3_S5_NS0_18transform_iteratorINS0_17counting_iteratorImlEEZNS1_24adjacent_difference_implIS3_Lb1ELb0EPfSB_N6thrust23THRUST_200600_302600_NS5minusIfEEEE10hipError_tPvRmT2_T3_mT4_P12ihipStream_tbEUlmE_fEESB_NS0_8identityIvEEEESG_SJ_SK_mSL_SN_bEUlT_E_NS1_11comp_targetILNS1_3genE9ELNS1_11target_archE1100ELNS1_3gpuE3ELNS1_3repE0EEENS1_30default_config_static_selectorELNS0_4arch9wavefront6targetE1EEEvT1_
	.globl	_ZN7rocprim17ROCPRIM_400000_NS6detail17trampoline_kernelINS0_14default_configENS1_25transform_config_selectorIfLb0EEEZNS1_14transform_implILb0ES3_S5_NS0_18transform_iteratorINS0_17counting_iteratorImlEEZNS1_24adjacent_difference_implIS3_Lb1ELb0EPfSB_N6thrust23THRUST_200600_302600_NS5minusIfEEEE10hipError_tPvRmT2_T3_mT4_P12ihipStream_tbEUlmE_fEESB_NS0_8identityIvEEEESG_SJ_SK_mSL_SN_bEUlT_E_NS1_11comp_targetILNS1_3genE9ELNS1_11target_archE1100ELNS1_3gpuE3ELNS1_3repE0EEENS1_30default_config_static_selectorELNS0_4arch9wavefront6targetE1EEEvT1_
	.p2align	8
	.type	_ZN7rocprim17ROCPRIM_400000_NS6detail17trampoline_kernelINS0_14default_configENS1_25transform_config_selectorIfLb0EEEZNS1_14transform_implILb0ES3_S5_NS0_18transform_iteratorINS0_17counting_iteratorImlEEZNS1_24adjacent_difference_implIS3_Lb1ELb0EPfSB_N6thrust23THRUST_200600_302600_NS5minusIfEEEE10hipError_tPvRmT2_T3_mT4_P12ihipStream_tbEUlmE_fEESB_NS0_8identityIvEEEESG_SJ_SK_mSL_SN_bEUlT_E_NS1_11comp_targetILNS1_3genE9ELNS1_11target_archE1100ELNS1_3gpuE3ELNS1_3repE0EEENS1_30default_config_static_selectorELNS0_4arch9wavefront6targetE1EEEvT1_,@function
_ZN7rocprim17ROCPRIM_400000_NS6detail17trampoline_kernelINS0_14default_configENS1_25transform_config_selectorIfLb0EEEZNS1_14transform_implILb0ES3_S5_NS0_18transform_iteratorINS0_17counting_iteratorImlEEZNS1_24adjacent_difference_implIS3_Lb1ELb0EPfSB_N6thrust23THRUST_200600_302600_NS5minusIfEEEE10hipError_tPvRmT2_T3_mT4_P12ihipStream_tbEUlmE_fEESB_NS0_8identityIvEEEESG_SJ_SK_mSL_SN_bEUlT_E_NS1_11comp_targetILNS1_3genE9ELNS1_11target_archE1100ELNS1_3gpuE3ELNS1_3repE0EEENS1_30default_config_static_selectorELNS0_4arch9wavefront6targetE1EEEvT1_: ; @_ZN7rocprim17ROCPRIM_400000_NS6detail17trampoline_kernelINS0_14default_configENS1_25transform_config_selectorIfLb0EEEZNS1_14transform_implILb0ES3_S5_NS0_18transform_iteratorINS0_17counting_iteratorImlEEZNS1_24adjacent_difference_implIS3_Lb1ELb0EPfSB_N6thrust23THRUST_200600_302600_NS5minusIfEEEE10hipError_tPvRmT2_T3_mT4_P12ihipStream_tbEUlmE_fEESB_NS0_8identityIvEEEESG_SJ_SK_mSL_SN_bEUlT_E_NS1_11comp_targetILNS1_3genE9ELNS1_11target_archE1100ELNS1_3gpuE3ELNS1_3repE0EEENS1_30default_config_static_selectorELNS0_4arch9wavefront6targetE1EEEvT1_
; %bb.0:
	.section	.rodata,"a",@progbits
	.p2align	6, 0x0
	.amdhsa_kernel _ZN7rocprim17ROCPRIM_400000_NS6detail17trampoline_kernelINS0_14default_configENS1_25transform_config_selectorIfLb0EEEZNS1_14transform_implILb0ES3_S5_NS0_18transform_iteratorINS0_17counting_iteratorImlEEZNS1_24adjacent_difference_implIS3_Lb1ELb0EPfSB_N6thrust23THRUST_200600_302600_NS5minusIfEEEE10hipError_tPvRmT2_T3_mT4_P12ihipStream_tbEUlmE_fEESB_NS0_8identityIvEEEESG_SJ_SK_mSL_SN_bEUlT_E_NS1_11comp_targetILNS1_3genE9ELNS1_11target_archE1100ELNS1_3gpuE3ELNS1_3repE0EEENS1_30default_config_static_selectorELNS0_4arch9wavefront6targetE1EEEvT1_
		.amdhsa_group_segment_fixed_size 0
		.amdhsa_private_segment_fixed_size 0
		.amdhsa_kernarg_size 56
		.amdhsa_user_sgpr_count 2
		.amdhsa_user_sgpr_dispatch_ptr 0
		.amdhsa_user_sgpr_queue_ptr 0
		.amdhsa_user_sgpr_kernarg_segment_ptr 1
		.amdhsa_user_sgpr_dispatch_id 0
		.amdhsa_user_sgpr_kernarg_preload_length 0
		.amdhsa_user_sgpr_kernarg_preload_offset 0
		.amdhsa_user_sgpr_private_segment_size 0
		.amdhsa_uses_dynamic_stack 0
		.amdhsa_enable_private_segment 0
		.amdhsa_system_sgpr_workgroup_id_x 1
		.amdhsa_system_sgpr_workgroup_id_y 0
		.amdhsa_system_sgpr_workgroup_id_z 0
		.amdhsa_system_sgpr_workgroup_info 0
		.amdhsa_system_vgpr_workitem_id 0
		.amdhsa_next_free_vgpr 1
		.amdhsa_next_free_sgpr 0
		.amdhsa_accum_offset 4
		.amdhsa_reserve_vcc 0
		.amdhsa_float_round_mode_32 0
		.amdhsa_float_round_mode_16_64 0
		.amdhsa_float_denorm_mode_32 3
		.amdhsa_float_denorm_mode_16_64 3
		.amdhsa_dx10_clamp 1
		.amdhsa_ieee_mode 1
		.amdhsa_fp16_overflow 0
		.amdhsa_tg_split 0
		.amdhsa_exception_fp_ieee_invalid_op 0
		.amdhsa_exception_fp_denorm_src 0
		.amdhsa_exception_fp_ieee_div_zero 0
		.amdhsa_exception_fp_ieee_overflow 0
		.amdhsa_exception_fp_ieee_underflow 0
		.amdhsa_exception_fp_ieee_inexact 0
		.amdhsa_exception_int_div_zero 0
	.end_amdhsa_kernel
	.section	.text._ZN7rocprim17ROCPRIM_400000_NS6detail17trampoline_kernelINS0_14default_configENS1_25transform_config_selectorIfLb0EEEZNS1_14transform_implILb0ES3_S5_NS0_18transform_iteratorINS0_17counting_iteratorImlEEZNS1_24adjacent_difference_implIS3_Lb1ELb0EPfSB_N6thrust23THRUST_200600_302600_NS5minusIfEEEE10hipError_tPvRmT2_T3_mT4_P12ihipStream_tbEUlmE_fEESB_NS0_8identityIvEEEESG_SJ_SK_mSL_SN_bEUlT_E_NS1_11comp_targetILNS1_3genE9ELNS1_11target_archE1100ELNS1_3gpuE3ELNS1_3repE0EEENS1_30default_config_static_selectorELNS0_4arch9wavefront6targetE1EEEvT1_,"axG",@progbits,_ZN7rocprim17ROCPRIM_400000_NS6detail17trampoline_kernelINS0_14default_configENS1_25transform_config_selectorIfLb0EEEZNS1_14transform_implILb0ES3_S5_NS0_18transform_iteratorINS0_17counting_iteratorImlEEZNS1_24adjacent_difference_implIS3_Lb1ELb0EPfSB_N6thrust23THRUST_200600_302600_NS5minusIfEEEE10hipError_tPvRmT2_T3_mT4_P12ihipStream_tbEUlmE_fEESB_NS0_8identityIvEEEESG_SJ_SK_mSL_SN_bEUlT_E_NS1_11comp_targetILNS1_3genE9ELNS1_11target_archE1100ELNS1_3gpuE3ELNS1_3repE0EEENS1_30default_config_static_selectorELNS0_4arch9wavefront6targetE1EEEvT1_,comdat
.Lfunc_end168:
	.size	_ZN7rocprim17ROCPRIM_400000_NS6detail17trampoline_kernelINS0_14default_configENS1_25transform_config_selectorIfLb0EEEZNS1_14transform_implILb0ES3_S5_NS0_18transform_iteratorINS0_17counting_iteratorImlEEZNS1_24adjacent_difference_implIS3_Lb1ELb0EPfSB_N6thrust23THRUST_200600_302600_NS5minusIfEEEE10hipError_tPvRmT2_T3_mT4_P12ihipStream_tbEUlmE_fEESB_NS0_8identityIvEEEESG_SJ_SK_mSL_SN_bEUlT_E_NS1_11comp_targetILNS1_3genE9ELNS1_11target_archE1100ELNS1_3gpuE3ELNS1_3repE0EEENS1_30default_config_static_selectorELNS0_4arch9wavefront6targetE1EEEvT1_, .Lfunc_end168-_ZN7rocprim17ROCPRIM_400000_NS6detail17trampoline_kernelINS0_14default_configENS1_25transform_config_selectorIfLb0EEEZNS1_14transform_implILb0ES3_S5_NS0_18transform_iteratorINS0_17counting_iteratorImlEEZNS1_24adjacent_difference_implIS3_Lb1ELb0EPfSB_N6thrust23THRUST_200600_302600_NS5minusIfEEEE10hipError_tPvRmT2_T3_mT4_P12ihipStream_tbEUlmE_fEESB_NS0_8identityIvEEEESG_SJ_SK_mSL_SN_bEUlT_E_NS1_11comp_targetILNS1_3genE9ELNS1_11target_archE1100ELNS1_3gpuE3ELNS1_3repE0EEENS1_30default_config_static_selectorELNS0_4arch9wavefront6targetE1EEEvT1_
                                        ; -- End function
	.section	.AMDGPU.csdata,"",@progbits
; Kernel info:
; codeLenInByte = 0
; NumSgprs: 6
; NumVgprs: 0
; NumAgprs: 0
; TotalNumVgprs: 0
; ScratchSize: 0
; MemoryBound: 0
; FloatMode: 240
; IeeeMode: 1
; LDSByteSize: 0 bytes/workgroup (compile time only)
; SGPRBlocks: 0
; VGPRBlocks: 0
; NumSGPRsForWavesPerEU: 6
; NumVGPRsForWavesPerEU: 1
; AccumOffset: 4
; Occupancy: 8
; WaveLimiterHint : 0
; COMPUTE_PGM_RSRC2:SCRATCH_EN: 0
; COMPUTE_PGM_RSRC2:USER_SGPR: 2
; COMPUTE_PGM_RSRC2:TRAP_HANDLER: 0
; COMPUTE_PGM_RSRC2:TGID_X_EN: 1
; COMPUTE_PGM_RSRC2:TGID_Y_EN: 0
; COMPUTE_PGM_RSRC2:TGID_Z_EN: 0
; COMPUTE_PGM_RSRC2:TIDIG_COMP_CNT: 0
; COMPUTE_PGM_RSRC3_GFX90A:ACCUM_OFFSET: 0
; COMPUTE_PGM_RSRC3_GFX90A:TG_SPLIT: 0
	.section	.text._ZN7rocprim17ROCPRIM_400000_NS6detail17trampoline_kernelINS0_14default_configENS1_25transform_config_selectorIfLb0EEEZNS1_14transform_implILb0ES3_S5_NS0_18transform_iteratorINS0_17counting_iteratorImlEEZNS1_24adjacent_difference_implIS3_Lb1ELb0EPfSB_N6thrust23THRUST_200600_302600_NS5minusIfEEEE10hipError_tPvRmT2_T3_mT4_P12ihipStream_tbEUlmE_fEESB_NS0_8identityIvEEEESG_SJ_SK_mSL_SN_bEUlT_E_NS1_11comp_targetILNS1_3genE8ELNS1_11target_archE1030ELNS1_3gpuE2ELNS1_3repE0EEENS1_30default_config_static_selectorELNS0_4arch9wavefront6targetE1EEEvT1_,"axG",@progbits,_ZN7rocprim17ROCPRIM_400000_NS6detail17trampoline_kernelINS0_14default_configENS1_25transform_config_selectorIfLb0EEEZNS1_14transform_implILb0ES3_S5_NS0_18transform_iteratorINS0_17counting_iteratorImlEEZNS1_24adjacent_difference_implIS3_Lb1ELb0EPfSB_N6thrust23THRUST_200600_302600_NS5minusIfEEEE10hipError_tPvRmT2_T3_mT4_P12ihipStream_tbEUlmE_fEESB_NS0_8identityIvEEEESG_SJ_SK_mSL_SN_bEUlT_E_NS1_11comp_targetILNS1_3genE8ELNS1_11target_archE1030ELNS1_3gpuE2ELNS1_3repE0EEENS1_30default_config_static_selectorELNS0_4arch9wavefront6targetE1EEEvT1_,comdat
	.protected	_ZN7rocprim17ROCPRIM_400000_NS6detail17trampoline_kernelINS0_14default_configENS1_25transform_config_selectorIfLb0EEEZNS1_14transform_implILb0ES3_S5_NS0_18transform_iteratorINS0_17counting_iteratorImlEEZNS1_24adjacent_difference_implIS3_Lb1ELb0EPfSB_N6thrust23THRUST_200600_302600_NS5minusIfEEEE10hipError_tPvRmT2_T3_mT4_P12ihipStream_tbEUlmE_fEESB_NS0_8identityIvEEEESG_SJ_SK_mSL_SN_bEUlT_E_NS1_11comp_targetILNS1_3genE8ELNS1_11target_archE1030ELNS1_3gpuE2ELNS1_3repE0EEENS1_30default_config_static_selectorELNS0_4arch9wavefront6targetE1EEEvT1_ ; -- Begin function _ZN7rocprim17ROCPRIM_400000_NS6detail17trampoline_kernelINS0_14default_configENS1_25transform_config_selectorIfLb0EEEZNS1_14transform_implILb0ES3_S5_NS0_18transform_iteratorINS0_17counting_iteratorImlEEZNS1_24adjacent_difference_implIS3_Lb1ELb0EPfSB_N6thrust23THRUST_200600_302600_NS5minusIfEEEE10hipError_tPvRmT2_T3_mT4_P12ihipStream_tbEUlmE_fEESB_NS0_8identityIvEEEESG_SJ_SK_mSL_SN_bEUlT_E_NS1_11comp_targetILNS1_3genE8ELNS1_11target_archE1030ELNS1_3gpuE2ELNS1_3repE0EEENS1_30default_config_static_selectorELNS0_4arch9wavefront6targetE1EEEvT1_
	.globl	_ZN7rocprim17ROCPRIM_400000_NS6detail17trampoline_kernelINS0_14default_configENS1_25transform_config_selectorIfLb0EEEZNS1_14transform_implILb0ES3_S5_NS0_18transform_iteratorINS0_17counting_iteratorImlEEZNS1_24adjacent_difference_implIS3_Lb1ELb0EPfSB_N6thrust23THRUST_200600_302600_NS5minusIfEEEE10hipError_tPvRmT2_T3_mT4_P12ihipStream_tbEUlmE_fEESB_NS0_8identityIvEEEESG_SJ_SK_mSL_SN_bEUlT_E_NS1_11comp_targetILNS1_3genE8ELNS1_11target_archE1030ELNS1_3gpuE2ELNS1_3repE0EEENS1_30default_config_static_selectorELNS0_4arch9wavefront6targetE1EEEvT1_
	.p2align	8
	.type	_ZN7rocprim17ROCPRIM_400000_NS6detail17trampoline_kernelINS0_14default_configENS1_25transform_config_selectorIfLb0EEEZNS1_14transform_implILb0ES3_S5_NS0_18transform_iteratorINS0_17counting_iteratorImlEEZNS1_24adjacent_difference_implIS3_Lb1ELb0EPfSB_N6thrust23THRUST_200600_302600_NS5minusIfEEEE10hipError_tPvRmT2_T3_mT4_P12ihipStream_tbEUlmE_fEESB_NS0_8identityIvEEEESG_SJ_SK_mSL_SN_bEUlT_E_NS1_11comp_targetILNS1_3genE8ELNS1_11target_archE1030ELNS1_3gpuE2ELNS1_3repE0EEENS1_30default_config_static_selectorELNS0_4arch9wavefront6targetE1EEEvT1_,@function
_ZN7rocprim17ROCPRIM_400000_NS6detail17trampoline_kernelINS0_14default_configENS1_25transform_config_selectorIfLb0EEEZNS1_14transform_implILb0ES3_S5_NS0_18transform_iteratorINS0_17counting_iteratorImlEEZNS1_24adjacent_difference_implIS3_Lb1ELb0EPfSB_N6thrust23THRUST_200600_302600_NS5minusIfEEEE10hipError_tPvRmT2_T3_mT4_P12ihipStream_tbEUlmE_fEESB_NS0_8identityIvEEEESG_SJ_SK_mSL_SN_bEUlT_E_NS1_11comp_targetILNS1_3genE8ELNS1_11target_archE1030ELNS1_3gpuE2ELNS1_3repE0EEENS1_30default_config_static_selectorELNS0_4arch9wavefront6targetE1EEEvT1_: ; @_ZN7rocprim17ROCPRIM_400000_NS6detail17trampoline_kernelINS0_14default_configENS1_25transform_config_selectorIfLb0EEEZNS1_14transform_implILb0ES3_S5_NS0_18transform_iteratorINS0_17counting_iteratorImlEEZNS1_24adjacent_difference_implIS3_Lb1ELb0EPfSB_N6thrust23THRUST_200600_302600_NS5minusIfEEEE10hipError_tPvRmT2_T3_mT4_P12ihipStream_tbEUlmE_fEESB_NS0_8identityIvEEEESG_SJ_SK_mSL_SN_bEUlT_E_NS1_11comp_targetILNS1_3genE8ELNS1_11target_archE1030ELNS1_3gpuE2ELNS1_3repE0EEENS1_30default_config_static_selectorELNS0_4arch9wavefront6targetE1EEEvT1_
; %bb.0:
	.section	.rodata,"a",@progbits
	.p2align	6, 0x0
	.amdhsa_kernel _ZN7rocprim17ROCPRIM_400000_NS6detail17trampoline_kernelINS0_14default_configENS1_25transform_config_selectorIfLb0EEEZNS1_14transform_implILb0ES3_S5_NS0_18transform_iteratorINS0_17counting_iteratorImlEEZNS1_24adjacent_difference_implIS3_Lb1ELb0EPfSB_N6thrust23THRUST_200600_302600_NS5minusIfEEEE10hipError_tPvRmT2_T3_mT4_P12ihipStream_tbEUlmE_fEESB_NS0_8identityIvEEEESG_SJ_SK_mSL_SN_bEUlT_E_NS1_11comp_targetILNS1_3genE8ELNS1_11target_archE1030ELNS1_3gpuE2ELNS1_3repE0EEENS1_30default_config_static_selectorELNS0_4arch9wavefront6targetE1EEEvT1_
		.amdhsa_group_segment_fixed_size 0
		.amdhsa_private_segment_fixed_size 0
		.amdhsa_kernarg_size 56
		.amdhsa_user_sgpr_count 2
		.amdhsa_user_sgpr_dispatch_ptr 0
		.amdhsa_user_sgpr_queue_ptr 0
		.amdhsa_user_sgpr_kernarg_segment_ptr 1
		.amdhsa_user_sgpr_dispatch_id 0
		.amdhsa_user_sgpr_kernarg_preload_length 0
		.amdhsa_user_sgpr_kernarg_preload_offset 0
		.amdhsa_user_sgpr_private_segment_size 0
		.amdhsa_uses_dynamic_stack 0
		.amdhsa_enable_private_segment 0
		.amdhsa_system_sgpr_workgroup_id_x 1
		.amdhsa_system_sgpr_workgroup_id_y 0
		.amdhsa_system_sgpr_workgroup_id_z 0
		.amdhsa_system_sgpr_workgroup_info 0
		.amdhsa_system_vgpr_workitem_id 0
		.amdhsa_next_free_vgpr 1
		.amdhsa_next_free_sgpr 0
		.amdhsa_accum_offset 4
		.amdhsa_reserve_vcc 0
		.amdhsa_float_round_mode_32 0
		.amdhsa_float_round_mode_16_64 0
		.amdhsa_float_denorm_mode_32 3
		.amdhsa_float_denorm_mode_16_64 3
		.amdhsa_dx10_clamp 1
		.amdhsa_ieee_mode 1
		.amdhsa_fp16_overflow 0
		.amdhsa_tg_split 0
		.amdhsa_exception_fp_ieee_invalid_op 0
		.amdhsa_exception_fp_denorm_src 0
		.amdhsa_exception_fp_ieee_div_zero 0
		.amdhsa_exception_fp_ieee_overflow 0
		.amdhsa_exception_fp_ieee_underflow 0
		.amdhsa_exception_fp_ieee_inexact 0
		.amdhsa_exception_int_div_zero 0
	.end_amdhsa_kernel
	.section	.text._ZN7rocprim17ROCPRIM_400000_NS6detail17trampoline_kernelINS0_14default_configENS1_25transform_config_selectorIfLb0EEEZNS1_14transform_implILb0ES3_S5_NS0_18transform_iteratorINS0_17counting_iteratorImlEEZNS1_24adjacent_difference_implIS3_Lb1ELb0EPfSB_N6thrust23THRUST_200600_302600_NS5minusIfEEEE10hipError_tPvRmT2_T3_mT4_P12ihipStream_tbEUlmE_fEESB_NS0_8identityIvEEEESG_SJ_SK_mSL_SN_bEUlT_E_NS1_11comp_targetILNS1_3genE8ELNS1_11target_archE1030ELNS1_3gpuE2ELNS1_3repE0EEENS1_30default_config_static_selectorELNS0_4arch9wavefront6targetE1EEEvT1_,"axG",@progbits,_ZN7rocprim17ROCPRIM_400000_NS6detail17trampoline_kernelINS0_14default_configENS1_25transform_config_selectorIfLb0EEEZNS1_14transform_implILb0ES3_S5_NS0_18transform_iteratorINS0_17counting_iteratorImlEEZNS1_24adjacent_difference_implIS3_Lb1ELb0EPfSB_N6thrust23THRUST_200600_302600_NS5minusIfEEEE10hipError_tPvRmT2_T3_mT4_P12ihipStream_tbEUlmE_fEESB_NS0_8identityIvEEEESG_SJ_SK_mSL_SN_bEUlT_E_NS1_11comp_targetILNS1_3genE8ELNS1_11target_archE1030ELNS1_3gpuE2ELNS1_3repE0EEENS1_30default_config_static_selectorELNS0_4arch9wavefront6targetE1EEEvT1_,comdat
.Lfunc_end169:
	.size	_ZN7rocprim17ROCPRIM_400000_NS6detail17trampoline_kernelINS0_14default_configENS1_25transform_config_selectorIfLb0EEEZNS1_14transform_implILb0ES3_S5_NS0_18transform_iteratorINS0_17counting_iteratorImlEEZNS1_24adjacent_difference_implIS3_Lb1ELb0EPfSB_N6thrust23THRUST_200600_302600_NS5minusIfEEEE10hipError_tPvRmT2_T3_mT4_P12ihipStream_tbEUlmE_fEESB_NS0_8identityIvEEEESG_SJ_SK_mSL_SN_bEUlT_E_NS1_11comp_targetILNS1_3genE8ELNS1_11target_archE1030ELNS1_3gpuE2ELNS1_3repE0EEENS1_30default_config_static_selectorELNS0_4arch9wavefront6targetE1EEEvT1_, .Lfunc_end169-_ZN7rocprim17ROCPRIM_400000_NS6detail17trampoline_kernelINS0_14default_configENS1_25transform_config_selectorIfLb0EEEZNS1_14transform_implILb0ES3_S5_NS0_18transform_iteratorINS0_17counting_iteratorImlEEZNS1_24adjacent_difference_implIS3_Lb1ELb0EPfSB_N6thrust23THRUST_200600_302600_NS5minusIfEEEE10hipError_tPvRmT2_T3_mT4_P12ihipStream_tbEUlmE_fEESB_NS0_8identityIvEEEESG_SJ_SK_mSL_SN_bEUlT_E_NS1_11comp_targetILNS1_3genE8ELNS1_11target_archE1030ELNS1_3gpuE2ELNS1_3repE0EEENS1_30default_config_static_selectorELNS0_4arch9wavefront6targetE1EEEvT1_
                                        ; -- End function
	.section	.AMDGPU.csdata,"",@progbits
; Kernel info:
; codeLenInByte = 0
; NumSgprs: 6
; NumVgprs: 0
; NumAgprs: 0
; TotalNumVgprs: 0
; ScratchSize: 0
; MemoryBound: 0
; FloatMode: 240
; IeeeMode: 1
; LDSByteSize: 0 bytes/workgroup (compile time only)
; SGPRBlocks: 0
; VGPRBlocks: 0
; NumSGPRsForWavesPerEU: 6
; NumVGPRsForWavesPerEU: 1
; AccumOffset: 4
; Occupancy: 8
; WaveLimiterHint : 0
; COMPUTE_PGM_RSRC2:SCRATCH_EN: 0
; COMPUTE_PGM_RSRC2:USER_SGPR: 2
; COMPUTE_PGM_RSRC2:TRAP_HANDLER: 0
; COMPUTE_PGM_RSRC2:TGID_X_EN: 1
; COMPUTE_PGM_RSRC2:TGID_Y_EN: 0
; COMPUTE_PGM_RSRC2:TGID_Z_EN: 0
; COMPUTE_PGM_RSRC2:TIDIG_COMP_CNT: 0
; COMPUTE_PGM_RSRC3_GFX90A:ACCUM_OFFSET: 0
; COMPUTE_PGM_RSRC3_GFX90A:TG_SPLIT: 0
	.section	.text._ZN7rocprim17ROCPRIM_400000_NS6detail17trampoline_kernelINS0_14default_configENS1_35adjacent_difference_config_selectorILb1EfEEZNS1_24adjacent_difference_implIS3_Lb1ELb0EPfS7_N6thrust23THRUST_200600_302600_NS5minusIfEEEE10hipError_tPvRmT2_T3_mT4_P12ihipStream_tbEUlT_E_NS1_11comp_targetILNS1_3genE0ELNS1_11target_archE4294967295ELNS1_3gpuE0ELNS1_3repE0EEENS1_30default_config_static_selectorELNS0_4arch9wavefront6targetE1EEEvT1_,"axG",@progbits,_ZN7rocprim17ROCPRIM_400000_NS6detail17trampoline_kernelINS0_14default_configENS1_35adjacent_difference_config_selectorILb1EfEEZNS1_24adjacent_difference_implIS3_Lb1ELb0EPfS7_N6thrust23THRUST_200600_302600_NS5minusIfEEEE10hipError_tPvRmT2_T3_mT4_P12ihipStream_tbEUlT_E_NS1_11comp_targetILNS1_3genE0ELNS1_11target_archE4294967295ELNS1_3gpuE0ELNS1_3repE0EEENS1_30default_config_static_selectorELNS0_4arch9wavefront6targetE1EEEvT1_,comdat
	.protected	_ZN7rocprim17ROCPRIM_400000_NS6detail17trampoline_kernelINS0_14default_configENS1_35adjacent_difference_config_selectorILb1EfEEZNS1_24adjacent_difference_implIS3_Lb1ELb0EPfS7_N6thrust23THRUST_200600_302600_NS5minusIfEEEE10hipError_tPvRmT2_T3_mT4_P12ihipStream_tbEUlT_E_NS1_11comp_targetILNS1_3genE0ELNS1_11target_archE4294967295ELNS1_3gpuE0ELNS1_3repE0EEENS1_30default_config_static_selectorELNS0_4arch9wavefront6targetE1EEEvT1_ ; -- Begin function _ZN7rocprim17ROCPRIM_400000_NS6detail17trampoline_kernelINS0_14default_configENS1_35adjacent_difference_config_selectorILb1EfEEZNS1_24adjacent_difference_implIS3_Lb1ELb0EPfS7_N6thrust23THRUST_200600_302600_NS5minusIfEEEE10hipError_tPvRmT2_T3_mT4_P12ihipStream_tbEUlT_E_NS1_11comp_targetILNS1_3genE0ELNS1_11target_archE4294967295ELNS1_3gpuE0ELNS1_3repE0EEENS1_30default_config_static_selectorELNS0_4arch9wavefront6targetE1EEEvT1_
	.globl	_ZN7rocprim17ROCPRIM_400000_NS6detail17trampoline_kernelINS0_14default_configENS1_35adjacent_difference_config_selectorILb1EfEEZNS1_24adjacent_difference_implIS3_Lb1ELb0EPfS7_N6thrust23THRUST_200600_302600_NS5minusIfEEEE10hipError_tPvRmT2_T3_mT4_P12ihipStream_tbEUlT_E_NS1_11comp_targetILNS1_3genE0ELNS1_11target_archE4294967295ELNS1_3gpuE0ELNS1_3repE0EEENS1_30default_config_static_selectorELNS0_4arch9wavefront6targetE1EEEvT1_
	.p2align	8
	.type	_ZN7rocprim17ROCPRIM_400000_NS6detail17trampoline_kernelINS0_14default_configENS1_35adjacent_difference_config_selectorILb1EfEEZNS1_24adjacent_difference_implIS3_Lb1ELb0EPfS7_N6thrust23THRUST_200600_302600_NS5minusIfEEEE10hipError_tPvRmT2_T3_mT4_P12ihipStream_tbEUlT_E_NS1_11comp_targetILNS1_3genE0ELNS1_11target_archE4294967295ELNS1_3gpuE0ELNS1_3repE0EEENS1_30default_config_static_selectorELNS0_4arch9wavefront6targetE1EEEvT1_,@function
_ZN7rocprim17ROCPRIM_400000_NS6detail17trampoline_kernelINS0_14default_configENS1_35adjacent_difference_config_selectorILb1EfEEZNS1_24adjacent_difference_implIS3_Lb1ELb0EPfS7_N6thrust23THRUST_200600_302600_NS5minusIfEEEE10hipError_tPvRmT2_T3_mT4_P12ihipStream_tbEUlT_E_NS1_11comp_targetILNS1_3genE0ELNS1_11target_archE4294967295ELNS1_3gpuE0ELNS1_3repE0EEENS1_30default_config_static_selectorELNS0_4arch9wavefront6targetE1EEEvT1_: ; @_ZN7rocprim17ROCPRIM_400000_NS6detail17trampoline_kernelINS0_14default_configENS1_35adjacent_difference_config_selectorILb1EfEEZNS1_24adjacent_difference_implIS3_Lb1ELb0EPfS7_N6thrust23THRUST_200600_302600_NS5minusIfEEEE10hipError_tPvRmT2_T3_mT4_P12ihipStream_tbEUlT_E_NS1_11comp_targetILNS1_3genE0ELNS1_11target_archE4294967295ELNS1_3gpuE0ELNS1_3repE0EEENS1_30default_config_static_selectorELNS0_4arch9wavefront6targetE1EEEvT1_
; %bb.0:
	.section	.rodata,"a",@progbits
	.p2align	6, 0x0
	.amdhsa_kernel _ZN7rocprim17ROCPRIM_400000_NS6detail17trampoline_kernelINS0_14default_configENS1_35adjacent_difference_config_selectorILb1EfEEZNS1_24adjacent_difference_implIS3_Lb1ELb0EPfS7_N6thrust23THRUST_200600_302600_NS5minusIfEEEE10hipError_tPvRmT2_T3_mT4_P12ihipStream_tbEUlT_E_NS1_11comp_targetILNS1_3genE0ELNS1_11target_archE4294967295ELNS1_3gpuE0ELNS1_3repE0EEENS1_30default_config_static_selectorELNS0_4arch9wavefront6targetE1EEEvT1_
		.amdhsa_group_segment_fixed_size 0
		.amdhsa_private_segment_fixed_size 0
		.amdhsa_kernarg_size 56
		.amdhsa_user_sgpr_count 2
		.amdhsa_user_sgpr_dispatch_ptr 0
		.amdhsa_user_sgpr_queue_ptr 0
		.amdhsa_user_sgpr_kernarg_segment_ptr 1
		.amdhsa_user_sgpr_dispatch_id 0
		.amdhsa_user_sgpr_kernarg_preload_length 0
		.amdhsa_user_sgpr_kernarg_preload_offset 0
		.amdhsa_user_sgpr_private_segment_size 0
		.amdhsa_uses_dynamic_stack 0
		.amdhsa_enable_private_segment 0
		.amdhsa_system_sgpr_workgroup_id_x 1
		.amdhsa_system_sgpr_workgroup_id_y 0
		.amdhsa_system_sgpr_workgroup_id_z 0
		.amdhsa_system_sgpr_workgroup_info 0
		.amdhsa_system_vgpr_workitem_id 0
		.amdhsa_next_free_vgpr 1
		.amdhsa_next_free_sgpr 0
		.amdhsa_accum_offset 4
		.amdhsa_reserve_vcc 0
		.amdhsa_float_round_mode_32 0
		.amdhsa_float_round_mode_16_64 0
		.amdhsa_float_denorm_mode_32 3
		.amdhsa_float_denorm_mode_16_64 3
		.amdhsa_dx10_clamp 1
		.amdhsa_ieee_mode 1
		.amdhsa_fp16_overflow 0
		.amdhsa_tg_split 0
		.amdhsa_exception_fp_ieee_invalid_op 0
		.amdhsa_exception_fp_denorm_src 0
		.amdhsa_exception_fp_ieee_div_zero 0
		.amdhsa_exception_fp_ieee_overflow 0
		.amdhsa_exception_fp_ieee_underflow 0
		.amdhsa_exception_fp_ieee_inexact 0
		.amdhsa_exception_int_div_zero 0
	.end_amdhsa_kernel
	.section	.text._ZN7rocprim17ROCPRIM_400000_NS6detail17trampoline_kernelINS0_14default_configENS1_35adjacent_difference_config_selectorILb1EfEEZNS1_24adjacent_difference_implIS3_Lb1ELb0EPfS7_N6thrust23THRUST_200600_302600_NS5minusIfEEEE10hipError_tPvRmT2_T3_mT4_P12ihipStream_tbEUlT_E_NS1_11comp_targetILNS1_3genE0ELNS1_11target_archE4294967295ELNS1_3gpuE0ELNS1_3repE0EEENS1_30default_config_static_selectorELNS0_4arch9wavefront6targetE1EEEvT1_,"axG",@progbits,_ZN7rocprim17ROCPRIM_400000_NS6detail17trampoline_kernelINS0_14default_configENS1_35adjacent_difference_config_selectorILb1EfEEZNS1_24adjacent_difference_implIS3_Lb1ELb0EPfS7_N6thrust23THRUST_200600_302600_NS5minusIfEEEE10hipError_tPvRmT2_T3_mT4_P12ihipStream_tbEUlT_E_NS1_11comp_targetILNS1_3genE0ELNS1_11target_archE4294967295ELNS1_3gpuE0ELNS1_3repE0EEENS1_30default_config_static_selectorELNS0_4arch9wavefront6targetE1EEEvT1_,comdat
.Lfunc_end170:
	.size	_ZN7rocprim17ROCPRIM_400000_NS6detail17trampoline_kernelINS0_14default_configENS1_35adjacent_difference_config_selectorILb1EfEEZNS1_24adjacent_difference_implIS3_Lb1ELb0EPfS7_N6thrust23THRUST_200600_302600_NS5minusIfEEEE10hipError_tPvRmT2_T3_mT4_P12ihipStream_tbEUlT_E_NS1_11comp_targetILNS1_3genE0ELNS1_11target_archE4294967295ELNS1_3gpuE0ELNS1_3repE0EEENS1_30default_config_static_selectorELNS0_4arch9wavefront6targetE1EEEvT1_, .Lfunc_end170-_ZN7rocprim17ROCPRIM_400000_NS6detail17trampoline_kernelINS0_14default_configENS1_35adjacent_difference_config_selectorILb1EfEEZNS1_24adjacent_difference_implIS3_Lb1ELb0EPfS7_N6thrust23THRUST_200600_302600_NS5minusIfEEEE10hipError_tPvRmT2_T3_mT4_P12ihipStream_tbEUlT_E_NS1_11comp_targetILNS1_3genE0ELNS1_11target_archE4294967295ELNS1_3gpuE0ELNS1_3repE0EEENS1_30default_config_static_selectorELNS0_4arch9wavefront6targetE1EEEvT1_
                                        ; -- End function
	.section	.AMDGPU.csdata,"",@progbits
; Kernel info:
; codeLenInByte = 0
; NumSgprs: 6
; NumVgprs: 0
; NumAgprs: 0
; TotalNumVgprs: 0
; ScratchSize: 0
; MemoryBound: 0
; FloatMode: 240
; IeeeMode: 1
; LDSByteSize: 0 bytes/workgroup (compile time only)
; SGPRBlocks: 0
; VGPRBlocks: 0
; NumSGPRsForWavesPerEU: 6
; NumVGPRsForWavesPerEU: 1
; AccumOffset: 4
; Occupancy: 8
; WaveLimiterHint : 0
; COMPUTE_PGM_RSRC2:SCRATCH_EN: 0
; COMPUTE_PGM_RSRC2:USER_SGPR: 2
; COMPUTE_PGM_RSRC2:TRAP_HANDLER: 0
; COMPUTE_PGM_RSRC2:TGID_X_EN: 1
; COMPUTE_PGM_RSRC2:TGID_Y_EN: 0
; COMPUTE_PGM_RSRC2:TGID_Z_EN: 0
; COMPUTE_PGM_RSRC2:TIDIG_COMP_CNT: 0
; COMPUTE_PGM_RSRC3_GFX90A:ACCUM_OFFSET: 0
; COMPUTE_PGM_RSRC3_GFX90A:TG_SPLIT: 0
	.section	.text._ZN7rocprim17ROCPRIM_400000_NS6detail17trampoline_kernelINS0_14default_configENS1_35adjacent_difference_config_selectorILb1EfEEZNS1_24adjacent_difference_implIS3_Lb1ELb0EPfS7_N6thrust23THRUST_200600_302600_NS5minusIfEEEE10hipError_tPvRmT2_T3_mT4_P12ihipStream_tbEUlT_E_NS1_11comp_targetILNS1_3genE10ELNS1_11target_archE1201ELNS1_3gpuE5ELNS1_3repE0EEENS1_30default_config_static_selectorELNS0_4arch9wavefront6targetE1EEEvT1_,"axG",@progbits,_ZN7rocprim17ROCPRIM_400000_NS6detail17trampoline_kernelINS0_14default_configENS1_35adjacent_difference_config_selectorILb1EfEEZNS1_24adjacent_difference_implIS3_Lb1ELb0EPfS7_N6thrust23THRUST_200600_302600_NS5minusIfEEEE10hipError_tPvRmT2_T3_mT4_P12ihipStream_tbEUlT_E_NS1_11comp_targetILNS1_3genE10ELNS1_11target_archE1201ELNS1_3gpuE5ELNS1_3repE0EEENS1_30default_config_static_selectorELNS0_4arch9wavefront6targetE1EEEvT1_,comdat
	.protected	_ZN7rocprim17ROCPRIM_400000_NS6detail17trampoline_kernelINS0_14default_configENS1_35adjacent_difference_config_selectorILb1EfEEZNS1_24adjacent_difference_implIS3_Lb1ELb0EPfS7_N6thrust23THRUST_200600_302600_NS5minusIfEEEE10hipError_tPvRmT2_T3_mT4_P12ihipStream_tbEUlT_E_NS1_11comp_targetILNS1_3genE10ELNS1_11target_archE1201ELNS1_3gpuE5ELNS1_3repE0EEENS1_30default_config_static_selectorELNS0_4arch9wavefront6targetE1EEEvT1_ ; -- Begin function _ZN7rocprim17ROCPRIM_400000_NS6detail17trampoline_kernelINS0_14default_configENS1_35adjacent_difference_config_selectorILb1EfEEZNS1_24adjacent_difference_implIS3_Lb1ELb0EPfS7_N6thrust23THRUST_200600_302600_NS5minusIfEEEE10hipError_tPvRmT2_T3_mT4_P12ihipStream_tbEUlT_E_NS1_11comp_targetILNS1_3genE10ELNS1_11target_archE1201ELNS1_3gpuE5ELNS1_3repE0EEENS1_30default_config_static_selectorELNS0_4arch9wavefront6targetE1EEEvT1_
	.globl	_ZN7rocprim17ROCPRIM_400000_NS6detail17trampoline_kernelINS0_14default_configENS1_35adjacent_difference_config_selectorILb1EfEEZNS1_24adjacent_difference_implIS3_Lb1ELb0EPfS7_N6thrust23THRUST_200600_302600_NS5minusIfEEEE10hipError_tPvRmT2_T3_mT4_P12ihipStream_tbEUlT_E_NS1_11comp_targetILNS1_3genE10ELNS1_11target_archE1201ELNS1_3gpuE5ELNS1_3repE0EEENS1_30default_config_static_selectorELNS0_4arch9wavefront6targetE1EEEvT1_
	.p2align	8
	.type	_ZN7rocprim17ROCPRIM_400000_NS6detail17trampoline_kernelINS0_14default_configENS1_35adjacent_difference_config_selectorILb1EfEEZNS1_24adjacent_difference_implIS3_Lb1ELb0EPfS7_N6thrust23THRUST_200600_302600_NS5minusIfEEEE10hipError_tPvRmT2_T3_mT4_P12ihipStream_tbEUlT_E_NS1_11comp_targetILNS1_3genE10ELNS1_11target_archE1201ELNS1_3gpuE5ELNS1_3repE0EEENS1_30default_config_static_selectorELNS0_4arch9wavefront6targetE1EEEvT1_,@function
_ZN7rocprim17ROCPRIM_400000_NS6detail17trampoline_kernelINS0_14default_configENS1_35adjacent_difference_config_selectorILb1EfEEZNS1_24adjacent_difference_implIS3_Lb1ELb0EPfS7_N6thrust23THRUST_200600_302600_NS5minusIfEEEE10hipError_tPvRmT2_T3_mT4_P12ihipStream_tbEUlT_E_NS1_11comp_targetILNS1_3genE10ELNS1_11target_archE1201ELNS1_3gpuE5ELNS1_3repE0EEENS1_30default_config_static_selectorELNS0_4arch9wavefront6targetE1EEEvT1_: ; @_ZN7rocprim17ROCPRIM_400000_NS6detail17trampoline_kernelINS0_14default_configENS1_35adjacent_difference_config_selectorILb1EfEEZNS1_24adjacent_difference_implIS3_Lb1ELb0EPfS7_N6thrust23THRUST_200600_302600_NS5minusIfEEEE10hipError_tPvRmT2_T3_mT4_P12ihipStream_tbEUlT_E_NS1_11comp_targetILNS1_3genE10ELNS1_11target_archE1201ELNS1_3gpuE5ELNS1_3repE0EEENS1_30default_config_static_selectorELNS0_4arch9wavefront6targetE1EEEvT1_
; %bb.0:
	.section	.rodata,"a",@progbits
	.p2align	6, 0x0
	.amdhsa_kernel _ZN7rocprim17ROCPRIM_400000_NS6detail17trampoline_kernelINS0_14default_configENS1_35adjacent_difference_config_selectorILb1EfEEZNS1_24adjacent_difference_implIS3_Lb1ELb0EPfS7_N6thrust23THRUST_200600_302600_NS5minusIfEEEE10hipError_tPvRmT2_T3_mT4_P12ihipStream_tbEUlT_E_NS1_11comp_targetILNS1_3genE10ELNS1_11target_archE1201ELNS1_3gpuE5ELNS1_3repE0EEENS1_30default_config_static_selectorELNS0_4arch9wavefront6targetE1EEEvT1_
		.amdhsa_group_segment_fixed_size 0
		.amdhsa_private_segment_fixed_size 0
		.amdhsa_kernarg_size 56
		.amdhsa_user_sgpr_count 2
		.amdhsa_user_sgpr_dispatch_ptr 0
		.amdhsa_user_sgpr_queue_ptr 0
		.amdhsa_user_sgpr_kernarg_segment_ptr 1
		.amdhsa_user_sgpr_dispatch_id 0
		.amdhsa_user_sgpr_kernarg_preload_length 0
		.amdhsa_user_sgpr_kernarg_preload_offset 0
		.amdhsa_user_sgpr_private_segment_size 0
		.amdhsa_uses_dynamic_stack 0
		.amdhsa_enable_private_segment 0
		.amdhsa_system_sgpr_workgroup_id_x 1
		.amdhsa_system_sgpr_workgroup_id_y 0
		.amdhsa_system_sgpr_workgroup_id_z 0
		.amdhsa_system_sgpr_workgroup_info 0
		.amdhsa_system_vgpr_workitem_id 0
		.amdhsa_next_free_vgpr 1
		.amdhsa_next_free_sgpr 0
		.amdhsa_accum_offset 4
		.amdhsa_reserve_vcc 0
		.amdhsa_float_round_mode_32 0
		.amdhsa_float_round_mode_16_64 0
		.amdhsa_float_denorm_mode_32 3
		.amdhsa_float_denorm_mode_16_64 3
		.amdhsa_dx10_clamp 1
		.amdhsa_ieee_mode 1
		.amdhsa_fp16_overflow 0
		.amdhsa_tg_split 0
		.amdhsa_exception_fp_ieee_invalid_op 0
		.amdhsa_exception_fp_denorm_src 0
		.amdhsa_exception_fp_ieee_div_zero 0
		.amdhsa_exception_fp_ieee_overflow 0
		.amdhsa_exception_fp_ieee_underflow 0
		.amdhsa_exception_fp_ieee_inexact 0
		.amdhsa_exception_int_div_zero 0
	.end_amdhsa_kernel
	.section	.text._ZN7rocprim17ROCPRIM_400000_NS6detail17trampoline_kernelINS0_14default_configENS1_35adjacent_difference_config_selectorILb1EfEEZNS1_24adjacent_difference_implIS3_Lb1ELb0EPfS7_N6thrust23THRUST_200600_302600_NS5minusIfEEEE10hipError_tPvRmT2_T3_mT4_P12ihipStream_tbEUlT_E_NS1_11comp_targetILNS1_3genE10ELNS1_11target_archE1201ELNS1_3gpuE5ELNS1_3repE0EEENS1_30default_config_static_selectorELNS0_4arch9wavefront6targetE1EEEvT1_,"axG",@progbits,_ZN7rocprim17ROCPRIM_400000_NS6detail17trampoline_kernelINS0_14default_configENS1_35adjacent_difference_config_selectorILb1EfEEZNS1_24adjacent_difference_implIS3_Lb1ELb0EPfS7_N6thrust23THRUST_200600_302600_NS5minusIfEEEE10hipError_tPvRmT2_T3_mT4_P12ihipStream_tbEUlT_E_NS1_11comp_targetILNS1_3genE10ELNS1_11target_archE1201ELNS1_3gpuE5ELNS1_3repE0EEENS1_30default_config_static_selectorELNS0_4arch9wavefront6targetE1EEEvT1_,comdat
.Lfunc_end171:
	.size	_ZN7rocprim17ROCPRIM_400000_NS6detail17trampoline_kernelINS0_14default_configENS1_35adjacent_difference_config_selectorILb1EfEEZNS1_24adjacent_difference_implIS3_Lb1ELb0EPfS7_N6thrust23THRUST_200600_302600_NS5minusIfEEEE10hipError_tPvRmT2_T3_mT4_P12ihipStream_tbEUlT_E_NS1_11comp_targetILNS1_3genE10ELNS1_11target_archE1201ELNS1_3gpuE5ELNS1_3repE0EEENS1_30default_config_static_selectorELNS0_4arch9wavefront6targetE1EEEvT1_, .Lfunc_end171-_ZN7rocprim17ROCPRIM_400000_NS6detail17trampoline_kernelINS0_14default_configENS1_35adjacent_difference_config_selectorILb1EfEEZNS1_24adjacent_difference_implIS3_Lb1ELb0EPfS7_N6thrust23THRUST_200600_302600_NS5minusIfEEEE10hipError_tPvRmT2_T3_mT4_P12ihipStream_tbEUlT_E_NS1_11comp_targetILNS1_3genE10ELNS1_11target_archE1201ELNS1_3gpuE5ELNS1_3repE0EEENS1_30default_config_static_selectorELNS0_4arch9wavefront6targetE1EEEvT1_
                                        ; -- End function
	.section	.AMDGPU.csdata,"",@progbits
; Kernel info:
; codeLenInByte = 0
; NumSgprs: 6
; NumVgprs: 0
; NumAgprs: 0
; TotalNumVgprs: 0
; ScratchSize: 0
; MemoryBound: 0
; FloatMode: 240
; IeeeMode: 1
; LDSByteSize: 0 bytes/workgroup (compile time only)
; SGPRBlocks: 0
; VGPRBlocks: 0
; NumSGPRsForWavesPerEU: 6
; NumVGPRsForWavesPerEU: 1
; AccumOffset: 4
; Occupancy: 8
; WaveLimiterHint : 0
; COMPUTE_PGM_RSRC2:SCRATCH_EN: 0
; COMPUTE_PGM_RSRC2:USER_SGPR: 2
; COMPUTE_PGM_RSRC2:TRAP_HANDLER: 0
; COMPUTE_PGM_RSRC2:TGID_X_EN: 1
; COMPUTE_PGM_RSRC2:TGID_Y_EN: 0
; COMPUTE_PGM_RSRC2:TGID_Z_EN: 0
; COMPUTE_PGM_RSRC2:TIDIG_COMP_CNT: 0
; COMPUTE_PGM_RSRC3_GFX90A:ACCUM_OFFSET: 0
; COMPUTE_PGM_RSRC3_GFX90A:TG_SPLIT: 0
	.section	.text._ZN7rocprim17ROCPRIM_400000_NS6detail17trampoline_kernelINS0_14default_configENS1_35adjacent_difference_config_selectorILb1EfEEZNS1_24adjacent_difference_implIS3_Lb1ELb0EPfS7_N6thrust23THRUST_200600_302600_NS5minusIfEEEE10hipError_tPvRmT2_T3_mT4_P12ihipStream_tbEUlT_E_NS1_11comp_targetILNS1_3genE5ELNS1_11target_archE942ELNS1_3gpuE9ELNS1_3repE0EEENS1_30default_config_static_selectorELNS0_4arch9wavefront6targetE1EEEvT1_,"axG",@progbits,_ZN7rocprim17ROCPRIM_400000_NS6detail17trampoline_kernelINS0_14default_configENS1_35adjacent_difference_config_selectorILb1EfEEZNS1_24adjacent_difference_implIS3_Lb1ELb0EPfS7_N6thrust23THRUST_200600_302600_NS5minusIfEEEE10hipError_tPvRmT2_T3_mT4_P12ihipStream_tbEUlT_E_NS1_11comp_targetILNS1_3genE5ELNS1_11target_archE942ELNS1_3gpuE9ELNS1_3repE0EEENS1_30default_config_static_selectorELNS0_4arch9wavefront6targetE1EEEvT1_,comdat
	.protected	_ZN7rocprim17ROCPRIM_400000_NS6detail17trampoline_kernelINS0_14default_configENS1_35adjacent_difference_config_selectorILb1EfEEZNS1_24adjacent_difference_implIS3_Lb1ELb0EPfS7_N6thrust23THRUST_200600_302600_NS5minusIfEEEE10hipError_tPvRmT2_T3_mT4_P12ihipStream_tbEUlT_E_NS1_11comp_targetILNS1_3genE5ELNS1_11target_archE942ELNS1_3gpuE9ELNS1_3repE0EEENS1_30default_config_static_selectorELNS0_4arch9wavefront6targetE1EEEvT1_ ; -- Begin function _ZN7rocprim17ROCPRIM_400000_NS6detail17trampoline_kernelINS0_14default_configENS1_35adjacent_difference_config_selectorILb1EfEEZNS1_24adjacent_difference_implIS3_Lb1ELb0EPfS7_N6thrust23THRUST_200600_302600_NS5minusIfEEEE10hipError_tPvRmT2_T3_mT4_P12ihipStream_tbEUlT_E_NS1_11comp_targetILNS1_3genE5ELNS1_11target_archE942ELNS1_3gpuE9ELNS1_3repE0EEENS1_30default_config_static_selectorELNS0_4arch9wavefront6targetE1EEEvT1_
	.globl	_ZN7rocprim17ROCPRIM_400000_NS6detail17trampoline_kernelINS0_14default_configENS1_35adjacent_difference_config_selectorILb1EfEEZNS1_24adjacent_difference_implIS3_Lb1ELb0EPfS7_N6thrust23THRUST_200600_302600_NS5minusIfEEEE10hipError_tPvRmT2_T3_mT4_P12ihipStream_tbEUlT_E_NS1_11comp_targetILNS1_3genE5ELNS1_11target_archE942ELNS1_3gpuE9ELNS1_3repE0EEENS1_30default_config_static_selectorELNS0_4arch9wavefront6targetE1EEEvT1_
	.p2align	8
	.type	_ZN7rocprim17ROCPRIM_400000_NS6detail17trampoline_kernelINS0_14default_configENS1_35adjacent_difference_config_selectorILb1EfEEZNS1_24adjacent_difference_implIS3_Lb1ELb0EPfS7_N6thrust23THRUST_200600_302600_NS5minusIfEEEE10hipError_tPvRmT2_T3_mT4_P12ihipStream_tbEUlT_E_NS1_11comp_targetILNS1_3genE5ELNS1_11target_archE942ELNS1_3gpuE9ELNS1_3repE0EEENS1_30default_config_static_selectorELNS0_4arch9wavefront6targetE1EEEvT1_,@function
_ZN7rocprim17ROCPRIM_400000_NS6detail17trampoline_kernelINS0_14default_configENS1_35adjacent_difference_config_selectorILb1EfEEZNS1_24adjacent_difference_implIS3_Lb1ELb0EPfS7_N6thrust23THRUST_200600_302600_NS5minusIfEEEE10hipError_tPvRmT2_T3_mT4_P12ihipStream_tbEUlT_E_NS1_11comp_targetILNS1_3genE5ELNS1_11target_archE942ELNS1_3gpuE9ELNS1_3repE0EEENS1_30default_config_static_selectorELNS0_4arch9wavefront6targetE1EEEvT1_: ; @_ZN7rocprim17ROCPRIM_400000_NS6detail17trampoline_kernelINS0_14default_configENS1_35adjacent_difference_config_selectorILb1EfEEZNS1_24adjacent_difference_implIS3_Lb1ELb0EPfS7_N6thrust23THRUST_200600_302600_NS5minusIfEEEE10hipError_tPvRmT2_T3_mT4_P12ihipStream_tbEUlT_E_NS1_11comp_targetILNS1_3genE5ELNS1_11target_archE942ELNS1_3gpuE9ELNS1_3repE0EEENS1_30default_config_static_selectorELNS0_4arch9wavefront6targetE1EEEvT1_
; %bb.0:
	s_load_dwordx8 s[4:11], s[0:1], 0x0
	s_load_dwordx4 s[12:15], s[0:1], 0x28
	s_mov_b32 s0, 0x55500000
	v_mov_b32_e32 v1, 0x55555000
	s_movk_i32 s16, 0x300
	s_waitcnt lgkmcnt(0)
	s_lshl_b64 s[6:7], s[6:7], 2
	s_add_u32 s26, s4, s6
	s_addc_u32 s27, s5, s7
	s_add_u32 s0, 0x55555, s0
	s_addc_u32 s0, 0, 0x555
	;; [unrolled: 2-line block ×3, first 2 shown]
	v_add_co_u32_e32 v1, vcc, s0, v1
	s_cmp_lg_u64 vcc, 0
	s_addc_u32 s0, s1, 0x555555
	v_readfirstlane_b32 s17, v1
	s_mul_i32 s5, s10, s0
	s_mul_hi_u32 s18, s10, s17
	s_mul_hi_u32 s1, s10, s0
	s_add_u32 s5, s18, s5
	s_addc_u32 s1, 0, s1
	s_mul_hi_u32 s19, s11, s17
	s_mul_i32 s17, s11, s17
	s_add_u32 s5, s5, s17
	s_mul_hi_u32 s18, s11, s0
	s_addc_u32 s1, s1, s19
	s_addc_u32 s5, s18, 0
	s_mul_i32 s0, s11, s0
	s_add_u32 s0, s1, s0
	s_addc_u32 s1, 0, s5
	s_add_u32 s5, s0, 1
	s_addc_u32 s17, s1, 0
	s_add_u32 s18, s0, 2
	s_mul_i32 s20, s1, 0x300
	s_mul_hi_u32 s21, s0, 0x300
	s_addc_u32 s19, s1, 0
	s_add_i32 s21, s21, s20
	s_mul_i32 s20, s0, 0x300
	v_mov_b32_e32 v1, s20
	v_sub_co_u32_e32 v1, vcc, s10, v1
	s_cmp_lg_u64 vcc, 0
	s_subb_u32 s20, s11, s21
	v_subrev_co_u32_e32 v2, vcc, s16, v1
	s_cmp_lg_u64 vcc, 0
	s_subb_u32 s16, s20, 0
	v_readfirstlane_b32 s21, v2
	s_cmpk_gt_u32 s21, 0x2ff
	s_cselect_b32 s21, -1, 0
	s_cmp_eq_u32 s16, 0
	s_cselect_b32 s16, s21, -1
	s_cmp_lg_u32 s16, 0
	s_cselect_b32 s16, s19, s17
	v_readfirstlane_b32 s17, v1
	s_cselect_b32 s5, s18, s5
	s_cmpk_gt_u32 s17, 0x2ff
	s_cselect_b32 s17, -1, 0
	s_cmp_eq_u32 s20, 0
	s_cselect_b32 s17, s17, -1
	s_cmp_lg_u32 s17, 0
	s_cselect_b32 s17, s16, s1
	s_cselect_b32 s5, s5, s0
	s_mul_i32 s0, s17, 0x300
	s_mul_hi_u32 s1, s5, 0x300
	s_add_i32 s1, s1, s0
	s_mul_i32 s0, s5, 0x300
	s_sub_u32 s0, s10, s0
	s_subb_u32 s1, s11, s1
	s_cmp_lg_u64 s[0:1], 0
	s_cselect_b64 s[0:1], -1, 0
	v_cndmask_b32_e64 v1, 0, 1, s[0:1]
	s_mul_i32 s4, s2, 0x300
	v_readfirstlane_b32 s0, v1
	s_add_u32 s16, s5, s0
	s_addc_u32 s17, s17, 0
	s_add_u32 s18, s14, s2
	s_addc_u32 s19, s15, 0
	s_add_u32 s20, s16, -1
	s_addc_u32 s21, s17, -1
	v_mov_b64_e32 v[2:3], s[20:21]
	v_cmp_ge_u64_e64 s[0:1], s[18:19], v[2:3]
	s_mov_b32 s3, 0
	s_mov_b64 s[22:23], -1
	s_and_b64 vcc, exec, s[0:1]
	s_mul_i32 s11, s20, 0xfffffd00
	s_cbranch_vccz .LBB172_8
; %bb.1:
	s_mov_b32 s5, s3
	s_add_i32 s28, s11, s10
	s_lshl_b64 s[22:23], s[4:5], 2
	s_add_u32 s22, s26, s22
	s_addc_u32 s23, s27, s23
	v_cmp_gt_u32_e32 vcc, s28, v0
                                        ; implicit-def: $vgpr2_vgpr3_vgpr4
	s_and_saveexec_b64 s[24:25], vcc
	s_cbranch_execz .LBB172_3
; %bb.2:
	v_lshlrev_b32_e32 v1, 2, v0
	global_load_dword v2, v1, s[22:23]
.LBB172_3:
	s_or_b64 exec, exec, s[24:25]
	v_or_b32_e32 v1, 0x100, v0
	v_cmp_gt_u32_e32 vcc, s28, v1
	s_and_saveexec_b64 s[24:25], vcc
	s_cbranch_execz .LBB172_5
; %bb.4:
	v_lshlrev_b32_e32 v1, 2, v0
	global_load_dword v3, v1, s[22:23] offset:1024
.LBB172_5:
	s_or_b64 exec, exec, s[24:25]
	v_or_b32_e32 v1, 0x200, v0
	v_cmp_gt_u32_e32 vcc, s28, v1
	s_and_saveexec_b64 s[24:25], vcc
	s_cbranch_execz .LBB172_7
; %bb.6:
	v_lshlrev_b32_e32 v1, 2, v0
	global_load_dword v4, v1, s[22:23] offset:2048
.LBB172_7:
	s_or_b64 exec, exec, s[24:25]
	v_lshlrev_b32_e32 v1, 2, v0
	s_mov_b64 s[22:23], 0
	s_waitcnt vmcnt(0)
	ds_write2st64_b32 v1, v2, v3 offset1:4
	ds_write_b32 v1, v4 offset:2048
	s_waitcnt lgkmcnt(0)
	s_barrier
.LBB172_8:
	s_and_b64 vcc, exec, s[22:23]
	v_lshlrev_b32_e32 v8, 2, v0
	s_cbranch_vccz .LBB172_10
; %bb.9:
	s_mov_b32 s5, 0
	s_lshl_b64 s[22:23], s[4:5], 2
	s_add_u32 s22, s26, s22
	s_addc_u32 s23, s27, s23
	global_load_dword v1, v8, s[22:23]
	global_load_dword v2, v8, s[22:23] offset:1024
	global_load_dword v3, v8, s[22:23] offset:2048
	s_waitcnt vmcnt(1)
	ds_write2st64_b32 v8, v1, v2 offset1:4
	s_waitcnt vmcnt(0)
	ds_write_b32 v8, v3 offset:2048
	s_waitcnt lgkmcnt(0)
	s_barrier
.LBB172_10:
	v_mul_u32_u24_e32 v1, 3, v0
	v_lshlrev_b32_e32 v1, 2, v1
	ds_read_b32 v2, v1
	ds_read2_b32 v[4:5], v1 offset0:1 offset1:2
	s_cmp_eq_u64 s[18:19], 0
	s_waitcnt lgkmcnt(0)
	s_barrier
	s_cbranch_scc1 .LBB172_15
; %bb.11:
	s_lshl_b64 s[14:15], s[14:15], 2
	s_add_u32 s5, s12, s14
	s_addc_u32 s12, s13, s15
	s_lshl_b64 s[2:3], s[2:3], 2
	s_add_u32 s2, s5, s2
	s_addc_u32 s3, s12, s3
	s_add_u32 s2, s2, -4
	s_addc_u32 s3, s3, -1
	s_load_dword s5, s[2:3], 0x0
	s_cmp_eq_u64 s[18:19], s[20:21]
	s_cbranch_scc1 .LBB172_17
; %bb.12:
	v_cmp_ne_u32_e32 vcc, 0, v0
	s_waitcnt lgkmcnt(0)
	v_mov_b32_e32 v1, s5
	ds_write_b32 v8, v5
	s_waitcnt lgkmcnt(0)
	s_barrier
	s_and_saveexec_b64 s[2:3], vcc
	s_cbranch_execz .LBB172_14
; %bb.13:
	v_add_u32_e32 v1, -4, v8
	ds_read_b32 v1, v1
.LBB172_14:
	s_or_b64 exec, exec, s[2:3]
	v_mov_b32_e32 v3, v4
	v_pk_add_f32 v[10:11], v[4:5], v[2:3] neg_lo:[0,1] neg_hi:[0,1]
	s_waitcnt lgkmcnt(0)
	v_sub_f32_e32 v6, v2, v1
	s_branch .LBB172_21
.LBB172_15:
	s_mov_b64 s[12:13], 0
                                        ; implicit-def: $vgpr11
                                        ; implicit-def: $vgpr6
	s_branch .LBB172_22
.LBB172_16:
                                        ; implicit-def: $vgpr2_vgpr3_vgpr4
	s_branch .LBB172_30
.LBB172_17:
                                        ; implicit-def: $vgpr11
                                        ; implicit-def: $vgpr6
	s_cbranch_execz .LBB172_21
; %bb.18:
	v_mul_u32_u24_e32 v1, 3, v0
	v_cmp_ne_u32_e32 vcc, 0, v0
	s_waitcnt lgkmcnt(0)
	v_mov_b32_e32 v3, s5
	ds_write_b32 v8, v5
	s_waitcnt lgkmcnt(0)
	s_barrier
	s_and_saveexec_b64 s[2:3], vcc
	s_cbranch_execz .LBB172_20
; %bb.19:
	v_add_u32_e32 v3, -4, v8
	ds_read_b32 v3, v3
.LBB172_20:
	s_or_b64 exec, exec, s[2:3]
	s_mul_i32 s2, s18, 0xfffffd00
	s_add_i32 s2, s2, s10
	v_add_u32_e32 v9, 2, v1
	v_mov_b32_e32 v6, v5
	v_pk_add_f32 v[6:7], v[6:7], v[4:5] neg_lo:[0,1] neg_hi:[0,1]
	v_cmp_gt_u32_e32 vcc, s2, v9
	v_sub_f32_e32 v7, v4, v2
	s_waitcnt lgkmcnt(0)
	v_sub_f32_e32 v3, v2, v3
	v_cndmask_b32_e32 v11, v5, v6, vcc
	v_add_u32_e32 v6, 1, v1
	v_cmp_gt_u32_e32 vcc, s2, v6
	s_nop 1
	v_cndmask_b32_e32 v10, v4, v7, vcc
	v_cmp_gt_u32_e32 vcc, s2, v1
	s_nop 1
	v_cndmask_b32_e32 v6, v2, v3, vcc
.LBB172_21:
	s_mov_b64 s[12:13], -1
	s_cbranch_execnz .LBB172_16
.LBB172_22:
	s_cmp_lg_u64 s[16:17], 1
	v_cmp_ne_u32_e32 vcc, 0, v0
	s_cbranch_scc0 .LBB172_26
; %bb.23:
	v_mov_b32_e32 v3, v4
	v_pk_add_f32 v[10:11], v[4:5], v[2:3] neg_lo:[0,1] neg_hi:[0,1]
	ds_write_b32 v8, v5
	s_waitcnt lgkmcnt(0)
	s_barrier
	s_waitcnt lgkmcnt(0)
                                        ; implicit-def: $vgpr6
	s_and_saveexec_b64 s[2:3], vcc
	s_cbranch_execz .LBB172_25
; %bb.24:
	v_add_u32_e32 v1, -4, v8
	ds_read_b32 v1, v1
	s_or_b64 s[12:13], s[12:13], exec
	s_waitcnt lgkmcnt(0)
	v_sub_f32_e32 v6, v2, v1
.LBB172_25:
	s_or_b64 exec, exec, s[2:3]
	s_branch .LBB172_30
.LBB172_26:
                                        ; implicit-def: $vgpr11
                                        ; implicit-def: $vgpr6
	s_cbranch_execz .LBB172_30
; %bb.27:
	v_mad_u32_u24 v3, v0, 3, 2
	v_mov_b32_e32 v6, v5
	v_pk_add_f32 v[6:7], v[6:7], v[4:5] neg_lo:[0,1] neg_hi:[0,1]
	v_cmp_gt_u32_e32 vcc, s10, v3
	v_mad_u32_u24 v3, v0, 3, 1
	ds_write_b32 v8, v5
	v_mul_u32_u24_e32 v1, 3, v0
	v_cndmask_b32_e32 v11, v5, v6, vcc
	v_sub_f32_e32 v5, v4, v2
	v_cmp_gt_u32_e32 vcc, s10, v3
	v_cmp_gt_u32_e64 s[2:3], s10, v1
	s_waitcnt lgkmcnt(0)
	v_cndmask_b32_e32 v10, v4, v5, vcc
	v_cmp_ne_u32_e32 vcc, 0, v0
	s_and_b64 s[14:15], vcc, s[2:3]
	s_barrier
	s_waitcnt lgkmcnt(0)
                                        ; implicit-def: $vgpr6
	s_and_saveexec_b64 s[2:3], s[14:15]
	s_cbranch_execz .LBB172_29
; %bb.28:
	v_add_u32_e32 v1, -4, v8
	ds_read_b32 v1, v1
	s_or_b64 s[12:13], s[12:13], exec
	s_waitcnt lgkmcnt(0)
	v_sub_f32_e32 v6, v2, v1
                                        ; implicit-def: $vgpr2_vgpr3_vgpr4
.LBB172_29:
	s_or_b64 exec, exec, s[2:3]
.LBB172_30:
	s_and_saveexec_b64 s[2:3], s[12:13]
; %bb.31:
	v_mov_b32_e32 v2, v6
	v_mov_b32_e32 v3, v7
	;; [unrolled: 1-line block ×3, first 2 shown]
; %bb.32:
	s_or_b64 exec, exec, s[2:3]
	s_add_u32 s8, s8, s6
	s_addc_u32 s6, s9, s7
	s_and_b64 vcc, exec, s[0:1]
	v_mul_u32_u24_e32 v1, 12, v0
	v_lshlrev_b32_e32 v3, 3, v0
                                        ; kill: def $vgpr4 killed $vgpr11 killed $exec
	s_waitcnt lgkmcnt(0)
	s_barrier
	s_cbranch_vccz .LBB172_38
; %bb.33:
	v_sub_u32_e32 v4, v1, v3
	s_mov_b32 s5, 0
	ds_write2_b32 v1, v2, v10 offset1:1
	ds_write_b32 v1, v11 offset:8
	s_waitcnt lgkmcnt(0)
	s_barrier
	ds_read2st64_b32 v[4:5], v4 offset0:4 offset1:8
	s_add_i32 s11, s11, s10
	s_lshl_b64 s[0:1], s[4:5], 2
	s_add_u32 s0, s8, s0
	s_addc_u32 s1, s6, s1
	v_mov_b32_e32 v9, 0
	v_lshl_add_u64 v[6:7], s[0:1], 0, v[8:9]
	v_cmp_gt_u32_e32 vcc, s11, v0
	s_and_saveexec_b64 s[0:1], vcc
	s_cbranch_execz .LBB172_35
; %bb.34:
	v_sub_u32_e32 v9, 0, v3
	v_add_u32_e32 v9, v1, v9
	ds_read_b32 v9, v9
	s_waitcnt lgkmcnt(0)
	global_store_dword v[6:7], v9, off
.LBB172_35:
	s_or_b64 exec, exec, s[0:1]
	v_or_b32_e32 v9, 0x100, v0
	v_cmp_gt_u32_e32 vcc, s11, v9
	s_and_saveexec_b64 s[0:1], vcc
	s_cbranch_execz .LBB172_37
; %bb.36:
	s_waitcnt lgkmcnt(0)
	global_store_dword v[6:7], v4, off offset:1024
.LBB172_37:
	s_or_b64 exec, exec, s[0:1]
	v_or_b32_e32 v0, 0x200, v0
	v_cmp_gt_u32_e64 s[0:1], s11, v0
	s_branch .LBB172_40
.LBB172_38:
	s_mov_b64 s[0:1], 0
                                        ; implicit-def: $vgpr5
                                        ; implicit-def: $vgpr6_vgpr7
	s_cbranch_execz .LBB172_40
; %bb.39:
	ds_write2_b32 v1, v2, v10 offset1:1
	ds_write_b32 v1, v11 offset:8
	v_sub_u32_e32 v2, v1, v3
	s_mov_b32 s5, 0
	s_waitcnt lgkmcnt(0)
	s_barrier
	ds_read2st64_b32 v[0:1], v2 offset1:4
	ds_read_b32 v5, v2 offset:2048
	s_lshl_b64 s[2:3], s[4:5], 2
	s_add_u32 s2, s8, s2
	s_addc_u32 s3, s6, s3
	v_mov_b32_e32 v9, 0
	v_lshl_add_u64 v[6:7], s[2:3], 0, v[8:9]
	s_or_b64 s[0:1], s[0:1], exec
	s_waitcnt lgkmcnt(1)
	global_store_dword v8, v0, s[2:3]
	global_store_dword v8, v1, s[2:3] offset:1024
.LBB172_40:
	s_and_saveexec_b64 s[2:3], s[0:1]
	s_cbranch_execnz .LBB172_42
; %bb.41:
	s_endpgm
.LBB172_42:
	s_waitcnt lgkmcnt(0)
	global_store_dword v[6:7], v5, off offset:2048
	s_endpgm
	.section	.rodata,"a",@progbits
	.p2align	6, 0x0
	.amdhsa_kernel _ZN7rocprim17ROCPRIM_400000_NS6detail17trampoline_kernelINS0_14default_configENS1_35adjacent_difference_config_selectorILb1EfEEZNS1_24adjacent_difference_implIS3_Lb1ELb0EPfS7_N6thrust23THRUST_200600_302600_NS5minusIfEEEE10hipError_tPvRmT2_T3_mT4_P12ihipStream_tbEUlT_E_NS1_11comp_targetILNS1_3genE5ELNS1_11target_archE942ELNS1_3gpuE9ELNS1_3repE0EEENS1_30default_config_static_selectorELNS0_4arch9wavefront6targetE1EEEvT1_
		.amdhsa_group_segment_fixed_size 3072
		.amdhsa_private_segment_fixed_size 0
		.amdhsa_kernarg_size 56
		.amdhsa_user_sgpr_count 2
		.amdhsa_user_sgpr_dispatch_ptr 0
		.amdhsa_user_sgpr_queue_ptr 0
		.amdhsa_user_sgpr_kernarg_segment_ptr 1
		.amdhsa_user_sgpr_dispatch_id 0
		.amdhsa_user_sgpr_kernarg_preload_length 0
		.amdhsa_user_sgpr_kernarg_preload_offset 0
		.amdhsa_user_sgpr_private_segment_size 0
		.amdhsa_uses_dynamic_stack 0
		.amdhsa_enable_private_segment 0
		.amdhsa_system_sgpr_workgroup_id_x 1
		.amdhsa_system_sgpr_workgroup_id_y 0
		.amdhsa_system_sgpr_workgroup_id_z 0
		.amdhsa_system_sgpr_workgroup_info 0
		.amdhsa_system_vgpr_workitem_id 0
		.amdhsa_next_free_vgpr 12
		.amdhsa_next_free_sgpr 29
		.amdhsa_accum_offset 12
		.amdhsa_reserve_vcc 1
		.amdhsa_float_round_mode_32 0
		.amdhsa_float_round_mode_16_64 0
		.amdhsa_float_denorm_mode_32 3
		.amdhsa_float_denorm_mode_16_64 3
		.amdhsa_dx10_clamp 1
		.amdhsa_ieee_mode 1
		.amdhsa_fp16_overflow 0
		.amdhsa_tg_split 0
		.amdhsa_exception_fp_ieee_invalid_op 0
		.amdhsa_exception_fp_denorm_src 0
		.amdhsa_exception_fp_ieee_div_zero 0
		.amdhsa_exception_fp_ieee_overflow 0
		.amdhsa_exception_fp_ieee_underflow 0
		.amdhsa_exception_fp_ieee_inexact 0
		.amdhsa_exception_int_div_zero 0
	.end_amdhsa_kernel
	.section	.text._ZN7rocprim17ROCPRIM_400000_NS6detail17trampoline_kernelINS0_14default_configENS1_35adjacent_difference_config_selectorILb1EfEEZNS1_24adjacent_difference_implIS3_Lb1ELb0EPfS7_N6thrust23THRUST_200600_302600_NS5minusIfEEEE10hipError_tPvRmT2_T3_mT4_P12ihipStream_tbEUlT_E_NS1_11comp_targetILNS1_3genE5ELNS1_11target_archE942ELNS1_3gpuE9ELNS1_3repE0EEENS1_30default_config_static_selectorELNS0_4arch9wavefront6targetE1EEEvT1_,"axG",@progbits,_ZN7rocprim17ROCPRIM_400000_NS6detail17trampoline_kernelINS0_14default_configENS1_35adjacent_difference_config_selectorILb1EfEEZNS1_24adjacent_difference_implIS3_Lb1ELb0EPfS7_N6thrust23THRUST_200600_302600_NS5minusIfEEEE10hipError_tPvRmT2_T3_mT4_P12ihipStream_tbEUlT_E_NS1_11comp_targetILNS1_3genE5ELNS1_11target_archE942ELNS1_3gpuE9ELNS1_3repE0EEENS1_30default_config_static_selectorELNS0_4arch9wavefront6targetE1EEEvT1_,comdat
.Lfunc_end172:
	.size	_ZN7rocprim17ROCPRIM_400000_NS6detail17trampoline_kernelINS0_14default_configENS1_35adjacent_difference_config_selectorILb1EfEEZNS1_24adjacent_difference_implIS3_Lb1ELb0EPfS7_N6thrust23THRUST_200600_302600_NS5minusIfEEEE10hipError_tPvRmT2_T3_mT4_P12ihipStream_tbEUlT_E_NS1_11comp_targetILNS1_3genE5ELNS1_11target_archE942ELNS1_3gpuE9ELNS1_3repE0EEENS1_30default_config_static_selectorELNS0_4arch9wavefront6targetE1EEEvT1_, .Lfunc_end172-_ZN7rocprim17ROCPRIM_400000_NS6detail17trampoline_kernelINS0_14default_configENS1_35adjacent_difference_config_selectorILb1EfEEZNS1_24adjacent_difference_implIS3_Lb1ELb0EPfS7_N6thrust23THRUST_200600_302600_NS5minusIfEEEE10hipError_tPvRmT2_T3_mT4_P12ihipStream_tbEUlT_E_NS1_11comp_targetILNS1_3genE5ELNS1_11target_archE942ELNS1_3gpuE9ELNS1_3repE0EEENS1_30default_config_static_selectorELNS0_4arch9wavefront6targetE1EEEvT1_
                                        ; -- End function
	.section	.AMDGPU.csdata,"",@progbits
; Kernel info:
; codeLenInByte = 1536
; NumSgprs: 35
; NumVgprs: 12
; NumAgprs: 0
; TotalNumVgprs: 12
; ScratchSize: 0
; MemoryBound: 0
; FloatMode: 240
; IeeeMode: 1
; LDSByteSize: 3072 bytes/workgroup (compile time only)
; SGPRBlocks: 4
; VGPRBlocks: 1
; NumSGPRsForWavesPerEU: 35
; NumVGPRsForWavesPerEU: 12
; AccumOffset: 12
; Occupancy: 8
; WaveLimiterHint : 1
; COMPUTE_PGM_RSRC2:SCRATCH_EN: 0
; COMPUTE_PGM_RSRC2:USER_SGPR: 2
; COMPUTE_PGM_RSRC2:TRAP_HANDLER: 0
; COMPUTE_PGM_RSRC2:TGID_X_EN: 1
; COMPUTE_PGM_RSRC2:TGID_Y_EN: 0
; COMPUTE_PGM_RSRC2:TGID_Z_EN: 0
; COMPUTE_PGM_RSRC2:TIDIG_COMP_CNT: 0
; COMPUTE_PGM_RSRC3_GFX90A:ACCUM_OFFSET: 2
; COMPUTE_PGM_RSRC3_GFX90A:TG_SPLIT: 0
	.section	.text._ZN7rocprim17ROCPRIM_400000_NS6detail17trampoline_kernelINS0_14default_configENS1_35adjacent_difference_config_selectorILb1EfEEZNS1_24adjacent_difference_implIS3_Lb1ELb0EPfS7_N6thrust23THRUST_200600_302600_NS5minusIfEEEE10hipError_tPvRmT2_T3_mT4_P12ihipStream_tbEUlT_E_NS1_11comp_targetILNS1_3genE4ELNS1_11target_archE910ELNS1_3gpuE8ELNS1_3repE0EEENS1_30default_config_static_selectorELNS0_4arch9wavefront6targetE1EEEvT1_,"axG",@progbits,_ZN7rocprim17ROCPRIM_400000_NS6detail17trampoline_kernelINS0_14default_configENS1_35adjacent_difference_config_selectorILb1EfEEZNS1_24adjacent_difference_implIS3_Lb1ELb0EPfS7_N6thrust23THRUST_200600_302600_NS5minusIfEEEE10hipError_tPvRmT2_T3_mT4_P12ihipStream_tbEUlT_E_NS1_11comp_targetILNS1_3genE4ELNS1_11target_archE910ELNS1_3gpuE8ELNS1_3repE0EEENS1_30default_config_static_selectorELNS0_4arch9wavefront6targetE1EEEvT1_,comdat
	.protected	_ZN7rocprim17ROCPRIM_400000_NS6detail17trampoline_kernelINS0_14default_configENS1_35adjacent_difference_config_selectorILb1EfEEZNS1_24adjacent_difference_implIS3_Lb1ELb0EPfS7_N6thrust23THRUST_200600_302600_NS5minusIfEEEE10hipError_tPvRmT2_T3_mT4_P12ihipStream_tbEUlT_E_NS1_11comp_targetILNS1_3genE4ELNS1_11target_archE910ELNS1_3gpuE8ELNS1_3repE0EEENS1_30default_config_static_selectorELNS0_4arch9wavefront6targetE1EEEvT1_ ; -- Begin function _ZN7rocprim17ROCPRIM_400000_NS6detail17trampoline_kernelINS0_14default_configENS1_35adjacent_difference_config_selectorILb1EfEEZNS1_24adjacent_difference_implIS3_Lb1ELb0EPfS7_N6thrust23THRUST_200600_302600_NS5minusIfEEEE10hipError_tPvRmT2_T3_mT4_P12ihipStream_tbEUlT_E_NS1_11comp_targetILNS1_3genE4ELNS1_11target_archE910ELNS1_3gpuE8ELNS1_3repE0EEENS1_30default_config_static_selectorELNS0_4arch9wavefront6targetE1EEEvT1_
	.globl	_ZN7rocprim17ROCPRIM_400000_NS6detail17trampoline_kernelINS0_14default_configENS1_35adjacent_difference_config_selectorILb1EfEEZNS1_24adjacent_difference_implIS3_Lb1ELb0EPfS7_N6thrust23THRUST_200600_302600_NS5minusIfEEEE10hipError_tPvRmT2_T3_mT4_P12ihipStream_tbEUlT_E_NS1_11comp_targetILNS1_3genE4ELNS1_11target_archE910ELNS1_3gpuE8ELNS1_3repE0EEENS1_30default_config_static_selectorELNS0_4arch9wavefront6targetE1EEEvT1_
	.p2align	8
	.type	_ZN7rocprim17ROCPRIM_400000_NS6detail17trampoline_kernelINS0_14default_configENS1_35adjacent_difference_config_selectorILb1EfEEZNS1_24adjacent_difference_implIS3_Lb1ELb0EPfS7_N6thrust23THRUST_200600_302600_NS5minusIfEEEE10hipError_tPvRmT2_T3_mT4_P12ihipStream_tbEUlT_E_NS1_11comp_targetILNS1_3genE4ELNS1_11target_archE910ELNS1_3gpuE8ELNS1_3repE0EEENS1_30default_config_static_selectorELNS0_4arch9wavefront6targetE1EEEvT1_,@function
_ZN7rocprim17ROCPRIM_400000_NS6detail17trampoline_kernelINS0_14default_configENS1_35adjacent_difference_config_selectorILb1EfEEZNS1_24adjacent_difference_implIS3_Lb1ELb0EPfS7_N6thrust23THRUST_200600_302600_NS5minusIfEEEE10hipError_tPvRmT2_T3_mT4_P12ihipStream_tbEUlT_E_NS1_11comp_targetILNS1_3genE4ELNS1_11target_archE910ELNS1_3gpuE8ELNS1_3repE0EEENS1_30default_config_static_selectorELNS0_4arch9wavefront6targetE1EEEvT1_: ; @_ZN7rocprim17ROCPRIM_400000_NS6detail17trampoline_kernelINS0_14default_configENS1_35adjacent_difference_config_selectorILb1EfEEZNS1_24adjacent_difference_implIS3_Lb1ELb0EPfS7_N6thrust23THRUST_200600_302600_NS5minusIfEEEE10hipError_tPvRmT2_T3_mT4_P12ihipStream_tbEUlT_E_NS1_11comp_targetILNS1_3genE4ELNS1_11target_archE910ELNS1_3gpuE8ELNS1_3repE0EEENS1_30default_config_static_selectorELNS0_4arch9wavefront6targetE1EEEvT1_
; %bb.0:
	.section	.rodata,"a",@progbits
	.p2align	6, 0x0
	.amdhsa_kernel _ZN7rocprim17ROCPRIM_400000_NS6detail17trampoline_kernelINS0_14default_configENS1_35adjacent_difference_config_selectorILb1EfEEZNS1_24adjacent_difference_implIS3_Lb1ELb0EPfS7_N6thrust23THRUST_200600_302600_NS5minusIfEEEE10hipError_tPvRmT2_T3_mT4_P12ihipStream_tbEUlT_E_NS1_11comp_targetILNS1_3genE4ELNS1_11target_archE910ELNS1_3gpuE8ELNS1_3repE0EEENS1_30default_config_static_selectorELNS0_4arch9wavefront6targetE1EEEvT1_
		.amdhsa_group_segment_fixed_size 0
		.amdhsa_private_segment_fixed_size 0
		.amdhsa_kernarg_size 56
		.amdhsa_user_sgpr_count 2
		.amdhsa_user_sgpr_dispatch_ptr 0
		.amdhsa_user_sgpr_queue_ptr 0
		.amdhsa_user_sgpr_kernarg_segment_ptr 1
		.amdhsa_user_sgpr_dispatch_id 0
		.amdhsa_user_sgpr_kernarg_preload_length 0
		.amdhsa_user_sgpr_kernarg_preload_offset 0
		.amdhsa_user_sgpr_private_segment_size 0
		.amdhsa_uses_dynamic_stack 0
		.amdhsa_enable_private_segment 0
		.amdhsa_system_sgpr_workgroup_id_x 1
		.amdhsa_system_sgpr_workgroup_id_y 0
		.amdhsa_system_sgpr_workgroup_id_z 0
		.amdhsa_system_sgpr_workgroup_info 0
		.amdhsa_system_vgpr_workitem_id 0
		.amdhsa_next_free_vgpr 1
		.amdhsa_next_free_sgpr 0
		.amdhsa_accum_offset 4
		.amdhsa_reserve_vcc 0
		.amdhsa_float_round_mode_32 0
		.amdhsa_float_round_mode_16_64 0
		.amdhsa_float_denorm_mode_32 3
		.amdhsa_float_denorm_mode_16_64 3
		.amdhsa_dx10_clamp 1
		.amdhsa_ieee_mode 1
		.amdhsa_fp16_overflow 0
		.amdhsa_tg_split 0
		.amdhsa_exception_fp_ieee_invalid_op 0
		.amdhsa_exception_fp_denorm_src 0
		.amdhsa_exception_fp_ieee_div_zero 0
		.amdhsa_exception_fp_ieee_overflow 0
		.amdhsa_exception_fp_ieee_underflow 0
		.amdhsa_exception_fp_ieee_inexact 0
		.amdhsa_exception_int_div_zero 0
	.end_amdhsa_kernel
	.section	.text._ZN7rocprim17ROCPRIM_400000_NS6detail17trampoline_kernelINS0_14default_configENS1_35adjacent_difference_config_selectorILb1EfEEZNS1_24adjacent_difference_implIS3_Lb1ELb0EPfS7_N6thrust23THRUST_200600_302600_NS5minusIfEEEE10hipError_tPvRmT2_T3_mT4_P12ihipStream_tbEUlT_E_NS1_11comp_targetILNS1_3genE4ELNS1_11target_archE910ELNS1_3gpuE8ELNS1_3repE0EEENS1_30default_config_static_selectorELNS0_4arch9wavefront6targetE1EEEvT1_,"axG",@progbits,_ZN7rocprim17ROCPRIM_400000_NS6detail17trampoline_kernelINS0_14default_configENS1_35adjacent_difference_config_selectorILb1EfEEZNS1_24adjacent_difference_implIS3_Lb1ELb0EPfS7_N6thrust23THRUST_200600_302600_NS5minusIfEEEE10hipError_tPvRmT2_T3_mT4_P12ihipStream_tbEUlT_E_NS1_11comp_targetILNS1_3genE4ELNS1_11target_archE910ELNS1_3gpuE8ELNS1_3repE0EEENS1_30default_config_static_selectorELNS0_4arch9wavefront6targetE1EEEvT1_,comdat
.Lfunc_end173:
	.size	_ZN7rocprim17ROCPRIM_400000_NS6detail17trampoline_kernelINS0_14default_configENS1_35adjacent_difference_config_selectorILb1EfEEZNS1_24adjacent_difference_implIS3_Lb1ELb0EPfS7_N6thrust23THRUST_200600_302600_NS5minusIfEEEE10hipError_tPvRmT2_T3_mT4_P12ihipStream_tbEUlT_E_NS1_11comp_targetILNS1_3genE4ELNS1_11target_archE910ELNS1_3gpuE8ELNS1_3repE0EEENS1_30default_config_static_selectorELNS0_4arch9wavefront6targetE1EEEvT1_, .Lfunc_end173-_ZN7rocprim17ROCPRIM_400000_NS6detail17trampoline_kernelINS0_14default_configENS1_35adjacent_difference_config_selectorILb1EfEEZNS1_24adjacent_difference_implIS3_Lb1ELb0EPfS7_N6thrust23THRUST_200600_302600_NS5minusIfEEEE10hipError_tPvRmT2_T3_mT4_P12ihipStream_tbEUlT_E_NS1_11comp_targetILNS1_3genE4ELNS1_11target_archE910ELNS1_3gpuE8ELNS1_3repE0EEENS1_30default_config_static_selectorELNS0_4arch9wavefront6targetE1EEEvT1_
                                        ; -- End function
	.section	.AMDGPU.csdata,"",@progbits
; Kernel info:
; codeLenInByte = 0
; NumSgprs: 6
; NumVgprs: 0
; NumAgprs: 0
; TotalNumVgprs: 0
; ScratchSize: 0
; MemoryBound: 0
; FloatMode: 240
; IeeeMode: 1
; LDSByteSize: 0 bytes/workgroup (compile time only)
; SGPRBlocks: 0
; VGPRBlocks: 0
; NumSGPRsForWavesPerEU: 6
; NumVGPRsForWavesPerEU: 1
; AccumOffset: 4
; Occupancy: 8
; WaveLimiterHint : 0
; COMPUTE_PGM_RSRC2:SCRATCH_EN: 0
; COMPUTE_PGM_RSRC2:USER_SGPR: 2
; COMPUTE_PGM_RSRC2:TRAP_HANDLER: 0
; COMPUTE_PGM_RSRC2:TGID_X_EN: 1
; COMPUTE_PGM_RSRC2:TGID_Y_EN: 0
; COMPUTE_PGM_RSRC2:TGID_Z_EN: 0
; COMPUTE_PGM_RSRC2:TIDIG_COMP_CNT: 0
; COMPUTE_PGM_RSRC3_GFX90A:ACCUM_OFFSET: 0
; COMPUTE_PGM_RSRC3_GFX90A:TG_SPLIT: 0
	.section	.text._ZN7rocprim17ROCPRIM_400000_NS6detail17trampoline_kernelINS0_14default_configENS1_35adjacent_difference_config_selectorILb1EfEEZNS1_24adjacent_difference_implIS3_Lb1ELb0EPfS7_N6thrust23THRUST_200600_302600_NS5minusIfEEEE10hipError_tPvRmT2_T3_mT4_P12ihipStream_tbEUlT_E_NS1_11comp_targetILNS1_3genE3ELNS1_11target_archE908ELNS1_3gpuE7ELNS1_3repE0EEENS1_30default_config_static_selectorELNS0_4arch9wavefront6targetE1EEEvT1_,"axG",@progbits,_ZN7rocprim17ROCPRIM_400000_NS6detail17trampoline_kernelINS0_14default_configENS1_35adjacent_difference_config_selectorILb1EfEEZNS1_24adjacent_difference_implIS3_Lb1ELb0EPfS7_N6thrust23THRUST_200600_302600_NS5minusIfEEEE10hipError_tPvRmT2_T3_mT4_P12ihipStream_tbEUlT_E_NS1_11comp_targetILNS1_3genE3ELNS1_11target_archE908ELNS1_3gpuE7ELNS1_3repE0EEENS1_30default_config_static_selectorELNS0_4arch9wavefront6targetE1EEEvT1_,comdat
	.protected	_ZN7rocprim17ROCPRIM_400000_NS6detail17trampoline_kernelINS0_14default_configENS1_35adjacent_difference_config_selectorILb1EfEEZNS1_24adjacent_difference_implIS3_Lb1ELb0EPfS7_N6thrust23THRUST_200600_302600_NS5minusIfEEEE10hipError_tPvRmT2_T3_mT4_P12ihipStream_tbEUlT_E_NS1_11comp_targetILNS1_3genE3ELNS1_11target_archE908ELNS1_3gpuE7ELNS1_3repE0EEENS1_30default_config_static_selectorELNS0_4arch9wavefront6targetE1EEEvT1_ ; -- Begin function _ZN7rocprim17ROCPRIM_400000_NS6detail17trampoline_kernelINS0_14default_configENS1_35adjacent_difference_config_selectorILb1EfEEZNS1_24adjacent_difference_implIS3_Lb1ELb0EPfS7_N6thrust23THRUST_200600_302600_NS5minusIfEEEE10hipError_tPvRmT2_T3_mT4_P12ihipStream_tbEUlT_E_NS1_11comp_targetILNS1_3genE3ELNS1_11target_archE908ELNS1_3gpuE7ELNS1_3repE0EEENS1_30default_config_static_selectorELNS0_4arch9wavefront6targetE1EEEvT1_
	.globl	_ZN7rocprim17ROCPRIM_400000_NS6detail17trampoline_kernelINS0_14default_configENS1_35adjacent_difference_config_selectorILb1EfEEZNS1_24adjacent_difference_implIS3_Lb1ELb0EPfS7_N6thrust23THRUST_200600_302600_NS5minusIfEEEE10hipError_tPvRmT2_T3_mT4_P12ihipStream_tbEUlT_E_NS1_11comp_targetILNS1_3genE3ELNS1_11target_archE908ELNS1_3gpuE7ELNS1_3repE0EEENS1_30default_config_static_selectorELNS0_4arch9wavefront6targetE1EEEvT1_
	.p2align	8
	.type	_ZN7rocprim17ROCPRIM_400000_NS6detail17trampoline_kernelINS0_14default_configENS1_35adjacent_difference_config_selectorILb1EfEEZNS1_24adjacent_difference_implIS3_Lb1ELb0EPfS7_N6thrust23THRUST_200600_302600_NS5minusIfEEEE10hipError_tPvRmT2_T3_mT4_P12ihipStream_tbEUlT_E_NS1_11comp_targetILNS1_3genE3ELNS1_11target_archE908ELNS1_3gpuE7ELNS1_3repE0EEENS1_30default_config_static_selectorELNS0_4arch9wavefront6targetE1EEEvT1_,@function
_ZN7rocprim17ROCPRIM_400000_NS6detail17trampoline_kernelINS0_14default_configENS1_35adjacent_difference_config_selectorILb1EfEEZNS1_24adjacent_difference_implIS3_Lb1ELb0EPfS7_N6thrust23THRUST_200600_302600_NS5minusIfEEEE10hipError_tPvRmT2_T3_mT4_P12ihipStream_tbEUlT_E_NS1_11comp_targetILNS1_3genE3ELNS1_11target_archE908ELNS1_3gpuE7ELNS1_3repE0EEENS1_30default_config_static_selectorELNS0_4arch9wavefront6targetE1EEEvT1_: ; @_ZN7rocprim17ROCPRIM_400000_NS6detail17trampoline_kernelINS0_14default_configENS1_35adjacent_difference_config_selectorILb1EfEEZNS1_24adjacent_difference_implIS3_Lb1ELb0EPfS7_N6thrust23THRUST_200600_302600_NS5minusIfEEEE10hipError_tPvRmT2_T3_mT4_P12ihipStream_tbEUlT_E_NS1_11comp_targetILNS1_3genE3ELNS1_11target_archE908ELNS1_3gpuE7ELNS1_3repE0EEENS1_30default_config_static_selectorELNS0_4arch9wavefront6targetE1EEEvT1_
; %bb.0:
	.section	.rodata,"a",@progbits
	.p2align	6, 0x0
	.amdhsa_kernel _ZN7rocprim17ROCPRIM_400000_NS6detail17trampoline_kernelINS0_14default_configENS1_35adjacent_difference_config_selectorILb1EfEEZNS1_24adjacent_difference_implIS3_Lb1ELb0EPfS7_N6thrust23THRUST_200600_302600_NS5minusIfEEEE10hipError_tPvRmT2_T3_mT4_P12ihipStream_tbEUlT_E_NS1_11comp_targetILNS1_3genE3ELNS1_11target_archE908ELNS1_3gpuE7ELNS1_3repE0EEENS1_30default_config_static_selectorELNS0_4arch9wavefront6targetE1EEEvT1_
		.amdhsa_group_segment_fixed_size 0
		.amdhsa_private_segment_fixed_size 0
		.amdhsa_kernarg_size 56
		.amdhsa_user_sgpr_count 2
		.amdhsa_user_sgpr_dispatch_ptr 0
		.amdhsa_user_sgpr_queue_ptr 0
		.amdhsa_user_sgpr_kernarg_segment_ptr 1
		.amdhsa_user_sgpr_dispatch_id 0
		.amdhsa_user_sgpr_kernarg_preload_length 0
		.amdhsa_user_sgpr_kernarg_preload_offset 0
		.amdhsa_user_sgpr_private_segment_size 0
		.amdhsa_uses_dynamic_stack 0
		.amdhsa_enable_private_segment 0
		.amdhsa_system_sgpr_workgroup_id_x 1
		.amdhsa_system_sgpr_workgroup_id_y 0
		.amdhsa_system_sgpr_workgroup_id_z 0
		.amdhsa_system_sgpr_workgroup_info 0
		.amdhsa_system_vgpr_workitem_id 0
		.amdhsa_next_free_vgpr 1
		.amdhsa_next_free_sgpr 0
		.amdhsa_accum_offset 4
		.amdhsa_reserve_vcc 0
		.amdhsa_float_round_mode_32 0
		.amdhsa_float_round_mode_16_64 0
		.amdhsa_float_denorm_mode_32 3
		.amdhsa_float_denorm_mode_16_64 3
		.amdhsa_dx10_clamp 1
		.amdhsa_ieee_mode 1
		.amdhsa_fp16_overflow 0
		.amdhsa_tg_split 0
		.amdhsa_exception_fp_ieee_invalid_op 0
		.amdhsa_exception_fp_denorm_src 0
		.amdhsa_exception_fp_ieee_div_zero 0
		.amdhsa_exception_fp_ieee_overflow 0
		.amdhsa_exception_fp_ieee_underflow 0
		.amdhsa_exception_fp_ieee_inexact 0
		.amdhsa_exception_int_div_zero 0
	.end_amdhsa_kernel
	.section	.text._ZN7rocprim17ROCPRIM_400000_NS6detail17trampoline_kernelINS0_14default_configENS1_35adjacent_difference_config_selectorILb1EfEEZNS1_24adjacent_difference_implIS3_Lb1ELb0EPfS7_N6thrust23THRUST_200600_302600_NS5minusIfEEEE10hipError_tPvRmT2_T3_mT4_P12ihipStream_tbEUlT_E_NS1_11comp_targetILNS1_3genE3ELNS1_11target_archE908ELNS1_3gpuE7ELNS1_3repE0EEENS1_30default_config_static_selectorELNS0_4arch9wavefront6targetE1EEEvT1_,"axG",@progbits,_ZN7rocprim17ROCPRIM_400000_NS6detail17trampoline_kernelINS0_14default_configENS1_35adjacent_difference_config_selectorILb1EfEEZNS1_24adjacent_difference_implIS3_Lb1ELb0EPfS7_N6thrust23THRUST_200600_302600_NS5minusIfEEEE10hipError_tPvRmT2_T3_mT4_P12ihipStream_tbEUlT_E_NS1_11comp_targetILNS1_3genE3ELNS1_11target_archE908ELNS1_3gpuE7ELNS1_3repE0EEENS1_30default_config_static_selectorELNS0_4arch9wavefront6targetE1EEEvT1_,comdat
.Lfunc_end174:
	.size	_ZN7rocprim17ROCPRIM_400000_NS6detail17trampoline_kernelINS0_14default_configENS1_35adjacent_difference_config_selectorILb1EfEEZNS1_24adjacent_difference_implIS3_Lb1ELb0EPfS7_N6thrust23THRUST_200600_302600_NS5minusIfEEEE10hipError_tPvRmT2_T3_mT4_P12ihipStream_tbEUlT_E_NS1_11comp_targetILNS1_3genE3ELNS1_11target_archE908ELNS1_3gpuE7ELNS1_3repE0EEENS1_30default_config_static_selectorELNS0_4arch9wavefront6targetE1EEEvT1_, .Lfunc_end174-_ZN7rocprim17ROCPRIM_400000_NS6detail17trampoline_kernelINS0_14default_configENS1_35adjacent_difference_config_selectorILb1EfEEZNS1_24adjacent_difference_implIS3_Lb1ELb0EPfS7_N6thrust23THRUST_200600_302600_NS5minusIfEEEE10hipError_tPvRmT2_T3_mT4_P12ihipStream_tbEUlT_E_NS1_11comp_targetILNS1_3genE3ELNS1_11target_archE908ELNS1_3gpuE7ELNS1_3repE0EEENS1_30default_config_static_selectorELNS0_4arch9wavefront6targetE1EEEvT1_
                                        ; -- End function
	.section	.AMDGPU.csdata,"",@progbits
; Kernel info:
; codeLenInByte = 0
; NumSgprs: 6
; NumVgprs: 0
; NumAgprs: 0
; TotalNumVgprs: 0
; ScratchSize: 0
; MemoryBound: 0
; FloatMode: 240
; IeeeMode: 1
; LDSByteSize: 0 bytes/workgroup (compile time only)
; SGPRBlocks: 0
; VGPRBlocks: 0
; NumSGPRsForWavesPerEU: 6
; NumVGPRsForWavesPerEU: 1
; AccumOffset: 4
; Occupancy: 8
; WaveLimiterHint : 0
; COMPUTE_PGM_RSRC2:SCRATCH_EN: 0
; COMPUTE_PGM_RSRC2:USER_SGPR: 2
; COMPUTE_PGM_RSRC2:TRAP_HANDLER: 0
; COMPUTE_PGM_RSRC2:TGID_X_EN: 1
; COMPUTE_PGM_RSRC2:TGID_Y_EN: 0
; COMPUTE_PGM_RSRC2:TGID_Z_EN: 0
; COMPUTE_PGM_RSRC2:TIDIG_COMP_CNT: 0
; COMPUTE_PGM_RSRC3_GFX90A:ACCUM_OFFSET: 0
; COMPUTE_PGM_RSRC3_GFX90A:TG_SPLIT: 0
	.section	.text._ZN7rocprim17ROCPRIM_400000_NS6detail17trampoline_kernelINS0_14default_configENS1_35adjacent_difference_config_selectorILb1EfEEZNS1_24adjacent_difference_implIS3_Lb1ELb0EPfS7_N6thrust23THRUST_200600_302600_NS5minusIfEEEE10hipError_tPvRmT2_T3_mT4_P12ihipStream_tbEUlT_E_NS1_11comp_targetILNS1_3genE2ELNS1_11target_archE906ELNS1_3gpuE6ELNS1_3repE0EEENS1_30default_config_static_selectorELNS0_4arch9wavefront6targetE1EEEvT1_,"axG",@progbits,_ZN7rocprim17ROCPRIM_400000_NS6detail17trampoline_kernelINS0_14default_configENS1_35adjacent_difference_config_selectorILb1EfEEZNS1_24adjacent_difference_implIS3_Lb1ELb0EPfS7_N6thrust23THRUST_200600_302600_NS5minusIfEEEE10hipError_tPvRmT2_T3_mT4_P12ihipStream_tbEUlT_E_NS1_11comp_targetILNS1_3genE2ELNS1_11target_archE906ELNS1_3gpuE6ELNS1_3repE0EEENS1_30default_config_static_selectorELNS0_4arch9wavefront6targetE1EEEvT1_,comdat
	.protected	_ZN7rocprim17ROCPRIM_400000_NS6detail17trampoline_kernelINS0_14default_configENS1_35adjacent_difference_config_selectorILb1EfEEZNS1_24adjacent_difference_implIS3_Lb1ELb0EPfS7_N6thrust23THRUST_200600_302600_NS5minusIfEEEE10hipError_tPvRmT2_T3_mT4_P12ihipStream_tbEUlT_E_NS1_11comp_targetILNS1_3genE2ELNS1_11target_archE906ELNS1_3gpuE6ELNS1_3repE0EEENS1_30default_config_static_selectorELNS0_4arch9wavefront6targetE1EEEvT1_ ; -- Begin function _ZN7rocprim17ROCPRIM_400000_NS6detail17trampoline_kernelINS0_14default_configENS1_35adjacent_difference_config_selectorILb1EfEEZNS1_24adjacent_difference_implIS3_Lb1ELb0EPfS7_N6thrust23THRUST_200600_302600_NS5minusIfEEEE10hipError_tPvRmT2_T3_mT4_P12ihipStream_tbEUlT_E_NS1_11comp_targetILNS1_3genE2ELNS1_11target_archE906ELNS1_3gpuE6ELNS1_3repE0EEENS1_30default_config_static_selectorELNS0_4arch9wavefront6targetE1EEEvT1_
	.globl	_ZN7rocprim17ROCPRIM_400000_NS6detail17trampoline_kernelINS0_14default_configENS1_35adjacent_difference_config_selectorILb1EfEEZNS1_24adjacent_difference_implIS3_Lb1ELb0EPfS7_N6thrust23THRUST_200600_302600_NS5minusIfEEEE10hipError_tPvRmT2_T3_mT4_P12ihipStream_tbEUlT_E_NS1_11comp_targetILNS1_3genE2ELNS1_11target_archE906ELNS1_3gpuE6ELNS1_3repE0EEENS1_30default_config_static_selectorELNS0_4arch9wavefront6targetE1EEEvT1_
	.p2align	8
	.type	_ZN7rocprim17ROCPRIM_400000_NS6detail17trampoline_kernelINS0_14default_configENS1_35adjacent_difference_config_selectorILb1EfEEZNS1_24adjacent_difference_implIS3_Lb1ELb0EPfS7_N6thrust23THRUST_200600_302600_NS5minusIfEEEE10hipError_tPvRmT2_T3_mT4_P12ihipStream_tbEUlT_E_NS1_11comp_targetILNS1_3genE2ELNS1_11target_archE906ELNS1_3gpuE6ELNS1_3repE0EEENS1_30default_config_static_selectorELNS0_4arch9wavefront6targetE1EEEvT1_,@function
_ZN7rocprim17ROCPRIM_400000_NS6detail17trampoline_kernelINS0_14default_configENS1_35adjacent_difference_config_selectorILb1EfEEZNS1_24adjacent_difference_implIS3_Lb1ELb0EPfS7_N6thrust23THRUST_200600_302600_NS5minusIfEEEE10hipError_tPvRmT2_T3_mT4_P12ihipStream_tbEUlT_E_NS1_11comp_targetILNS1_3genE2ELNS1_11target_archE906ELNS1_3gpuE6ELNS1_3repE0EEENS1_30default_config_static_selectorELNS0_4arch9wavefront6targetE1EEEvT1_: ; @_ZN7rocprim17ROCPRIM_400000_NS6detail17trampoline_kernelINS0_14default_configENS1_35adjacent_difference_config_selectorILb1EfEEZNS1_24adjacent_difference_implIS3_Lb1ELb0EPfS7_N6thrust23THRUST_200600_302600_NS5minusIfEEEE10hipError_tPvRmT2_T3_mT4_P12ihipStream_tbEUlT_E_NS1_11comp_targetILNS1_3genE2ELNS1_11target_archE906ELNS1_3gpuE6ELNS1_3repE0EEENS1_30default_config_static_selectorELNS0_4arch9wavefront6targetE1EEEvT1_
; %bb.0:
	.section	.rodata,"a",@progbits
	.p2align	6, 0x0
	.amdhsa_kernel _ZN7rocprim17ROCPRIM_400000_NS6detail17trampoline_kernelINS0_14default_configENS1_35adjacent_difference_config_selectorILb1EfEEZNS1_24adjacent_difference_implIS3_Lb1ELb0EPfS7_N6thrust23THRUST_200600_302600_NS5minusIfEEEE10hipError_tPvRmT2_T3_mT4_P12ihipStream_tbEUlT_E_NS1_11comp_targetILNS1_3genE2ELNS1_11target_archE906ELNS1_3gpuE6ELNS1_3repE0EEENS1_30default_config_static_selectorELNS0_4arch9wavefront6targetE1EEEvT1_
		.amdhsa_group_segment_fixed_size 0
		.amdhsa_private_segment_fixed_size 0
		.amdhsa_kernarg_size 56
		.amdhsa_user_sgpr_count 2
		.amdhsa_user_sgpr_dispatch_ptr 0
		.amdhsa_user_sgpr_queue_ptr 0
		.amdhsa_user_sgpr_kernarg_segment_ptr 1
		.amdhsa_user_sgpr_dispatch_id 0
		.amdhsa_user_sgpr_kernarg_preload_length 0
		.amdhsa_user_sgpr_kernarg_preload_offset 0
		.amdhsa_user_sgpr_private_segment_size 0
		.amdhsa_uses_dynamic_stack 0
		.amdhsa_enable_private_segment 0
		.amdhsa_system_sgpr_workgroup_id_x 1
		.amdhsa_system_sgpr_workgroup_id_y 0
		.amdhsa_system_sgpr_workgroup_id_z 0
		.amdhsa_system_sgpr_workgroup_info 0
		.amdhsa_system_vgpr_workitem_id 0
		.amdhsa_next_free_vgpr 1
		.amdhsa_next_free_sgpr 0
		.amdhsa_accum_offset 4
		.amdhsa_reserve_vcc 0
		.amdhsa_float_round_mode_32 0
		.amdhsa_float_round_mode_16_64 0
		.amdhsa_float_denorm_mode_32 3
		.amdhsa_float_denorm_mode_16_64 3
		.amdhsa_dx10_clamp 1
		.amdhsa_ieee_mode 1
		.amdhsa_fp16_overflow 0
		.amdhsa_tg_split 0
		.amdhsa_exception_fp_ieee_invalid_op 0
		.amdhsa_exception_fp_denorm_src 0
		.amdhsa_exception_fp_ieee_div_zero 0
		.amdhsa_exception_fp_ieee_overflow 0
		.amdhsa_exception_fp_ieee_underflow 0
		.amdhsa_exception_fp_ieee_inexact 0
		.amdhsa_exception_int_div_zero 0
	.end_amdhsa_kernel
	.section	.text._ZN7rocprim17ROCPRIM_400000_NS6detail17trampoline_kernelINS0_14default_configENS1_35adjacent_difference_config_selectorILb1EfEEZNS1_24adjacent_difference_implIS3_Lb1ELb0EPfS7_N6thrust23THRUST_200600_302600_NS5minusIfEEEE10hipError_tPvRmT2_T3_mT4_P12ihipStream_tbEUlT_E_NS1_11comp_targetILNS1_3genE2ELNS1_11target_archE906ELNS1_3gpuE6ELNS1_3repE0EEENS1_30default_config_static_selectorELNS0_4arch9wavefront6targetE1EEEvT1_,"axG",@progbits,_ZN7rocprim17ROCPRIM_400000_NS6detail17trampoline_kernelINS0_14default_configENS1_35adjacent_difference_config_selectorILb1EfEEZNS1_24adjacent_difference_implIS3_Lb1ELb0EPfS7_N6thrust23THRUST_200600_302600_NS5minusIfEEEE10hipError_tPvRmT2_T3_mT4_P12ihipStream_tbEUlT_E_NS1_11comp_targetILNS1_3genE2ELNS1_11target_archE906ELNS1_3gpuE6ELNS1_3repE0EEENS1_30default_config_static_selectorELNS0_4arch9wavefront6targetE1EEEvT1_,comdat
.Lfunc_end175:
	.size	_ZN7rocprim17ROCPRIM_400000_NS6detail17trampoline_kernelINS0_14default_configENS1_35adjacent_difference_config_selectorILb1EfEEZNS1_24adjacent_difference_implIS3_Lb1ELb0EPfS7_N6thrust23THRUST_200600_302600_NS5minusIfEEEE10hipError_tPvRmT2_T3_mT4_P12ihipStream_tbEUlT_E_NS1_11comp_targetILNS1_3genE2ELNS1_11target_archE906ELNS1_3gpuE6ELNS1_3repE0EEENS1_30default_config_static_selectorELNS0_4arch9wavefront6targetE1EEEvT1_, .Lfunc_end175-_ZN7rocprim17ROCPRIM_400000_NS6detail17trampoline_kernelINS0_14default_configENS1_35adjacent_difference_config_selectorILb1EfEEZNS1_24adjacent_difference_implIS3_Lb1ELb0EPfS7_N6thrust23THRUST_200600_302600_NS5minusIfEEEE10hipError_tPvRmT2_T3_mT4_P12ihipStream_tbEUlT_E_NS1_11comp_targetILNS1_3genE2ELNS1_11target_archE906ELNS1_3gpuE6ELNS1_3repE0EEENS1_30default_config_static_selectorELNS0_4arch9wavefront6targetE1EEEvT1_
                                        ; -- End function
	.section	.AMDGPU.csdata,"",@progbits
; Kernel info:
; codeLenInByte = 0
; NumSgprs: 6
; NumVgprs: 0
; NumAgprs: 0
; TotalNumVgprs: 0
; ScratchSize: 0
; MemoryBound: 0
; FloatMode: 240
; IeeeMode: 1
; LDSByteSize: 0 bytes/workgroup (compile time only)
; SGPRBlocks: 0
; VGPRBlocks: 0
; NumSGPRsForWavesPerEU: 6
; NumVGPRsForWavesPerEU: 1
; AccumOffset: 4
; Occupancy: 8
; WaveLimiterHint : 0
; COMPUTE_PGM_RSRC2:SCRATCH_EN: 0
; COMPUTE_PGM_RSRC2:USER_SGPR: 2
; COMPUTE_PGM_RSRC2:TRAP_HANDLER: 0
; COMPUTE_PGM_RSRC2:TGID_X_EN: 1
; COMPUTE_PGM_RSRC2:TGID_Y_EN: 0
; COMPUTE_PGM_RSRC2:TGID_Z_EN: 0
; COMPUTE_PGM_RSRC2:TIDIG_COMP_CNT: 0
; COMPUTE_PGM_RSRC3_GFX90A:ACCUM_OFFSET: 0
; COMPUTE_PGM_RSRC3_GFX90A:TG_SPLIT: 0
	.section	.text._ZN7rocprim17ROCPRIM_400000_NS6detail17trampoline_kernelINS0_14default_configENS1_35adjacent_difference_config_selectorILb1EfEEZNS1_24adjacent_difference_implIS3_Lb1ELb0EPfS7_N6thrust23THRUST_200600_302600_NS5minusIfEEEE10hipError_tPvRmT2_T3_mT4_P12ihipStream_tbEUlT_E_NS1_11comp_targetILNS1_3genE9ELNS1_11target_archE1100ELNS1_3gpuE3ELNS1_3repE0EEENS1_30default_config_static_selectorELNS0_4arch9wavefront6targetE1EEEvT1_,"axG",@progbits,_ZN7rocprim17ROCPRIM_400000_NS6detail17trampoline_kernelINS0_14default_configENS1_35adjacent_difference_config_selectorILb1EfEEZNS1_24adjacent_difference_implIS3_Lb1ELb0EPfS7_N6thrust23THRUST_200600_302600_NS5minusIfEEEE10hipError_tPvRmT2_T3_mT4_P12ihipStream_tbEUlT_E_NS1_11comp_targetILNS1_3genE9ELNS1_11target_archE1100ELNS1_3gpuE3ELNS1_3repE0EEENS1_30default_config_static_selectorELNS0_4arch9wavefront6targetE1EEEvT1_,comdat
	.protected	_ZN7rocprim17ROCPRIM_400000_NS6detail17trampoline_kernelINS0_14default_configENS1_35adjacent_difference_config_selectorILb1EfEEZNS1_24adjacent_difference_implIS3_Lb1ELb0EPfS7_N6thrust23THRUST_200600_302600_NS5minusIfEEEE10hipError_tPvRmT2_T3_mT4_P12ihipStream_tbEUlT_E_NS1_11comp_targetILNS1_3genE9ELNS1_11target_archE1100ELNS1_3gpuE3ELNS1_3repE0EEENS1_30default_config_static_selectorELNS0_4arch9wavefront6targetE1EEEvT1_ ; -- Begin function _ZN7rocprim17ROCPRIM_400000_NS6detail17trampoline_kernelINS0_14default_configENS1_35adjacent_difference_config_selectorILb1EfEEZNS1_24adjacent_difference_implIS3_Lb1ELb0EPfS7_N6thrust23THRUST_200600_302600_NS5minusIfEEEE10hipError_tPvRmT2_T3_mT4_P12ihipStream_tbEUlT_E_NS1_11comp_targetILNS1_3genE9ELNS1_11target_archE1100ELNS1_3gpuE3ELNS1_3repE0EEENS1_30default_config_static_selectorELNS0_4arch9wavefront6targetE1EEEvT1_
	.globl	_ZN7rocprim17ROCPRIM_400000_NS6detail17trampoline_kernelINS0_14default_configENS1_35adjacent_difference_config_selectorILb1EfEEZNS1_24adjacent_difference_implIS3_Lb1ELb0EPfS7_N6thrust23THRUST_200600_302600_NS5minusIfEEEE10hipError_tPvRmT2_T3_mT4_P12ihipStream_tbEUlT_E_NS1_11comp_targetILNS1_3genE9ELNS1_11target_archE1100ELNS1_3gpuE3ELNS1_3repE0EEENS1_30default_config_static_selectorELNS0_4arch9wavefront6targetE1EEEvT1_
	.p2align	8
	.type	_ZN7rocprim17ROCPRIM_400000_NS6detail17trampoline_kernelINS0_14default_configENS1_35adjacent_difference_config_selectorILb1EfEEZNS1_24adjacent_difference_implIS3_Lb1ELb0EPfS7_N6thrust23THRUST_200600_302600_NS5minusIfEEEE10hipError_tPvRmT2_T3_mT4_P12ihipStream_tbEUlT_E_NS1_11comp_targetILNS1_3genE9ELNS1_11target_archE1100ELNS1_3gpuE3ELNS1_3repE0EEENS1_30default_config_static_selectorELNS0_4arch9wavefront6targetE1EEEvT1_,@function
_ZN7rocprim17ROCPRIM_400000_NS6detail17trampoline_kernelINS0_14default_configENS1_35adjacent_difference_config_selectorILb1EfEEZNS1_24adjacent_difference_implIS3_Lb1ELb0EPfS7_N6thrust23THRUST_200600_302600_NS5minusIfEEEE10hipError_tPvRmT2_T3_mT4_P12ihipStream_tbEUlT_E_NS1_11comp_targetILNS1_3genE9ELNS1_11target_archE1100ELNS1_3gpuE3ELNS1_3repE0EEENS1_30default_config_static_selectorELNS0_4arch9wavefront6targetE1EEEvT1_: ; @_ZN7rocprim17ROCPRIM_400000_NS6detail17trampoline_kernelINS0_14default_configENS1_35adjacent_difference_config_selectorILb1EfEEZNS1_24adjacent_difference_implIS3_Lb1ELb0EPfS7_N6thrust23THRUST_200600_302600_NS5minusIfEEEE10hipError_tPvRmT2_T3_mT4_P12ihipStream_tbEUlT_E_NS1_11comp_targetILNS1_3genE9ELNS1_11target_archE1100ELNS1_3gpuE3ELNS1_3repE0EEENS1_30default_config_static_selectorELNS0_4arch9wavefront6targetE1EEEvT1_
; %bb.0:
	.section	.rodata,"a",@progbits
	.p2align	6, 0x0
	.amdhsa_kernel _ZN7rocprim17ROCPRIM_400000_NS6detail17trampoline_kernelINS0_14default_configENS1_35adjacent_difference_config_selectorILb1EfEEZNS1_24adjacent_difference_implIS3_Lb1ELb0EPfS7_N6thrust23THRUST_200600_302600_NS5minusIfEEEE10hipError_tPvRmT2_T3_mT4_P12ihipStream_tbEUlT_E_NS1_11comp_targetILNS1_3genE9ELNS1_11target_archE1100ELNS1_3gpuE3ELNS1_3repE0EEENS1_30default_config_static_selectorELNS0_4arch9wavefront6targetE1EEEvT1_
		.amdhsa_group_segment_fixed_size 0
		.amdhsa_private_segment_fixed_size 0
		.amdhsa_kernarg_size 56
		.amdhsa_user_sgpr_count 2
		.amdhsa_user_sgpr_dispatch_ptr 0
		.amdhsa_user_sgpr_queue_ptr 0
		.amdhsa_user_sgpr_kernarg_segment_ptr 1
		.amdhsa_user_sgpr_dispatch_id 0
		.amdhsa_user_sgpr_kernarg_preload_length 0
		.amdhsa_user_sgpr_kernarg_preload_offset 0
		.amdhsa_user_sgpr_private_segment_size 0
		.amdhsa_uses_dynamic_stack 0
		.amdhsa_enable_private_segment 0
		.amdhsa_system_sgpr_workgroup_id_x 1
		.amdhsa_system_sgpr_workgroup_id_y 0
		.amdhsa_system_sgpr_workgroup_id_z 0
		.amdhsa_system_sgpr_workgroup_info 0
		.amdhsa_system_vgpr_workitem_id 0
		.amdhsa_next_free_vgpr 1
		.amdhsa_next_free_sgpr 0
		.amdhsa_accum_offset 4
		.amdhsa_reserve_vcc 0
		.amdhsa_float_round_mode_32 0
		.amdhsa_float_round_mode_16_64 0
		.amdhsa_float_denorm_mode_32 3
		.amdhsa_float_denorm_mode_16_64 3
		.amdhsa_dx10_clamp 1
		.amdhsa_ieee_mode 1
		.amdhsa_fp16_overflow 0
		.amdhsa_tg_split 0
		.amdhsa_exception_fp_ieee_invalid_op 0
		.amdhsa_exception_fp_denorm_src 0
		.amdhsa_exception_fp_ieee_div_zero 0
		.amdhsa_exception_fp_ieee_overflow 0
		.amdhsa_exception_fp_ieee_underflow 0
		.amdhsa_exception_fp_ieee_inexact 0
		.amdhsa_exception_int_div_zero 0
	.end_amdhsa_kernel
	.section	.text._ZN7rocprim17ROCPRIM_400000_NS6detail17trampoline_kernelINS0_14default_configENS1_35adjacent_difference_config_selectorILb1EfEEZNS1_24adjacent_difference_implIS3_Lb1ELb0EPfS7_N6thrust23THRUST_200600_302600_NS5minusIfEEEE10hipError_tPvRmT2_T3_mT4_P12ihipStream_tbEUlT_E_NS1_11comp_targetILNS1_3genE9ELNS1_11target_archE1100ELNS1_3gpuE3ELNS1_3repE0EEENS1_30default_config_static_selectorELNS0_4arch9wavefront6targetE1EEEvT1_,"axG",@progbits,_ZN7rocprim17ROCPRIM_400000_NS6detail17trampoline_kernelINS0_14default_configENS1_35adjacent_difference_config_selectorILb1EfEEZNS1_24adjacent_difference_implIS3_Lb1ELb0EPfS7_N6thrust23THRUST_200600_302600_NS5minusIfEEEE10hipError_tPvRmT2_T3_mT4_P12ihipStream_tbEUlT_E_NS1_11comp_targetILNS1_3genE9ELNS1_11target_archE1100ELNS1_3gpuE3ELNS1_3repE0EEENS1_30default_config_static_selectorELNS0_4arch9wavefront6targetE1EEEvT1_,comdat
.Lfunc_end176:
	.size	_ZN7rocprim17ROCPRIM_400000_NS6detail17trampoline_kernelINS0_14default_configENS1_35adjacent_difference_config_selectorILb1EfEEZNS1_24adjacent_difference_implIS3_Lb1ELb0EPfS7_N6thrust23THRUST_200600_302600_NS5minusIfEEEE10hipError_tPvRmT2_T3_mT4_P12ihipStream_tbEUlT_E_NS1_11comp_targetILNS1_3genE9ELNS1_11target_archE1100ELNS1_3gpuE3ELNS1_3repE0EEENS1_30default_config_static_selectorELNS0_4arch9wavefront6targetE1EEEvT1_, .Lfunc_end176-_ZN7rocprim17ROCPRIM_400000_NS6detail17trampoline_kernelINS0_14default_configENS1_35adjacent_difference_config_selectorILb1EfEEZNS1_24adjacent_difference_implIS3_Lb1ELb0EPfS7_N6thrust23THRUST_200600_302600_NS5minusIfEEEE10hipError_tPvRmT2_T3_mT4_P12ihipStream_tbEUlT_E_NS1_11comp_targetILNS1_3genE9ELNS1_11target_archE1100ELNS1_3gpuE3ELNS1_3repE0EEENS1_30default_config_static_selectorELNS0_4arch9wavefront6targetE1EEEvT1_
                                        ; -- End function
	.section	.AMDGPU.csdata,"",@progbits
; Kernel info:
; codeLenInByte = 0
; NumSgprs: 6
; NumVgprs: 0
; NumAgprs: 0
; TotalNumVgprs: 0
; ScratchSize: 0
; MemoryBound: 0
; FloatMode: 240
; IeeeMode: 1
; LDSByteSize: 0 bytes/workgroup (compile time only)
; SGPRBlocks: 0
; VGPRBlocks: 0
; NumSGPRsForWavesPerEU: 6
; NumVGPRsForWavesPerEU: 1
; AccumOffset: 4
; Occupancy: 8
; WaveLimiterHint : 0
; COMPUTE_PGM_RSRC2:SCRATCH_EN: 0
; COMPUTE_PGM_RSRC2:USER_SGPR: 2
; COMPUTE_PGM_RSRC2:TRAP_HANDLER: 0
; COMPUTE_PGM_RSRC2:TGID_X_EN: 1
; COMPUTE_PGM_RSRC2:TGID_Y_EN: 0
; COMPUTE_PGM_RSRC2:TGID_Z_EN: 0
; COMPUTE_PGM_RSRC2:TIDIG_COMP_CNT: 0
; COMPUTE_PGM_RSRC3_GFX90A:ACCUM_OFFSET: 0
; COMPUTE_PGM_RSRC3_GFX90A:TG_SPLIT: 0
	.section	.text._ZN7rocprim17ROCPRIM_400000_NS6detail17trampoline_kernelINS0_14default_configENS1_35adjacent_difference_config_selectorILb1EfEEZNS1_24adjacent_difference_implIS3_Lb1ELb0EPfS7_N6thrust23THRUST_200600_302600_NS5minusIfEEEE10hipError_tPvRmT2_T3_mT4_P12ihipStream_tbEUlT_E_NS1_11comp_targetILNS1_3genE8ELNS1_11target_archE1030ELNS1_3gpuE2ELNS1_3repE0EEENS1_30default_config_static_selectorELNS0_4arch9wavefront6targetE1EEEvT1_,"axG",@progbits,_ZN7rocprim17ROCPRIM_400000_NS6detail17trampoline_kernelINS0_14default_configENS1_35adjacent_difference_config_selectorILb1EfEEZNS1_24adjacent_difference_implIS3_Lb1ELb0EPfS7_N6thrust23THRUST_200600_302600_NS5minusIfEEEE10hipError_tPvRmT2_T3_mT4_P12ihipStream_tbEUlT_E_NS1_11comp_targetILNS1_3genE8ELNS1_11target_archE1030ELNS1_3gpuE2ELNS1_3repE0EEENS1_30default_config_static_selectorELNS0_4arch9wavefront6targetE1EEEvT1_,comdat
	.protected	_ZN7rocprim17ROCPRIM_400000_NS6detail17trampoline_kernelINS0_14default_configENS1_35adjacent_difference_config_selectorILb1EfEEZNS1_24adjacent_difference_implIS3_Lb1ELb0EPfS7_N6thrust23THRUST_200600_302600_NS5minusIfEEEE10hipError_tPvRmT2_T3_mT4_P12ihipStream_tbEUlT_E_NS1_11comp_targetILNS1_3genE8ELNS1_11target_archE1030ELNS1_3gpuE2ELNS1_3repE0EEENS1_30default_config_static_selectorELNS0_4arch9wavefront6targetE1EEEvT1_ ; -- Begin function _ZN7rocprim17ROCPRIM_400000_NS6detail17trampoline_kernelINS0_14default_configENS1_35adjacent_difference_config_selectorILb1EfEEZNS1_24adjacent_difference_implIS3_Lb1ELb0EPfS7_N6thrust23THRUST_200600_302600_NS5minusIfEEEE10hipError_tPvRmT2_T3_mT4_P12ihipStream_tbEUlT_E_NS1_11comp_targetILNS1_3genE8ELNS1_11target_archE1030ELNS1_3gpuE2ELNS1_3repE0EEENS1_30default_config_static_selectorELNS0_4arch9wavefront6targetE1EEEvT1_
	.globl	_ZN7rocprim17ROCPRIM_400000_NS6detail17trampoline_kernelINS0_14default_configENS1_35adjacent_difference_config_selectorILb1EfEEZNS1_24adjacent_difference_implIS3_Lb1ELb0EPfS7_N6thrust23THRUST_200600_302600_NS5minusIfEEEE10hipError_tPvRmT2_T3_mT4_P12ihipStream_tbEUlT_E_NS1_11comp_targetILNS1_3genE8ELNS1_11target_archE1030ELNS1_3gpuE2ELNS1_3repE0EEENS1_30default_config_static_selectorELNS0_4arch9wavefront6targetE1EEEvT1_
	.p2align	8
	.type	_ZN7rocprim17ROCPRIM_400000_NS6detail17trampoline_kernelINS0_14default_configENS1_35adjacent_difference_config_selectorILb1EfEEZNS1_24adjacent_difference_implIS3_Lb1ELb0EPfS7_N6thrust23THRUST_200600_302600_NS5minusIfEEEE10hipError_tPvRmT2_T3_mT4_P12ihipStream_tbEUlT_E_NS1_11comp_targetILNS1_3genE8ELNS1_11target_archE1030ELNS1_3gpuE2ELNS1_3repE0EEENS1_30default_config_static_selectorELNS0_4arch9wavefront6targetE1EEEvT1_,@function
_ZN7rocprim17ROCPRIM_400000_NS6detail17trampoline_kernelINS0_14default_configENS1_35adjacent_difference_config_selectorILb1EfEEZNS1_24adjacent_difference_implIS3_Lb1ELb0EPfS7_N6thrust23THRUST_200600_302600_NS5minusIfEEEE10hipError_tPvRmT2_T3_mT4_P12ihipStream_tbEUlT_E_NS1_11comp_targetILNS1_3genE8ELNS1_11target_archE1030ELNS1_3gpuE2ELNS1_3repE0EEENS1_30default_config_static_selectorELNS0_4arch9wavefront6targetE1EEEvT1_: ; @_ZN7rocprim17ROCPRIM_400000_NS6detail17trampoline_kernelINS0_14default_configENS1_35adjacent_difference_config_selectorILb1EfEEZNS1_24adjacent_difference_implIS3_Lb1ELb0EPfS7_N6thrust23THRUST_200600_302600_NS5minusIfEEEE10hipError_tPvRmT2_T3_mT4_P12ihipStream_tbEUlT_E_NS1_11comp_targetILNS1_3genE8ELNS1_11target_archE1030ELNS1_3gpuE2ELNS1_3repE0EEENS1_30default_config_static_selectorELNS0_4arch9wavefront6targetE1EEEvT1_
; %bb.0:
	.section	.rodata,"a",@progbits
	.p2align	6, 0x0
	.amdhsa_kernel _ZN7rocprim17ROCPRIM_400000_NS6detail17trampoline_kernelINS0_14default_configENS1_35adjacent_difference_config_selectorILb1EfEEZNS1_24adjacent_difference_implIS3_Lb1ELb0EPfS7_N6thrust23THRUST_200600_302600_NS5minusIfEEEE10hipError_tPvRmT2_T3_mT4_P12ihipStream_tbEUlT_E_NS1_11comp_targetILNS1_3genE8ELNS1_11target_archE1030ELNS1_3gpuE2ELNS1_3repE0EEENS1_30default_config_static_selectorELNS0_4arch9wavefront6targetE1EEEvT1_
		.amdhsa_group_segment_fixed_size 0
		.amdhsa_private_segment_fixed_size 0
		.amdhsa_kernarg_size 56
		.amdhsa_user_sgpr_count 2
		.amdhsa_user_sgpr_dispatch_ptr 0
		.amdhsa_user_sgpr_queue_ptr 0
		.amdhsa_user_sgpr_kernarg_segment_ptr 1
		.amdhsa_user_sgpr_dispatch_id 0
		.amdhsa_user_sgpr_kernarg_preload_length 0
		.amdhsa_user_sgpr_kernarg_preload_offset 0
		.amdhsa_user_sgpr_private_segment_size 0
		.amdhsa_uses_dynamic_stack 0
		.amdhsa_enable_private_segment 0
		.amdhsa_system_sgpr_workgroup_id_x 1
		.amdhsa_system_sgpr_workgroup_id_y 0
		.amdhsa_system_sgpr_workgroup_id_z 0
		.amdhsa_system_sgpr_workgroup_info 0
		.amdhsa_system_vgpr_workitem_id 0
		.amdhsa_next_free_vgpr 1
		.amdhsa_next_free_sgpr 0
		.amdhsa_accum_offset 4
		.amdhsa_reserve_vcc 0
		.amdhsa_float_round_mode_32 0
		.amdhsa_float_round_mode_16_64 0
		.amdhsa_float_denorm_mode_32 3
		.amdhsa_float_denorm_mode_16_64 3
		.amdhsa_dx10_clamp 1
		.amdhsa_ieee_mode 1
		.amdhsa_fp16_overflow 0
		.amdhsa_tg_split 0
		.amdhsa_exception_fp_ieee_invalid_op 0
		.amdhsa_exception_fp_denorm_src 0
		.amdhsa_exception_fp_ieee_div_zero 0
		.amdhsa_exception_fp_ieee_overflow 0
		.amdhsa_exception_fp_ieee_underflow 0
		.amdhsa_exception_fp_ieee_inexact 0
		.amdhsa_exception_int_div_zero 0
	.end_amdhsa_kernel
	.section	.text._ZN7rocprim17ROCPRIM_400000_NS6detail17trampoline_kernelINS0_14default_configENS1_35adjacent_difference_config_selectorILb1EfEEZNS1_24adjacent_difference_implIS3_Lb1ELb0EPfS7_N6thrust23THRUST_200600_302600_NS5minusIfEEEE10hipError_tPvRmT2_T3_mT4_P12ihipStream_tbEUlT_E_NS1_11comp_targetILNS1_3genE8ELNS1_11target_archE1030ELNS1_3gpuE2ELNS1_3repE0EEENS1_30default_config_static_selectorELNS0_4arch9wavefront6targetE1EEEvT1_,"axG",@progbits,_ZN7rocprim17ROCPRIM_400000_NS6detail17trampoline_kernelINS0_14default_configENS1_35adjacent_difference_config_selectorILb1EfEEZNS1_24adjacent_difference_implIS3_Lb1ELb0EPfS7_N6thrust23THRUST_200600_302600_NS5minusIfEEEE10hipError_tPvRmT2_T3_mT4_P12ihipStream_tbEUlT_E_NS1_11comp_targetILNS1_3genE8ELNS1_11target_archE1030ELNS1_3gpuE2ELNS1_3repE0EEENS1_30default_config_static_selectorELNS0_4arch9wavefront6targetE1EEEvT1_,comdat
.Lfunc_end177:
	.size	_ZN7rocprim17ROCPRIM_400000_NS6detail17trampoline_kernelINS0_14default_configENS1_35adjacent_difference_config_selectorILb1EfEEZNS1_24adjacent_difference_implIS3_Lb1ELb0EPfS7_N6thrust23THRUST_200600_302600_NS5minusIfEEEE10hipError_tPvRmT2_T3_mT4_P12ihipStream_tbEUlT_E_NS1_11comp_targetILNS1_3genE8ELNS1_11target_archE1030ELNS1_3gpuE2ELNS1_3repE0EEENS1_30default_config_static_selectorELNS0_4arch9wavefront6targetE1EEEvT1_, .Lfunc_end177-_ZN7rocprim17ROCPRIM_400000_NS6detail17trampoline_kernelINS0_14default_configENS1_35adjacent_difference_config_selectorILb1EfEEZNS1_24adjacent_difference_implIS3_Lb1ELb0EPfS7_N6thrust23THRUST_200600_302600_NS5minusIfEEEE10hipError_tPvRmT2_T3_mT4_P12ihipStream_tbEUlT_E_NS1_11comp_targetILNS1_3genE8ELNS1_11target_archE1030ELNS1_3gpuE2ELNS1_3repE0EEENS1_30default_config_static_selectorELNS0_4arch9wavefront6targetE1EEEvT1_
                                        ; -- End function
	.section	.AMDGPU.csdata,"",@progbits
; Kernel info:
; codeLenInByte = 0
; NumSgprs: 6
; NumVgprs: 0
; NumAgprs: 0
; TotalNumVgprs: 0
; ScratchSize: 0
; MemoryBound: 0
; FloatMode: 240
; IeeeMode: 1
; LDSByteSize: 0 bytes/workgroup (compile time only)
; SGPRBlocks: 0
; VGPRBlocks: 0
; NumSGPRsForWavesPerEU: 6
; NumVGPRsForWavesPerEU: 1
; AccumOffset: 4
; Occupancy: 8
; WaveLimiterHint : 0
; COMPUTE_PGM_RSRC2:SCRATCH_EN: 0
; COMPUTE_PGM_RSRC2:USER_SGPR: 2
; COMPUTE_PGM_RSRC2:TRAP_HANDLER: 0
; COMPUTE_PGM_RSRC2:TGID_X_EN: 1
; COMPUTE_PGM_RSRC2:TGID_Y_EN: 0
; COMPUTE_PGM_RSRC2:TGID_Z_EN: 0
; COMPUTE_PGM_RSRC2:TIDIG_COMP_CNT: 0
; COMPUTE_PGM_RSRC3_GFX90A:ACCUM_OFFSET: 0
; COMPUTE_PGM_RSRC3_GFX90A:TG_SPLIT: 0
	.section	.text._ZN7rocprim17ROCPRIM_400000_NS6detail17trampoline_kernelINS0_14default_configENS1_35adjacent_difference_config_selectorILb0EfEEZNS1_24adjacent_difference_implIS3_Lb0ELb0EPfS7_N6thrust23THRUST_200600_302600_NS4plusIfEEEE10hipError_tPvRmT2_T3_mT4_P12ihipStream_tbEUlT_E_NS1_11comp_targetILNS1_3genE0ELNS1_11target_archE4294967295ELNS1_3gpuE0ELNS1_3repE0EEENS1_30default_config_static_selectorELNS0_4arch9wavefront6targetE1EEEvT1_,"axG",@progbits,_ZN7rocprim17ROCPRIM_400000_NS6detail17trampoline_kernelINS0_14default_configENS1_35adjacent_difference_config_selectorILb0EfEEZNS1_24adjacent_difference_implIS3_Lb0ELb0EPfS7_N6thrust23THRUST_200600_302600_NS4plusIfEEEE10hipError_tPvRmT2_T3_mT4_P12ihipStream_tbEUlT_E_NS1_11comp_targetILNS1_3genE0ELNS1_11target_archE4294967295ELNS1_3gpuE0ELNS1_3repE0EEENS1_30default_config_static_selectorELNS0_4arch9wavefront6targetE1EEEvT1_,comdat
	.protected	_ZN7rocprim17ROCPRIM_400000_NS6detail17trampoline_kernelINS0_14default_configENS1_35adjacent_difference_config_selectorILb0EfEEZNS1_24adjacent_difference_implIS3_Lb0ELb0EPfS7_N6thrust23THRUST_200600_302600_NS4plusIfEEEE10hipError_tPvRmT2_T3_mT4_P12ihipStream_tbEUlT_E_NS1_11comp_targetILNS1_3genE0ELNS1_11target_archE4294967295ELNS1_3gpuE0ELNS1_3repE0EEENS1_30default_config_static_selectorELNS0_4arch9wavefront6targetE1EEEvT1_ ; -- Begin function _ZN7rocprim17ROCPRIM_400000_NS6detail17trampoline_kernelINS0_14default_configENS1_35adjacent_difference_config_selectorILb0EfEEZNS1_24adjacent_difference_implIS3_Lb0ELb0EPfS7_N6thrust23THRUST_200600_302600_NS4plusIfEEEE10hipError_tPvRmT2_T3_mT4_P12ihipStream_tbEUlT_E_NS1_11comp_targetILNS1_3genE0ELNS1_11target_archE4294967295ELNS1_3gpuE0ELNS1_3repE0EEENS1_30default_config_static_selectorELNS0_4arch9wavefront6targetE1EEEvT1_
	.globl	_ZN7rocprim17ROCPRIM_400000_NS6detail17trampoline_kernelINS0_14default_configENS1_35adjacent_difference_config_selectorILb0EfEEZNS1_24adjacent_difference_implIS3_Lb0ELb0EPfS7_N6thrust23THRUST_200600_302600_NS4plusIfEEEE10hipError_tPvRmT2_T3_mT4_P12ihipStream_tbEUlT_E_NS1_11comp_targetILNS1_3genE0ELNS1_11target_archE4294967295ELNS1_3gpuE0ELNS1_3repE0EEENS1_30default_config_static_selectorELNS0_4arch9wavefront6targetE1EEEvT1_
	.p2align	8
	.type	_ZN7rocprim17ROCPRIM_400000_NS6detail17trampoline_kernelINS0_14default_configENS1_35adjacent_difference_config_selectorILb0EfEEZNS1_24adjacent_difference_implIS3_Lb0ELb0EPfS7_N6thrust23THRUST_200600_302600_NS4plusIfEEEE10hipError_tPvRmT2_T3_mT4_P12ihipStream_tbEUlT_E_NS1_11comp_targetILNS1_3genE0ELNS1_11target_archE4294967295ELNS1_3gpuE0ELNS1_3repE0EEENS1_30default_config_static_selectorELNS0_4arch9wavefront6targetE1EEEvT1_,@function
_ZN7rocprim17ROCPRIM_400000_NS6detail17trampoline_kernelINS0_14default_configENS1_35adjacent_difference_config_selectorILb0EfEEZNS1_24adjacent_difference_implIS3_Lb0ELb0EPfS7_N6thrust23THRUST_200600_302600_NS4plusIfEEEE10hipError_tPvRmT2_T3_mT4_P12ihipStream_tbEUlT_E_NS1_11comp_targetILNS1_3genE0ELNS1_11target_archE4294967295ELNS1_3gpuE0ELNS1_3repE0EEENS1_30default_config_static_selectorELNS0_4arch9wavefront6targetE1EEEvT1_: ; @_ZN7rocprim17ROCPRIM_400000_NS6detail17trampoline_kernelINS0_14default_configENS1_35adjacent_difference_config_selectorILb0EfEEZNS1_24adjacent_difference_implIS3_Lb0ELb0EPfS7_N6thrust23THRUST_200600_302600_NS4plusIfEEEE10hipError_tPvRmT2_T3_mT4_P12ihipStream_tbEUlT_E_NS1_11comp_targetILNS1_3genE0ELNS1_11target_archE4294967295ELNS1_3gpuE0ELNS1_3repE0EEENS1_30default_config_static_selectorELNS0_4arch9wavefront6targetE1EEEvT1_
; %bb.0:
	.section	.rodata,"a",@progbits
	.p2align	6, 0x0
	.amdhsa_kernel _ZN7rocprim17ROCPRIM_400000_NS6detail17trampoline_kernelINS0_14default_configENS1_35adjacent_difference_config_selectorILb0EfEEZNS1_24adjacent_difference_implIS3_Lb0ELb0EPfS7_N6thrust23THRUST_200600_302600_NS4plusIfEEEE10hipError_tPvRmT2_T3_mT4_P12ihipStream_tbEUlT_E_NS1_11comp_targetILNS1_3genE0ELNS1_11target_archE4294967295ELNS1_3gpuE0ELNS1_3repE0EEENS1_30default_config_static_selectorELNS0_4arch9wavefront6targetE1EEEvT1_
		.amdhsa_group_segment_fixed_size 0
		.amdhsa_private_segment_fixed_size 0
		.amdhsa_kernarg_size 56
		.amdhsa_user_sgpr_count 2
		.amdhsa_user_sgpr_dispatch_ptr 0
		.amdhsa_user_sgpr_queue_ptr 0
		.amdhsa_user_sgpr_kernarg_segment_ptr 1
		.amdhsa_user_sgpr_dispatch_id 0
		.amdhsa_user_sgpr_kernarg_preload_length 0
		.amdhsa_user_sgpr_kernarg_preload_offset 0
		.amdhsa_user_sgpr_private_segment_size 0
		.amdhsa_uses_dynamic_stack 0
		.amdhsa_enable_private_segment 0
		.amdhsa_system_sgpr_workgroup_id_x 1
		.amdhsa_system_sgpr_workgroup_id_y 0
		.amdhsa_system_sgpr_workgroup_id_z 0
		.amdhsa_system_sgpr_workgroup_info 0
		.amdhsa_system_vgpr_workitem_id 0
		.amdhsa_next_free_vgpr 1
		.amdhsa_next_free_sgpr 0
		.amdhsa_accum_offset 4
		.amdhsa_reserve_vcc 0
		.amdhsa_float_round_mode_32 0
		.amdhsa_float_round_mode_16_64 0
		.amdhsa_float_denorm_mode_32 3
		.amdhsa_float_denorm_mode_16_64 3
		.amdhsa_dx10_clamp 1
		.amdhsa_ieee_mode 1
		.amdhsa_fp16_overflow 0
		.amdhsa_tg_split 0
		.amdhsa_exception_fp_ieee_invalid_op 0
		.amdhsa_exception_fp_denorm_src 0
		.amdhsa_exception_fp_ieee_div_zero 0
		.amdhsa_exception_fp_ieee_overflow 0
		.amdhsa_exception_fp_ieee_underflow 0
		.amdhsa_exception_fp_ieee_inexact 0
		.amdhsa_exception_int_div_zero 0
	.end_amdhsa_kernel
	.section	.text._ZN7rocprim17ROCPRIM_400000_NS6detail17trampoline_kernelINS0_14default_configENS1_35adjacent_difference_config_selectorILb0EfEEZNS1_24adjacent_difference_implIS3_Lb0ELb0EPfS7_N6thrust23THRUST_200600_302600_NS4plusIfEEEE10hipError_tPvRmT2_T3_mT4_P12ihipStream_tbEUlT_E_NS1_11comp_targetILNS1_3genE0ELNS1_11target_archE4294967295ELNS1_3gpuE0ELNS1_3repE0EEENS1_30default_config_static_selectorELNS0_4arch9wavefront6targetE1EEEvT1_,"axG",@progbits,_ZN7rocprim17ROCPRIM_400000_NS6detail17trampoline_kernelINS0_14default_configENS1_35adjacent_difference_config_selectorILb0EfEEZNS1_24adjacent_difference_implIS3_Lb0ELb0EPfS7_N6thrust23THRUST_200600_302600_NS4plusIfEEEE10hipError_tPvRmT2_T3_mT4_P12ihipStream_tbEUlT_E_NS1_11comp_targetILNS1_3genE0ELNS1_11target_archE4294967295ELNS1_3gpuE0ELNS1_3repE0EEENS1_30default_config_static_selectorELNS0_4arch9wavefront6targetE1EEEvT1_,comdat
.Lfunc_end178:
	.size	_ZN7rocprim17ROCPRIM_400000_NS6detail17trampoline_kernelINS0_14default_configENS1_35adjacent_difference_config_selectorILb0EfEEZNS1_24adjacent_difference_implIS3_Lb0ELb0EPfS7_N6thrust23THRUST_200600_302600_NS4plusIfEEEE10hipError_tPvRmT2_T3_mT4_P12ihipStream_tbEUlT_E_NS1_11comp_targetILNS1_3genE0ELNS1_11target_archE4294967295ELNS1_3gpuE0ELNS1_3repE0EEENS1_30default_config_static_selectorELNS0_4arch9wavefront6targetE1EEEvT1_, .Lfunc_end178-_ZN7rocprim17ROCPRIM_400000_NS6detail17trampoline_kernelINS0_14default_configENS1_35adjacent_difference_config_selectorILb0EfEEZNS1_24adjacent_difference_implIS3_Lb0ELb0EPfS7_N6thrust23THRUST_200600_302600_NS4plusIfEEEE10hipError_tPvRmT2_T3_mT4_P12ihipStream_tbEUlT_E_NS1_11comp_targetILNS1_3genE0ELNS1_11target_archE4294967295ELNS1_3gpuE0ELNS1_3repE0EEENS1_30default_config_static_selectorELNS0_4arch9wavefront6targetE1EEEvT1_
                                        ; -- End function
	.section	.AMDGPU.csdata,"",@progbits
; Kernel info:
; codeLenInByte = 0
; NumSgprs: 6
; NumVgprs: 0
; NumAgprs: 0
; TotalNumVgprs: 0
; ScratchSize: 0
; MemoryBound: 0
; FloatMode: 240
; IeeeMode: 1
; LDSByteSize: 0 bytes/workgroup (compile time only)
; SGPRBlocks: 0
; VGPRBlocks: 0
; NumSGPRsForWavesPerEU: 6
; NumVGPRsForWavesPerEU: 1
; AccumOffset: 4
; Occupancy: 8
; WaveLimiterHint : 0
; COMPUTE_PGM_RSRC2:SCRATCH_EN: 0
; COMPUTE_PGM_RSRC2:USER_SGPR: 2
; COMPUTE_PGM_RSRC2:TRAP_HANDLER: 0
; COMPUTE_PGM_RSRC2:TGID_X_EN: 1
; COMPUTE_PGM_RSRC2:TGID_Y_EN: 0
; COMPUTE_PGM_RSRC2:TGID_Z_EN: 0
; COMPUTE_PGM_RSRC2:TIDIG_COMP_CNT: 0
; COMPUTE_PGM_RSRC3_GFX90A:ACCUM_OFFSET: 0
; COMPUTE_PGM_RSRC3_GFX90A:TG_SPLIT: 0
	.section	.text._ZN7rocprim17ROCPRIM_400000_NS6detail17trampoline_kernelINS0_14default_configENS1_35adjacent_difference_config_selectorILb0EfEEZNS1_24adjacent_difference_implIS3_Lb0ELb0EPfS7_N6thrust23THRUST_200600_302600_NS4plusIfEEEE10hipError_tPvRmT2_T3_mT4_P12ihipStream_tbEUlT_E_NS1_11comp_targetILNS1_3genE10ELNS1_11target_archE1201ELNS1_3gpuE5ELNS1_3repE0EEENS1_30default_config_static_selectorELNS0_4arch9wavefront6targetE1EEEvT1_,"axG",@progbits,_ZN7rocprim17ROCPRIM_400000_NS6detail17trampoline_kernelINS0_14default_configENS1_35adjacent_difference_config_selectorILb0EfEEZNS1_24adjacent_difference_implIS3_Lb0ELb0EPfS7_N6thrust23THRUST_200600_302600_NS4plusIfEEEE10hipError_tPvRmT2_T3_mT4_P12ihipStream_tbEUlT_E_NS1_11comp_targetILNS1_3genE10ELNS1_11target_archE1201ELNS1_3gpuE5ELNS1_3repE0EEENS1_30default_config_static_selectorELNS0_4arch9wavefront6targetE1EEEvT1_,comdat
	.protected	_ZN7rocprim17ROCPRIM_400000_NS6detail17trampoline_kernelINS0_14default_configENS1_35adjacent_difference_config_selectorILb0EfEEZNS1_24adjacent_difference_implIS3_Lb0ELb0EPfS7_N6thrust23THRUST_200600_302600_NS4plusIfEEEE10hipError_tPvRmT2_T3_mT4_P12ihipStream_tbEUlT_E_NS1_11comp_targetILNS1_3genE10ELNS1_11target_archE1201ELNS1_3gpuE5ELNS1_3repE0EEENS1_30default_config_static_selectorELNS0_4arch9wavefront6targetE1EEEvT1_ ; -- Begin function _ZN7rocprim17ROCPRIM_400000_NS6detail17trampoline_kernelINS0_14default_configENS1_35adjacent_difference_config_selectorILb0EfEEZNS1_24adjacent_difference_implIS3_Lb0ELb0EPfS7_N6thrust23THRUST_200600_302600_NS4plusIfEEEE10hipError_tPvRmT2_T3_mT4_P12ihipStream_tbEUlT_E_NS1_11comp_targetILNS1_3genE10ELNS1_11target_archE1201ELNS1_3gpuE5ELNS1_3repE0EEENS1_30default_config_static_selectorELNS0_4arch9wavefront6targetE1EEEvT1_
	.globl	_ZN7rocprim17ROCPRIM_400000_NS6detail17trampoline_kernelINS0_14default_configENS1_35adjacent_difference_config_selectorILb0EfEEZNS1_24adjacent_difference_implIS3_Lb0ELb0EPfS7_N6thrust23THRUST_200600_302600_NS4plusIfEEEE10hipError_tPvRmT2_T3_mT4_P12ihipStream_tbEUlT_E_NS1_11comp_targetILNS1_3genE10ELNS1_11target_archE1201ELNS1_3gpuE5ELNS1_3repE0EEENS1_30default_config_static_selectorELNS0_4arch9wavefront6targetE1EEEvT1_
	.p2align	8
	.type	_ZN7rocprim17ROCPRIM_400000_NS6detail17trampoline_kernelINS0_14default_configENS1_35adjacent_difference_config_selectorILb0EfEEZNS1_24adjacent_difference_implIS3_Lb0ELb0EPfS7_N6thrust23THRUST_200600_302600_NS4plusIfEEEE10hipError_tPvRmT2_T3_mT4_P12ihipStream_tbEUlT_E_NS1_11comp_targetILNS1_3genE10ELNS1_11target_archE1201ELNS1_3gpuE5ELNS1_3repE0EEENS1_30default_config_static_selectorELNS0_4arch9wavefront6targetE1EEEvT1_,@function
_ZN7rocprim17ROCPRIM_400000_NS6detail17trampoline_kernelINS0_14default_configENS1_35adjacent_difference_config_selectorILb0EfEEZNS1_24adjacent_difference_implIS3_Lb0ELb0EPfS7_N6thrust23THRUST_200600_302600_NS4plusIfEEEE10hipError_tPvRmT2_T3_mT4_P12ihipStream_tbEUlT_E_NS1_11comp_targetILNS1_3genE10ELNS1_11target_archE1201ELNS1_3gpuE5ELNS1_3repE0EEENS1_30default_config_static_selectorELNS0_4arch9wavefront6targetE1EEEvT1_: ; @_ZN7rocprim17ROCPRIM_400000_NS6detail17trampoline_kernelINS0_14default_configENS1_35adjacent_difference_config_selectorILb0EfEEZNS1_24adjacent_difference_implIS3_Lb0ELb0EPfS7_N6thrust23THRUST_200600_302600_NS4plusIfEEEE10hipError_tPvRmT2_T3_mT4_P12ihipStream_tbEUlT_E_NS1_11comp_targetILNS1_3genE10ELNS1_11target_archE1201ELNS1_3gpuE5ELNS1_3repE0EEENS1_30default_config_static_selectorELNS0_4arch9wavefront6targetE1EEEvT1_
; %bb.0:
	.section	.rodata,"a",@progbits
	.p2align	6, 0x0
	.amdhsa_kernel _ZN7rocprim17ROCPRIM_400000_NS6detail17trampoline_kernelINS0_14default_configENS1_35adjacent_difference_config_selectorILb0EfEEZNS1_24adjacent_difference_implIS3_Lb0ELb0EPfS7_N6thrust23THRUST_200600_302600_NS4plusIfEEEE10hipError_tPvRmT2_T3_mT4_P12ihipStream_tbEUlT_E_NS1_11comp_targetILNS1_3genE10ELNS1_11target_archE1201ELNS1_3gpuE5ELNS1_3repE0EEENS1_30default_config_static_selectorELNS0_4arch9wavefront6targetE1EEEvT1_
		.amdhsa_group_segment_fixed_size 0
		.amdhsa_private_segment_fixed_size 0
		.amdhsa_kernarg_size 56
		.amdhsa_user_sgpr_count 2
		.amdhsa_user_sgpr_dispatch_ptr 0
		.amdhsa_user_sgpr_queue_ptr 0
		.amdhsa_user_sgpr_kernarg_segment_ptr 1
		.amdhsa_user_sgpr_dispatch_id 0
		.amdhsa_user_sgpr_kernarg_preload_length 0
		.amdhsa_user_sgpr_kernarg_preload_offset 0
		.amdhsa_user_sgpr_private_segment_size 0
		.amdhsa_uses_dynamic_stack 0
		.amdhsa_enable_private_segment 0
		.amdhsa_system_sgpr_workgroup_id_x 1
		.amdhsa_system_sgpr_workgroup_id_y 0
		.amdhsa_system_sgpr_workgroup_id_z 0
		.amdhsa_system_sgpr_workgroup_info 0
		.amdhsa_system_vgpr_workitem_id 0
		.amdhsa_next_free_vgpr 1
		.amdhsa_next_free_sgpr 0
		.amdhsa_accum_offset 4
		.amdhsa_reserve_vcc 0
		.amdhsa_float_round_mode_32 0
		.amdhsa_float_round_mode_16_64 0
		.amdhsa_float_denorm_mode_32 3
		.amdhsa_float_denorm_mode_16_64 3
		.amdhsa_dx10_clamp 1
		.amdhsa_ieee_mode 1
		.amdhsa_fp16_overflow 0
		.amdhsa_tg_split 0
		.amdhsa_exception_fp_ieee_invalid_op 0
		.amdhsa_exception_fp_denorm_src 0
		.amdhsa_exception_fp_ieee_div_zero 0
		.amdhsa_exception_fp_ieee_overflow 0
		.amdhsa_exception_fp_ieee_underflow 0
		.amdhsa_exception_fp_ieee_inexact 0
		.amdhsa_exception_int_div_zero 0
	.end_amdhsa_kernel
	.section	.text._ZN7rocprim17ROCPRIM_400000_NS6detail17trampoline_kernelINS0_14default_configENS1_35adjacent_difference_config_selectorILb0EfEEZNS1_24adjacent_difference_implIS3_Lb0ELb0EPfS7_N6thrust23THRUST_200600_302600_NS4plusIfEEEE10hipError_tPvRmT2_T3_mT4_P12ihipStream_tbEUlT_E_NS1_11comp_targetILNS1_3genE10ELNS1_11target_archE1201ELNS1_3gpuE5ELNS1_3repE0EEENS1_30default_config_static_selectorELNS0_4arch9wavefront6targetE1EEEvT1_,"axG",@progbits,_ZN7rocprim17ROCPRIM_400000_NS6detail17trampoline_kernelINS0_14default_configENS1_35adjacent_difference_config_selectorILb0EfEEZNS1_24adjacent_difference_implIS3_Lb0ELb0EPfS7_N6thrust23THRUST_200600_302600_NS4plusIfEEEE10hipError_tPvRmT2_T3_mT4_P12ihipStream_tbEUlT_E_NS1_11comp_targetILNS1_3genE10ELNS1_11target_archE1201ELNS1_3gpuE5ELNS1_3repE0EEENS1_30default_config_static_selectorELNS0_4arch9wavefront6targetE1EEEvT1_,comdat
.Lfunc_end179:
	.size	_ZN7rocprim17ROCPRIM_400000_NS6detail17trampoline_kernelINS0_14default_configENS1_35adjacent_difference_config_selectorILb0EfEEZNS1_24adjacent_difference_implIS3_Lb0ELb0EPfS7_N6thrust23THRUST_200600_302600_NS4plusIfEEEE10hipError_tPvRmT2_T3_mT4_P12ihipStream_tbEUlT_E_NS1_11comp_targetILNS1_3genE10ELNS1_11target_archE1201ELNS1_3gpuE5ELNS1_3repE0EEENS1_30default_config_static_selectorELNS0_4arch9wavefront6targetE1EEEvT1_, .Lfunc_end179-_ZN7rocprim17ROCPRIM_400000_NS6detail17trampoline_kernelINS0_14default_configENS1_35adjacent_difference_config_selectorILb0EfEEZNS1_24adjacent_difference_implIS3_Lb0ELb0EPfS7_N6thrust23THRUST_200600_302600_NS4plusIfEEEE10hipError_tPvRmT2_T3_mT4_P12ihipStream_tbEUlT_E_NS1_11comp_targetILNS1_3genE10ELNS1_11target_archE1201ELNS1_3gpuE5ELNS1_3repE0EEENS1_30default_config_static_selectorELNS0_4arch9wavefront6targetE1EEEvT1_
                                        ; -- End function
	.section	.AMDGPU.csdata,"",@progbits
; Kernel info:
; codeLenInByte = 0
; NumSgprs: 6
; NumVgprs: 0
; NumAgprs: 0
; TotalNumVgprs: 0
; ScratchSize: 0
; MemoryBound: 0
; FloatMode: 240
; IeeeMode: 1
; LDSByteSize: 0 bytes/workgroup (compile time only)
; SGPRBlocks: 0
; VGPRBlocks: 0
; NumSGPRsForWavesPerEU: 6
; NumVGPRsForWavesPerEU: 1
; AccumOffset: 4
; Occupancy: 8
; WaveLimiterHint : 0
; COMPUTE_PGM_RSRC2:SCRATCH_EN: 0
; COMPUTE_PGM_RSRC2:USER_SGPR: 2
; COMPUTE_PGM_RSRC2:TRAP_HANDLER: 0
; COMPUTE_PGM_RSRC2:TGID_X_EN: 1
; COMPUTE_PGM_RSRC2:TGID_Y_EN: 0
; COMPUTE_PGM_RSRC2:TGID_Z_EN: 0
; COMPUTE_PGM_RSRC2:TIDIG_COMP_CNT: 0
; COMPUTE_PGM_RSRC3_GFX90A:ACCUM_OFFSET: 0
; COMPUTE_PGM_RSRC3_GFX90A:TG_SPLIT: 0
	.section	.text._ZN7rocprim17ROCPRIM_400000_NS6detail17trampoline_kernelINS0_14default_configENS1_35adjacent_difference_config_selectorILb0EfEEZNS1_24adjacent_difference_implIS3_Lb0ELb0EPfS7_N6thrust23THRUST_200600_302600_NS4plusIfEEEE10hipError_tPvRmT2_T3_mT4_P12ihipStream_tbEUlT_E_NS1_11comp_targetILNS1_3genE5ELNS1_11target_archE942ELNS1_3gpuE9ELNS1_3repE0EEENS1_30default_config_static_selectorELNS0_4arch9wavefront6targetE1EEEvT1_,"axG",@progbits,_ZN7rocprim17ROCPRIM_400000_NS6detail17trampoline_kernelINS0_14default_configENS1_35adjacent_difference_config_selectorILb0EfEEZNS1_24adjacent_difference_implIS3_Lb0ELb0EPfS7_N6thrust23THRUST_200600_302600_NS4plusIfEEEE10hipError_tPvRmT2_T3_mT4_P12ihipStream_tbEUlT_E_NS1_11comp_targetILNS1_3genE5ELNS1_11target_archE942ELNS1_3gpuE9ELNS1_3repE0EEENS1_30default_config_static_selectorELNS0_4arch9wavefront6targetE1EEEvT1_,comdat
	.protected	_ZN7rocprim17ROCPRIM_400000_NS6detail17trampoline_kernelINS0_14default_configENS1_35adjacent_difference_config_selectorILb0EfEEZNS1_24adjacent_difference_implIS3_Lb0ELb0EPfS7_N6thrust23THRUST_200600_302600_NS4plusIfEEEE10hipError_tPvRmT2_T3_mT4_P12ihipStream_tbEUlT_E_NS1_11comp_targetILNS1_3genE5ELNS1_11target_archE942ELNS1_3gpuE9ELNS1_3repE0EEENS1_30default_config_static_selectorELNS0_4arch9wavefront6targetE1EEEvT1_ ; -- Begin function _ZN7rocprim17ROCPRIM_400000_NS6detail17trampoline_kernelINS0_14default_configENS1_35adjacent_difference_config_selectorILb0EfEEZNS1_24adjacent_difference_implIS3_Lb0ELb0EPfS7_N6thrust23THRUST_200600_302600_NS4plusIfEEEE10hipError_tPvRmT2_T3_mT4_P12ihipStream_tbEUlT_E_NS1_11comp_targetILNS1_3genE5ELNS1_11target_archE942ELNS1_3gpuE9ELNS1_3repE0EEENS1_30default_config_static_selectorELNS0_4arch9wavefront6targetE1EEEvT1_
	.globl	_ZN7rocprim17ROCPRIM_400000_NS6detail17trampoline_kernelINS0_14default_configENS1_35adjacent_difference_config_selectorILb0EfEEZNS1_24adjacent_difference_implIS3_Lb0ELb0EPfS7_N6thrust23THRUST_200600_302600_NS4plusIfEEEE10hipError_tPvRmT2_T3_mT4_P12ihipStream_tbEUlT_E_NS1_11comp_targetILNS1_3genE5ELNS1_11target_archE942ELNS1_3gpuE9ELNS1_3repE0EEENS1_30default_config_static_selectorELNS0_4arch9wavefront6targetE1EEEvT1_
	.p2align	8
	.type	_ZN7rocprim17ROCPRIM_400000_NS6detail17trampoline_kernelINS0_14default_configENS1_35adjacent_difference_config_selectorILb0EfEEZNS1_24adjacent_difference_implIS3_Lb0ELb0EPfS7_N6thrust23THRUST_200600_302600_NS4plusIfEEEE10hipError_tPvRmT2_T3_mT4_P12ihipStream_tbEUlT_E_NS1_11comp_targetILNS1_3genE5ELNS1_11target_archE942ELNS1_3gpuE9ELNS1_3repE0EEENS1_30default_config_static_selectorELNS0_4arch9wavefront6targetE1EEEvT1_,@function
_ZN7rocprim17ROCPRIM_400000_NS6detail17trampoline_kernelINS0_14default_configENS1_35adjacent_difference_config_selectorILb0EfEEZNS1_24adjacent_difference_implIS3_Lb0ELb0EPfS7_N6thrust23THRUST_200600_302600_NS4plusIfEEEE10hipError_tPvRmT2_T3_mT4_P12ihipStream_tbEUlT_E_NS1_11comp_targetILNS1_3genE5ELNS1_11target_archE942ELNS1_3gpuE9ELNS1_3repE0EEENS1_30default_config_static_selectorELNS0_4arch9wavefront6targetE1EEEvT1_: ; @_ZN7rocprim17ROCPRIM_400000_NS6detail17trampoline_kernelINS0_14default_configENS1_35adjacent_difference_config_selectorILb0EfEEZNS1_24adjacent_difference_implIS3_Lb0ELb0EPfS7_N6thrust23THRUST_200600_302600_NS4plusIfEEEE10hipError_tPvRmT2_T3_mT4_P12ihipStream_tbEUlT_E_NS1_11comp_targetILNS1_3genE5ELNS1_11target_archE942ELNS1_3gpuE9ELNS1_3repE0EEENS1_30default_config_static_selectorELNS0_4arch9wavefront6targetE1EEEvT1_
; %bb.0:
	s_load_dwordx8 s[4:11], s[0:1], 0x0
	v_bfrev_b32_e32 v1, 1
	s_movk_i32 s3, 0x7c0
	s_load_dwordx2 s[0:1], s[0:1], 0x30
	s_mul_i32 s12, s2, 0x7c0
	s_waitcnt lgkmcnt(0)
	s_lshl_b64 s[14:15], s[6:7], 2
	s_add_u32 s20, s4, s14
	s_addc_u32 s21, s5, s15
	s_mov_b32 s4, 0x90841c60
	s_add_u32 s4, 0x230, s4
	s_addc_u32 s5, 0, 0
	v_add_co_u32_e32 v1, vcc, s4, v1
	s_cmp_lg_u64 vcc, 0
	v_readfirstlane_b32 s6, v1
	s_addc_u32 s4, s5, 0x210841
	s_mul_hi_u32 s7, s6, 0xfffff840
	s_mul_i32 s5, s4, 0xfffff840
	s_sub_i32 s7, s7, s6
	s_add_i32 s7, s7, s5
	s_mul_i32 s17, s6, 0xfffff840
	s_mul_hi_u32 s5, s6, s7
	s_mul_i32 s16, s6, s7
	s_mul_hi_u32 s6, s6, s17
	s_add_u32 s6, s6, s16
	s_addc_u32 s5, 0, s5
	s_mul_hi_u32 s18, s4, s17
	s_mul_i32 s17, s4, s17
	s_add_u32 s6, s6, s17
	s_mul_hi_u32 s16, s4, s7
	s_addc_u32 s5, s5, s18
	s_addc_u32 s6, s16, 0
	s_mul_i32 s7, s4, s7
	s_add_u32 s5, s5, s7
	s_addc_u32 s6, 0, s6
	v_add_co_u32_e32 v1, vcc, s5, v1
	s_cmp_lg_u64 vcc, 0
	s_addc_u32 s4, s4, s6
	v_readfirstlane_b32 s7, v1
	s_mul_i32 s6, s10, s4
	s_mul_hi_u32 s16, s10, s7
	s_mul_hi_u32 s5, s10, s4
	s_add_u32 s6, s16, s6
	s_addc_u32 s5, 0, s5
	s_mul_hi_u32 s17, s11, s7
	s_mul_i32 s7, s11, s7
	s_add_u32 s6, s6, s7
	s_mul_hi_u32 s16, s11, s4
	s_addc_u32 s5, s5, s17
	s_addc_u32 s6, s16, 0
	s_mul_i32 s4, s11, s4
	s_add_u32 s4, s5, s4
	s_addc_u32 s5, 0, s6
	s_add_u32 s6, s4, 1
	s_addc_u32 s7, s5, 0
	s_add_u32 s16, s4, 2
	s_mul_i32 s18, s5, 0x7c0
	s_mul_hi_u32 s19, s4, 0x7c0
	s_addc_u32 s17, s5, 0
	s_add_i32 s19, s19, s18
	s_mul_i32 s18, s4, 0x7c0
	v_mov_b32_e32 v1, s18
	v_sub_co_u32_e32 v1, vcc, s10, v1
	s_cmp_lg_u64 vcc, 0
	s_subb_u32 s18, s11, s19
	v_subrev_co_u32_e32 v2, vcc, s3, v1
	s_cmp_lg_u64 vcc, 0
	s_subb_u32 s3, s18, 0
	v_readfirstlane_b32 s19, v2
	s_cmpk_gt_u32 s19, 0x7bf
	s_cselect_b32 s19, -1, 0
	s_cmp_eq_u32 s3, 0
	s_cselect_b32 s3, s19, -1
	s_cmp_lg_u32 s3, 0
	s_cselect_b32 s3, s16, s6
	s_cselect_b32 s6, s17, s7
	v_readfirstlane_b32 s7, v1
	s_cmpk_gt_u32 s7, 0x7bf
	s_cselect_b32 s7, -1, 0
	s_cmp_eq_u32 s18, 0
	s_cselect_b32 s7, s7, -1
	s_cmp_lg_u32 s7, 0
	s_cselect_b32 s6, s6, s5
	s_cselect_b32 s3, s3, s4
	s_mul_i32 s4, s6, 0x7c0
	s_mul_hi_u32 s5, s3, 0x7c0
	s_add_i32 s5, s5, s4
	s_mul_i32 s4, s3, 0x7c0
	s_sub_u32 s4, s10, s4
	s_subb_u32 s5, s11, s5
	s_cmp_lg_u64 s[4:5], 0
	s_cselect_b64 s[4:5], -1, 0
	v_cndmask_b32_e64 v1, 0, 1, s[4:5]
	s_mov_b32 s13, 0
	v_readfirstlane_b32 s4, v1
	s_add_u32 s4, s3, s4
	s_addc_u32 s5, s6, 0
	s_add_u32 s2, s0, s2
	s_addc_u32 s3, s1, 0
	s_add_u32 s6, s4, -1
	s_addc_u32 s7, s5, -1
	v_mov_b64_e32 v[2:3], s[6:7]
	v_cmp_ge_u64_e64 s[0:1], s[2:3], v[2:3]
	s_mov_b64 s[16:17], -1
	s_and_b64 vcc, exec, s[0:1]
	s_mul_i32 s11, s6, 0xfffff840
	s_cbranch_vccz .LBB180_64
; %bb.1:
	s_add_i32 s22, s11, s10
	s_lshl_b64 s[16:17], s[12:13], 2
	s_add_u32 s16, s20, s16
	s_addc_u32 s17, s21, s17
	v_cmp_gt_u32_e32 vcc, s22, v0
                                        ; implicit-def: $vgpr1
	s_and_saveexec_b64 s[18:19], vcc
	s_cbranch_execz .LBB180_3
; %bb.2:
	v_lshlrev_b32_e32 v1, 2, v0
	global_load_dword v1, v1, s[16:17]
.LBB180_3:
	s_or_b64 exec, exec, s[18:19]
	v_or_b32_e32 v2, 64, v0
	v_cmp_gt_u32_e32 vcc, s22, v2
                                        ; implicit-def: $vgpr2
	s_and_saveexec_b64 s[18:19], vcc
	s_cbranch_execz .LBB180_5
; %bb.4:
	v_lshlrev_b32_e32 v2, 2, v0
	global_load_dword v2, v2, s[16:17] offset:256
.LBB180_5:
	s_or_b64 exec, exec, s[18:19]
	v_or_b32_e32 v3, 0x80, v0
	v_cmp_gt_u32_e32 vcc, s22, v3
                                        ; implicit-def: $vgpr3
	s_and_saveexec_b64 s[18:19], vcc
	s_cbranch_execz .LBB180_7
; %bb.6:
	v_lshlrev_b32_e32 v3, 2, v0
	global_load_dword v3, v3, s[16:17] offset:512
.LBB180_7:
	s_or_b64 exec, exec, s[18:19]
	v_or_b32_e32 v4, 0xc0, v0
	v_cmp_gt_u32_e32 vcc, s22, v4
                                        ; implicit-def: $vgpr4
	s_and_saveexec_b64 s[18:19], vcc
	s_cbranch_execz .LBB180_9
; %bb.8:
	v_lshlrev_b32_e32 v4, 2, v0
	global_load_dword v4, v4, s[16:17] offset:768
.LBB180_9:
	s_or_b64 exec, exec, s[18:19]
	v_or_b32_e32 v5, 0x100, v0
	v_cmp_gt_u32_e32 vcc, s22, v5
                                        ; implicit-def: $vgpr5
	s_and_saveexec_b64 s[18:19], vcc
	s_cbranch_execz .LBB180_11
; %bb.10:
	v_lshlrev_b32_e32 v5, 2, v0
	global_load_dword v5, v5, s[16:17] offset:1024
.LBB180_11:
	s_or_b64 exec, exec, s[18:19]
	v_or_b32_e32 v6, 0x140, v0
	v_cmp_gt_u32_e32 vcc, s22, v6
                                        ; implicit-def: $vgpr6
	s_and_saveexec_b64 s[18:19], vcc
	s_cbranch_execz .LBB180_13
; %bb.12:
	v_lshlrev_b32_e32 v6, 2, v0
	global_load_dword v6, v6, s[16:17] offset:1280
.LBB180_13:
	s_or_b64 exec, exec, s[18:19]
	v_or_b32_e32 v7, 0x180, v0
	v_cmp_gt_u32_e32 vcc, s22, v7
                                        ; implicit-def: $vgpr7
	s_and_saveexec_b64 s[18:19], vcc
	s_cbranch_execz .LBB180_15
; %bb.14:
	v_lshlrev_b32_e32 v7, 2, v0
	global_load_dword v7, v7, s[16:17] offset:1536
.LBB180_15:
	s_or_b64 exec, exec, s[18:19]
	v_or_b32_e32 v8, 0x1c0, v0
	v_cmp_gt_u32_e32 vcc, s22, v8
                                        ; implicit-def: $vgpr8
	s_and_saveexec_b64 s[18:19], vcc
	s_cbranch_execz .LBB180_17
; %bb.16:
	v_lshlrev_b32_e32 v8, 2, v0
	global_load_dword v8, v8, s[16:17] offset:1792
.LBB180_17:
	s_or_b64 exec, exec, s[18:19]
	v_or_b32_e32 v9, 0x200, v0
	v_cmp_gt_u32_e32 vcc, s22, v9
                                        ; implicit-def: $vgpr9
	s_and_saveexec_b64 s[18:19], vcc
	s_cbranch_execz .LBB180_19
; %bb.18:
	v_lshlrev_b32_e32 v9, 2, v0
	global_load_dword v9, v9, s[16:17] offset:2048
.LBB180_19:
	s_or_b64 exec, exec, s[18:19]
	v_or_b32_e32 v10, 0x240, v0
	v_cmp_gt_u32_e32 vcc, s22, v10
                                        ; implicit-def: $vgpr10
	s_and_saveexec_b64 s[18:19], vcc
	s_cbranch_execz .LBB180_21
; %bb.20:
	v_lshlrev_b32_e32 v10, 2, v0
	global_load_dword v10, v10, s[16:17] offset:2304
.LBB180_21:
	s_or_b64 exec, exec, s[18:19]
	v_or_b32_e32 v11, 0x280, v0
	v_cmp_gt_u32_e32 vcc, s22, v11
                                        ; implicit-def: $vgpr11
	s_and_saveexec_b64 s[18:19], vcc
	s_cbranch_execz .LBB180_23
; %bb.22:
	v_lshlrev_b32_e32 v11, 2, v0
	global_load_dword v11, v11, s[16:17] offset:2560
.LBB180_23:
	s_or_b64 exec, exec, s[18:19]
	v_or_b32_e32 v12, 0x2c0, v0
	v_cmp_gt_u32_e32 vcc, s22, v12
                                        ; implicit-def: $vgpr12
	s_and_saveexec_b64 s[18:19], vcc
	s_cbranch_execz .LBB180_25
; %bb.24:
	v_lshlrev_b32_e32 v12, 2, v0
	global_load_dword v12, v12, s[16:17] offset:2816
.LBB180_25:
	s_or_b64 exec, exec, s[18:19]
	v_or_b32_e32 v13, 0x300, v0
	v_cmp_gt_u32_e32 vcc, s22, v13
                                        ; implicit-def: $vgpr13
	s_and_saveexec_b64 s[18:19], vcc
	s_cbranch_execz .LBB180_27
; %bb.26:
	v_lshlrev_b32_e32 v13, 2, v0
	global_load_dword v13, v13, s[16:17] offset:3072
.LBB180_27:
	s_or_b64 exec, exec, s[18:19]
	v_or_b32_e32 v14, 0x340, v0
	v_cmp_gt_u32_e32 vcc, s22, v14
                                        ; implicit-def: $vgpr14
	s_and_saveexec_b64 s[18:19], vcc
	s_cbranch_execz .LBB180_29
; %bb.28:
	v_lshlrev_b32_e32 v14, 2, v0
	global_load_dword v14, v14, s[16:17] offset:3328
.LBB180_29:
	s_or_b64 exec, exec, s[18:19]
	v_or_b32_e32 v15, 0x380, v0
	v_cmp_gt_u32_e32 vcc, s22, v15
                                        ; implicit-def: $vgpr15
	s_and_saveexec_b64 s[18:19], vcc
	s_cbranch_execz .LBB180_31
; %bb.30:
	v_lshlrev_b32_e32 v15, 2, v0
	global_load_dword v15, v15, s[16:17] offset:3584
.LBB180_31:
	s_or_b64 exec, exec, s[18:19]
	v_or_b32_e32 v16, 0x3c0, v0
	v_cmp_gt_u32_e32 vcc, s22, v16
                                        ; implicit-def: $vgpr16
	s_and_saveexec_b64 s[18:19], vcc
	s_cbranch_execz .LBB180_33
; %bb.32:
	v_lshlrev_b32_e32 v16, 2, v0
	global_load_dword v16, v16, s[16:17] offset:3840
.LBB180_33:
	s_or_b64 exec, exec, s[18:19]
	v_or_b32_e32 v18, 0x400, v0
	v_cmp_gt_u32_e32 vcc, s22, v18
                                        ; implicit-def: $vgpr17
	s_and_saveexec_b64 s[18:19], vcc
	s_cbranch_execz .LBB180_35
; %bb.34:
	v_lshlrev_b32_e32 v17, 2, v18
	global_load_dword v17, v17, s[16:17]
.LBB180_35:
	s_or_b64 exec, exec, s[18:19]
	v_or_b32_e32 v19, 0x440, v0
	v_cmp_gt_u32_e32 vcc, s22, v19
                                        ; implicit-def: $vgpr18
	s_and_saveexec_b64 s[18:19], vcc
	s_cbranch_execz .LBB180_37
; %bb.36:
	v_lshlrev_b32_e32 v18, 2, v19
	global_load_dword v18, v18, s[16:17]
.LBB180_37:
	s_or_b64 exec, exec, s[18:19]
	v_or_b32_e32 v20, 0x480, v0
	v_cmp_gt_u32_e32 vcc, s22, v20
                                        ; implicit-def: $vgpr19
	s_and_saveexec_b64 s[18:19], vcc
	s_cbranch_execz .LBB180_39
; %bb.38:
	v_lshlrev_b32_e32 v19, 2, v20
	global_load_dword v19, v19, s[16:17]
.LBB180_39:
	s_or_b64 exec, exec, s[18:19]
	v_or_b32_e32 v21, 0x4c0, v0
	v_cmp_gt_u32_e32 vcc, s22, v21
                                        ; implicit-def: $vgpr20
	s_and_saveexec_b64 s[18:19], vcc
	s_cbranch_execz .LBB180_41
; %bb.40:
	v_lshlrev_b32_e32 v20, 2, v21
	global_load_dword v20, v20, s[16:17]
.LBB180_41:
	s_or_b64 exec, exec, s[18:19]
	v_or_b32_e32 v22, 0x500, v0
	v_cmp_gt_u32_e32 vcc, s22, v22
                                        ; implicit-def: $vgpr21
	s_and_saveexec_b64 s[18:19], vcc
	s_cbranch_execz .LBB180_43
; %bb.42:
	v_lshlrev_b32_e32 v21, 2, v22
	global_load_dword v21, v21, s[16:17]
.LBB180_43:
	s_or_b64 exec, exec, s[18:19]
	v_or_b32_e32 v23, 0x540, v0
	v_cmp_gt_u32_e32 vcc, s22, v23
                                        ; implicit-def: $vgpr22
	s_and_saveexec_b64 s[18:19], vcc
	s_cbranch_execz .LBB180_45
; %bb.44:
	v_lshlrev_b32_e32 v22, 2, v23
	global_load_dword v22, v22, s[16:17]
.LBB180_45:
	s_or_b64 exec, exec, s[18:19]
	v_or_b32_e32 v24, 0x580, v0
	v_cmp_gt_u32_e32 vcc, s22, v24
                                        ; implicit-def: $vgpr23
	s_and_saveexec_b64 s[18:19], vcc
	s_cbranch_execz .LBB180_47
; %bb.46:
	v_lshlrev_b32_e32 v23, 2, v24
	global_load_dword v23, v23, s[16:17]
.LBB180_47:
	s_or_b64 exec, exec, s[18:19]
	v_or_b32_e32 v25, 0x5c0, v0
	v_cmp_gt_u32_e32 vcc, s22, v25
                                        ; implicit-def: $vgpr24
	s_and_saveexec_b64 s[18:19], vcc
	s_cbranch_execz .LBB180_49
; %bb.48:
	v_lshlrev_b32_e32 v24, 2, v25
	global_load_dword v24, v24, s[16:17]
.LBB180_49:
	s_or_b64 exec, exec, s[18:19]
	v_or_b32_e32 v26, 0x600, v0
	v_cmp_gt_u32_e32 vcc, s22, v26
                                        ; implicit-def: $vgpr25
	s_and_saveexec_b64 s[18:19], vcc
	s_cbranch_execz .LBB180_51
; %bb.50:
	v_lshlrev_b32_e32 v25, 2, v26
	global_load_dword v25, v25, s[16:17]
.LBB180_51:
	s_or_b64 exec, exec, s[18:19]
	v_or_b32_e32 v27, 0x640, v0
	v_cmp_gt_u32_e32 vcc, s22, v27
                                        ; implicit-def: $vgpr26
	s_and_saveexec_b64 s[18:19], vcc
	s_cbranch_execz .LBB180_53
; %bb.52:
	v_lshlrev_b32_e32 v26, 2, v27
	global_load_dword v26, v26, s[16:17]
.LBB180_53:
	s_or_b64 exec, exec, s[18:19]
	v_or_b32_e32 v28, 0x680, v0
	v_cmp_gt_u32_e32 vcc, s22, v28
                                        ; implicit-def: $vgpr27
	s_and_saveexec_b64 s[18:19], vcc
	s_cbranch_execz .LBB180_55
; %bb.54:
	v_lshlrev_b32_e32 v27, 2, v28
	global_load_dword v27, v27, s[16:17]
.LBB180_55:
	s_or_b64 exec, exec, s[18:19]
	v_or_b32_e32 v29, 0x6c0, v0
	v_cmp_gt_u32_e32 vcc, s22, v29
                                        ; implicit-def: $vgpr28
	s_and_saveexec_b64 s[18:19], vcc
	s_cbranch_execz .LBB180_57
; %bb.56:
	v_lshlrev_b32_e32 v28, 2, v29
	global_load_dword v28, v28, s[16:17]
.LBB180_57:
	s_or_b64 exec, exec, s[18:19]
	v_or_b32_e32 v30, 0x700, v0
	v_cmp_gt_u32_e32 vcc, s22, v30
                                        ; implicit-def: $vgpr29
	s_and_saveexec_b64 s[18:19], vcc
	s_cbranch_execz .LBB180_59
; %bb.58:
	v_lshlrev_b32_e32 v29, 2, v30
	global_load_dword v29, v29, s[16:17]
.LBB180_59:
	s_or_b64 exec, exec, s[18:19]
	v_or_b32_e32 v31, 0x740, v0
	v_cmp_gt_u32_e32 vcc, s22, v31
                                        ; implicit-def: $vgpr30
	s_and_saveexec_b64 s[18:19], vcc
	s_cbranch_execz .LBB180_61
; %bb.60:
	v_lshlrev_b32_e32 v30, 2, v31
	global_load_dword v30, v30, s[16:17]
.LBB180_61:
	s_or_b64 exec, exec, s[18:19]
	v_or_b32_e32 v32, 0x780, v0
	v_cmp_gt_u32_e32 vcc, s22, v32
                                        ; implicit-def: $vgpr31
	s_and_saveexec_b64 s[18:19], vcc
	s_cbranch_execz .LBB180_63
; %bb.62:
	v_lshlrev_b32_e32 v31, 2, v32
	global_load_dword v31, v31, s[16:17]
.LBB180_63:
	s_or_b64 exec, exec, s[18:19]
	v_lshlrev_b32_e32 v32, 2, v0
	s_mov_b64 s[16:17], 0
	s_waitcnt vmcnt(0)
	ds_write2st64_b32 v32, v1, v2 offset1:1
	ds_write2st64_b32 v32, v3, v4 offset0:2 offset1:3
	ds_write2st64_b32 v32, v5, v6 offset0:4 offset1:5
	;; [unrolled: 1-line block ×14, first 2 shown]
	ds_write_b32 v32, v31 offset:7680
	s_waitcnt lgkmcnt(0)
	; wave barrier
.LBB180_64:
	s_and_b64 vcc, exec, s[16:17]
	v_lshlrev_b32_e32 v2, 2, v0
	s_cbranch_vccz .LBB180_66
; %bb.65:
	s_lshl_b64 s[16:17], s[12:13], 2
	s_add_u32 s16, s20, s16
	s_addc_u32 s17, s21, s17
	v_mov_b32_e32 v3, 0
	v_lshl_add_u64 v[4:5], s[16:17], 0, v[2:3]
	s_movk_i32 s13, 0x1000
	v_add_co_u32_e32 v4, vcc, s13, v4
	global_load_dword v1, v2, s[16:17]
	global_load_dword v3, v2, s[16:17] offset:256
	global_load_dword v6, v2, s[16:17] offset:512
	global_load_dword v7, v2, s[16:17] offset:768
	global_load_dword v8, v2, s[16:17] offset:1024
	global_load_dword v9, v2, s[16:17] offset:1280
	global_load_dword v10, v2, s[16:17] offset:1536
	global_load_dword v11, v2, s[16:17] offset:1792
	global_load_dword v12, v2, s[16:17] offset:2048
	global_load_dword v13, v2, s[16:17] offset:2304
	global_load_dword v14, v2, s[16:17] offset:2560
	global_load_dword v15, v2, s[16:17] offset:2816
	global_load_dword v16, v2, s[16:17] offset:3072
	global_load_dword v17, v2, s[16:17] offset:3328
	global_load_dword v18, v2, s[16:17] offset:3584
	global_load_dword v19, v2, s[16:17] offset:3840
	v_addc_co_u32_e32 v5, vcc, 0, v5, vcc
	global_load_dword v20, v[4:5], off
	global_load_dword v21, v[4:5], off offset:256
	global_load_dword v22, v[4:5], off offset:512
	;; [unrolled: 1-line block ×14, first 2 shown]
	s_waitcnt vmcnt(29)
	ds_write2st64_b32 v2, v1, v3 offset1:1
	s_waitcnt vmcnt(27)
	ds_write2st64_b32 v2, v6, v7 offset0:2 offset1:3
	s_waitcnt vmcnt(25)
	ds_write2st64_b32 v2, v8, v9 offset0:4 offset1:5
	;; [unrolled: 2-line block ×14, first 2 shown]
	s_waitcnt vmcnt(0)
	ds_write_b32 v2, v34 offset:7680
	s_waitcnt lgkmcnt(0)
	; wave barrier
.LBB180_66:
	v_mul_u32_u24_e32 v1, 31, v0
	v_lshlrev_b32_e32 v1, 2, v1
	s_waitcnt lgkmcnt(0)
	ds_read_b32 v3, v1 offset:120
	ds_read2_b32 v[60:61], v1 offset0:28 offset1:29
	ds_read2_b32 v[58:59], v1 offset0:26 offset1:27
	ds_read2_b32 v[32:33], v1 offset1:25
	ds_read2_b32 v[34:35], v1 offset0:1 offset1:2
	ds_read2_b32 v[36:37], v1 offset0:3 offset1:4
	;; [unrolled: 1-line block ×12, first 2 shown]
	s_cmp_eq_u64 s[2:3], 0
	s_waitcnt lgkmcnt(0)
	; wave barrier
	s_waitcnt lgkmcnt(0)
	s_cbranch_scc1 .LBB180_71
; %bb.67:
	s_mov_b32 s13, 0
	s_lshl_b64 s[16:17], s[12:13], 2
	s_add_u32 s13, s20, s16
	s_addc_u32 s17, s21, s17
	s_add_u32 s16, s13, -4
	s_addc_u32 s17, s17, -1
	s_load_dword s13, s[16:17], 0x0
	s_cmp_eq_u64 s[2:3], s[6:7]
	s_cbranch_scc1 .LBB180_72
; %bb.68:
	v_cmp_ne_u32_e32 vcc, 0, v0
	s_waitcnt lgkmcnt(0)
	v_mov_b32_e32 v62, s13
	ds_write_b32 v2, v3
	s_waitcnt lgkmcnt(0)
	; wave barrier
	s_waitcnt lgkmcnt(0)
	s_and_saveexec_b64 s[6:7], vcc
	s_cbranch_execz .LBB180_70
; %bb.69:
	v_add_u32_e32 v1, -4, v2
	ds_read_b32 v62, v1
.LBB180_70:
	s_or_b64 exec, exec, s[6:7]
	v_mov_b32_e32 v4, v59
	v_mov_b32_e32 v5, v60
	;; [unrolled: 1-line block ×28, first 2 shown]
	v_add_f32_e32 v1, v3, v61
	v_pk_add_f32 v[4:5], v[60:61], v[4:5]
	v_pk_add_f32 v[6:7], v[58:59], v[6:7]
	;; [unrolled: 1-line block ×14, first 2 shown]
	v_add_f32_e32 v65, v32, v34
	s_waitcnt lgkmcnt(0)
	v_add_f32_e32 v64, v32, v62
	s_branch .LBB180_76
.LBB180_71:
                                        ; implicit-def: $vgpr65
                                        ; implicit-def: $vgpr64
                                        ; implicit-def: $vgpr4_vgpr5
                                        ; implicit-def: $vgpr6_vgpr7
                                        ; implicit-def: $vgpr8_vgpr9
                                        ; implicit-def: $vgpr10_vgpr11
                                        ; implicit-def: $vgpr12_vgpr13
                                        ; implicit-def: $vgpr14_vgpr15
                                        ; implicit-def: $vgpr16_vgpr17
                                        ; implicit-def: $vgpr18_vgpr19
                                        ; implicit-def: $vgpr20_vgpr21
                                        ; implicit-def: $vgpr22_vgpr23
                                        ; implicit-def: $vgpr24_vgpr25
                                        ; implicit-def: $vgpr26_vgpr27
                                        ; implicit-def: $vgpr28_vgpr29
                                        ; implicit-def: $vgpr30_vgpr31
                                        ; implicit-def: $vgpr1
	s_branch .LBB180_77
.LBB180_72:
                                        ; implicit-def: $vgpr65
                                        ; implicit-def: $vgpr64
                                        ; implicit-def: $vgpr4_vgpr5
                                        ; implicit-def: $vgpr6_vgpr7
                                        ; implicit-def: $vgpr8_vgpr9
                                        ; implicit-def: $vgpr10_vgpr11
                                        ; implicit-def: $vgpr12_vgpr13
                                        ; implicit-def: $vgpr14_vgpr15
                                        ; implicit-def: $vgpr16_vgpr17
                                        ; implicit-def: $vgpr18_vgpr19
                                        ; implicit-def: $vgpr20_vgpr21
                                        ; implicit-def: $vgpr22_vgpr23
                                        ; implicit-def: $vgpr24_vgpr25
                                        ; implicit-def: $vgpr26_vgpr27
                                        ; implicit-def: $vgpr28_vgpr29
                                        ; implicit-def: $vgpr30_vgpr31
                                        ; implicit-def: $vgpr1
	s_cbranch_execz .LBB180_76
; %bb.73:
	v_mul_u32_u24_e32 v62, 31, v0
	v_cmp_ne_u32_e32 vcc, 0, v0
	s_waitcnt lgkmcnt(0)
	v_mov_b32_e32 v63, s13
	ds_write_b32 v2, v3
	s_waitcnt lgkmcnt(0)
	; wave barrier
	s_waitcnt lgkmcnt(0)
	s_and_saveexec_b64 s[6:7], vcc
	s_cbranch_execz .LBB180_75
; %bb.74:
	v_add_u32_e32 v1, -4, v2
	ds_read_b32 v63, v1
.LBB180_75:
	s_or_b64 exec, exec, s[6:7]
	s_mulk_i32 s2, 0xf840
	s_add_i32 s2, s2, s10
	v_add_u32_e32 v1, 30, v62
	v_add_f32_e32 v4, v3, v61
	v_cmp_gt_u32_e32 vcc, s2, v1
	v_add_u32_e32 v6, 29, v62
	v_mov_b32_e32 v5, v60
	v_cndmask_b32_e32 v1, v3, v4, vcc
	v_mov_b32_e32 v4, v59
	v_add_u32_e32 v7, 28, v62
	v_pk_add_f32 v[4:5], v[60:61], v[4:5]
	v_cmp_gt_u32_e32 vcc, s2, v6
	v_mov_b32_e32 v6, v33
	v_add_u32_e32 v8, 27, v62
	v_cndmask_b32_e32 v5, v61, v5, vcc
	v_cmp_gt_u32_e32 vcc, s2, v7
	v_mov_b32_e32 v7, v58
	v_pk_add_f32 v[6:7], v[58:59], v[6:7]
	v_cndmask_b32_e32 v4, v60, v4, vcc
	v_add_u32_e32 v9, 26, v62
	v_cmp_gt_u32_e32 vcc, s2, v8
	v_mov_b32_e32 v8, v57
	v_add_u32_e32 v10, 25, v62
	v_cndmask_b32_e32 v7, v59, v7, vcc
	v_cmp_gt_u32_e32 vcc, s2, v9
	v_mov_b32_e32 v9, v33
	v_pk_add_f32 v[8:9], v[56:57], v[8:9]
	v_cndmask_b32_e32 v6, v58, v6, vcc
	v_add_u32_e32 v11, 24, v62
	;; [unrolled: 9-line block ×13, first 2 shown]
	v_cmp_gt_u32_e32 vcc, s2, v64
	v_add_u32_e32 v64, 1, v62
	s_waitcnt lgkmcnt(0)
	v_add_f32_e32 v63, v32, v63
	v_cndmask_b32_e32 v31, v36, v31, vcc
	v_cmp_gt_u32_e32 vcc, s2, v65
	v_add_f32_e32 v65, v32, v34
	s_nop 0
	v_cndmask_b32_e32 v30, v35, v30, vcc
	v_cmp_gt_u32_e32 vcc, s2, v64
	s_nop 1
	v_cndmask_b32_e32 v65, v34, v65, vcc
	v_cmp_gt_u32_e32 vcc, s2, v62
	s_nop 1
	v_cndmask_b32_e32 v64, v32, v63, vcc
.LBB180_76:
	s_cbranch_execnz .LBB180_85
.LBB180_77:
	s_cmp_eq_u64 s[4:5], 1
	v_cmp_ne_u32_e32 vcc, 0, v0
	s_cbranch_scc1 .LBB180_81
; %bb.78:
	v_mov_b32_e32 v4, v59
	v_mov_b32_e32 v5, v60
	;; [unrolled: 1-line block ×29, first 2 shown]
	ds_write_b32 v2, v3
	s_waitcnt lgkmcnt(0)
	; wave barrier
	s_waitcnt lgkmcnt(0)
	s_and_saveexec_b64 s[2:3], vcc
	s_cbranch_execz .LBB180_80
; %bb.79:
	v_add_u32_e32 v1, -4, v2
	ds_read_b32 v1, v1
	s_waitcnt lgkmcnt(0)
	v_add_f32_e32 v64, v32, v1
.LBB180_80:
	s_or_b64 exec, exec, s[2:3]
	v_add_f32_e32 v1, v3, v61
	v_pk_add_f32 v[4:5], v[60:61], v[4:5]
	v_pk_add_f32 v[6:7], v[58:59], v[6:7]
	;; [unrolled: 1-line block ×14, first 2 shown]
	v_add_f32_e32 v65, v32, v34
	s_cbranch_execz .LBB180_82
	s_branch .LBB180_85
.LBB180_81:
                                        ; implicit-def: $vgpr65
                                        ; implicit-def: $vgpr64
                                        ; implicit-def: $vgpr4_vgpr5
                                        ; implicit-def: $vgpr6_vgpr7
                                        ; implicit-def: $vgpr8_vgpr9
                                        ; implicit-def: $vgpr10_vgpr11
                                        ; implicit-def: $vgpr12_vgpr13
                                        ; implicit-def: $vgpr14_vgpr15
                                        ; implicit-def: $vgpr16_vgpr17
                                        ; implicit-def: $vgpr18_vgpr19
                                        ; implicit-def: $vgpr20_vgpr21
                                        ; implicit-def: $vgpr22_vgpr23
                                        ; implicit-def: $vgpr24_vgpr25
                                        ; implicit-def: $vgpr26_vgpr27
                                        ; implicit-def: $vgpr28_vgpr29
                                        ; implicit-def: $vgpr30_vgpr31
                                        ; implicit-def: $vgpr1
.LBB180_82:
	v_mad_u32_u24 v6, v0, 31, 29
	v_mov_b32_e32 v4, v59
	v_mov_b32_e32 v5, v60
	v_mad_u32_u24 v7, v0, 31, 28
	v_pk_add_f32 v[4:5], v[60:61], v[4:5]
	v_cmp_gt_u32_e64 s[2:3], s10, v6
	v_mov_b32_e32 v6, v33
	v_mad_u32_u24 v8, v0, 31, 27
	v_cndmask_b32_e64 v5, v61, v5, s[2:3]
	v_cmp_gt_u32_e64 s[2:3], s10, v7
	v_mov_b32_e32 v7, v58
	v_pk_add_f32 v[6:7], v[58:59], v[6:7]
	v_cndmask_b32_e64 v4, v60, v4, s[2:3]
	v_mad_u32_u24 v9, v0, 31, 26
	v_cmp_gt_u32_e64 s[2:3], s10, v8
	v_mov_b32_e32 v8, v57
	v_mad_u32_u24 v10, v0, 31, 25
	v_cndmask_b32_e64 v7, v59, v7, s[2:3]
	v_cmp_gt_u32_e64 s[2:3], s10, v9
	v_mov_b32_e32 v9, v33
	v_pk_add_f32 v[8:9], v[56:57], v[8:9]
	v_cndmask_b32_e64 v6, v58, v6, s[2:3]
	v_mad_u32_u24 v11, v0, 31, 24
	;; [unrolled: 9-line block ×12, first 2 shown]
	v_cmp_gt_u32_e64 s[2:3], s10, v30
	v_mov_b32_e32 v30, v35
	v_mad_u32_u24 v33, v0, 31, 3
	v_cndmask_b32_e64 v29, v38, v29, s[2:3]
	v_cmp_gt_u32_e64 s[2:3], s10, v31
	v_mov_b32_e32 v31, v36
	v_mul_u32_u24_e32 v62, 31, v0
	v_cndmask_b32_e64 v28, v37, v28, s[2:3]
	v_pk_add_f32 v[30:31], v[34:35], v[30:31]
	v_mad_u32_u24 v37, v0, 31, 2
	v_cmp_gt_u32_e64 s[2:3], s10, v33
	v_mad_u32_u24 v1, v0, 31, 30
	v_mad_u32_u24 v33, v0, 31, 1
	v_cndmask_b32_e64 v31, v36, v31, s[2:3]
	v_cmp_gt_u32_e64 s[2:3], s10, v37
	v_cmp_ne_u32_e64 s[4:5], 0, v0
	v_cmp_gt_u32_e64 s[6:7], s10, v62
	v_cmp_gt_u32_e32 vcc, s10, v1
	v_add_f32_e32 v1, v3, v61
	v_cndmask_b32_e64 v30, v35, v30, s[2:3]
	v_cmp_gt_u32_e64 s[2:3], s10, v33
	v_add_f32_e32 v33, v32, v34
	s_and_b64 s[6:7], s[4:5], s[6:7]
	ds_write_b32 v2, v3
	s_waitcnt lgkmcnt(0)
	; wave barrier
	s_waitcnt lgkmcnt(0)
	s_and_saveexec_b64 s[4:5], s[6:7]
	s_cbranch_execz .LBB180_84
; %bb.83:
	v_add_u32_e32 v35, -4, v2
	ds_read_b32 v35, v35
	s_waitcnt lgkmcnt(0)
	v_add_f32_e32 v32, v32, v35
.LBB180_84:
	s_or_b64 exec, exec, s[4:5]
	v_cndmask_b32_e32 v1, v3, v1, vcc
	v_cndmask_b32_e64 v65, v34, v33, s[2:3]
	v_mov_b32_e32 v64, v32
.LBB180_85:
	s_add_u32 s4, s8, s14
	s_addc_u32 s5, s9, s15
	s_and_b64 vcc, exec, s[0:1]
	s_waitcnt lgkmcnt(0)
	; wave barrier
	s_waitcnt lgkmcnt(0)
	s_cbranch_vccz .LBB180_147
; %bb.86:
	s_movk_i32 s2, 0x7c
	v_mul_i32_i24_e32 v67, 0xffffff88, v0
	v_mul_u32_u24_e32 v66, 0x7c, v0
	v_mad_u32_u24 v3, v0, s2, v67
	ds_write2_b32 v66, v64, v65 offset1:1
	ds_write2_b32 v66, v30, v31 offset0:2 offset1:3
	ds_write2_b32 v66, v28, v29 offset0:4 offset1:5
	;; [unrolled: 1-line block ×14, first 2 shown]
	ds_write_b32 v66, v1 offset:120
	s_waitcnt lgkmcnt(0)
	; wave barrier
	s_waitcnt lgkmcnt(0)
	ds_read2st64_b32 v[62:63], v3 offset0:1 offset1:2
	ds_read2st64_b32 v[60:61], v3 offset0:3 offset1:4
	;; [unrolled: 1-line block ×15, first 2 shown]
	s_mov_b32 s13, 0
	s_add_i32 s11, s11, s10
	s_lshl_b64 s[0:1], s[12:13], 2
	s_add_u32 s0, s4, s0
	s_addc_u32 s1, s5, s1
	v_mov_b32_e32 v3, 0
	v_lshl_add_u64 v[34:35], s[0:1], 0, v[2:3]
	v_cmp_gt_u32_e32 vcc, s11, v0
	s_and_saveexec_b64 s[0:1], vcc
	s_cbranch_execz .LBB180_88
; %bb.87:
	v_add_u32_e32 v3, v66, v67
	ds_read_b32 v3, v3
	s_waitcnt lgkmcnt(0)
	global_store_dword v[34:35], v3, off
.LBB180_88:
	s_or_b64 exec, exec, s[0:1]
	v_or_b32_e32 v3, 64, v0
	v_cmp_gt_u32_e32 vcc, s11, v3
	s_and_saveexec_b64 s[0:1], vcc
	s_cbranch_execz .LBB180_90
; %bb.89:
	s_waitcnt lgkmcnt(14)
	global_store_dword v[34:35], v62, off offset:256
.LBB180_90:
	s_or_b64 exec, exec, s[0:1]
	v_or_b32_e32 v3, 0x80, v0
	v_cmp_gt_u32_e32 vcc, s11, v3
	s_and_saveexec_b64 s[0:1], vcc
	s_cbranch_execz .LBB180_92
; %bb.91:
	s_waitcnt lgkmcnt(14)
	global_store_dword v[34:35], v63, off offset:512
.LBB180_92:
	;; [unrolled: 9-line block ×15, first 2 shown]
	s_or_b64 exec, exec, s[0:1]
	v_or_b32_e32 v3, 0x400, v0
	v_cmp_gt_u32_e32 vcc, s11, v3
	s_and_saveexec_b64 s[0:1], vcc
	s_cbranch_execz .LBB180_120
; %bb.119:
	s_waitcnt lgkmcnt(8)
	v_add_co_u32_e32 v50, vcc, 0x1000, v34
	s_nop 1
	v_addc_co_u32_e32 v51, vcc, 0, v35, vcc
	s_waitcnt lgkmcnt(7)
	global_store_dword v[50:51], v49, off
.LBB180_120:
	s_or_b64 exec, exec, s[0:1]
	v_or_b32_e32 v3, 0x440, v0
	v_cmp_gt_u32_e32 vcc, s11, v3
	s_and_saveexec_b64 s[0:1], vcc
	s_cbranch_execz .LBB180_122
; %bb.121:
	s_waitcnt lgkmcnt(7)
	v_add_co_u32_e32 v48, vcc, 0x1000, v34
	s_nop 1
	v_addc_co_u32_e32 v49, vcc, 0, v35, vcc
	s_waitcnt lgkmcnt(6)
	global_store_dword v[48:49], v46, off offset:256
.LBB180_122:
	s_or_b64 exec, exec, s[0:1]
	v_or_b32_e32 v3, 0x480, v0
	v_cmp_gt_u32_e32 vcc, s11, v3
	s_and_saveexec_b64 s[0:1], vcc
	s_cbranch_execz .LBB180_124
; %bb.123:
	s_waitcnt lgkmcnt(7)
	v_add_co_u32_e32 v48, vcc, 0x1000, v34
	s_nop 1
	v_addc_co_u32_e32 v49, vcc, 0, v35, vcc
	s_waitcnt lgkmcnt(6)
	global_store_dword v[48:49], v47, off offset:512
.LBB180_124:
	;; [unrolled: 13-line block ×13, first 2 shown]
	s_or_b64 exec, exec, s[0:1]
	v_or_b32_e32 v3, 0x780, v0
	v_cmp_gt_u32_e64 s[0:1], s11, v3
	s_branch .LBB180_149
.LBB180_147:
	s_mov_b64 s[0:1], 0
                                        ; implicit-def: $vgpr33
                                        ; implicit-def: $vgpr34_vgpr35
	s_cbranch_execz .LBB180_149
; %bb.148:
	s_mov_b32 s13, 0
	s_lshl_b64 s[2:3], s[12:13], 2
	v_mul_u32_u24_e32 v3, 0x7c, v0
	s_add_u32 s2, s4, s2
	s_movk_i32 s4, 0x7c
	ds_write2_b32 v3, v64, v65 offset1:1
	ds_write2_b32 v3, v30, v31 offset0:2 offset1:3
	ds_write2_b32 v3, v28, v29 offset0:4 offset1:5
	;; [unrolled: 1-line block ×14, first 2 shown]
	ds_write_b32 v3, v1 offset:120
	v_mul_i32_i24_e32 v1, 0xffffff88, v0
	v_mad_u32_u24 v3, v0, s4, v1
	s_addc_u32 s3, s5, s3
	s_waitcnt lgkmcnt(0)
	; wave barrier
	s_waitcnt lgkmcnt(0)
	ds_read2st64_b32 v[0:1], v3 offset1:1
	ds_read2st64_b32 v[4:5], v3 offset0:2 offset1:3
	ds_read2st64_b32 v[6:7], v3 offset0:4 offset1:5
	ds_read2st64_b32 v[8:9], v3 offset0:6 offset1:7
	ds_read2st64_b32 v[10:11], v3 offset0:8 offset1:9
	ds_read2st64_b32 v[12:13], v3 offset0:10 offset1:11
	ds_read2st64_b32 v[14:15], v3 offset0:12 offset1:13
	ds_read2st64_b32 v[16:17], v3 offset0:14 offset1:15
	ds_read2st64_b32 v[18:19], v3 offset0:16 offset1:17
	ds_read2st64_b32 v[20:21], v3 offset0:18 offset1:19
	ds_read2st64_b32 v[22:23], v3 offset0:20 offset1:21
	ds_read2st64_b32 v[24:25], v3 offset0:22 offset1:23
	ds_read2st64_b32 v[26:27], v3 offset0:24 offset1:25
	ds_read2st64_b32 v[28:29], v3 offset0:26 offset1:27
	ds_read2st64_b32 v[30:31], v3 offset0:28 offset1:29
	ds_read_b32 v33, v3 offset:7680
	v_mov_b32_e32 v3, 0
	v_lshl_add_u64 v[34:35], s[2:3], 0, v[2:3]
	s_waitcnt lgkmcnt(14)
	global_store_dword v2, v0, s[2:3]
	global_store_dword v2, v1, s[2:3] offset:256
	global_store_dword v2, v4, s[2:3] offset:512
	;; [unrolled: 1-line block ×3, first 2 shown]
	s_waitcnt lgkmcnt(13)
	global_store_dword v2, v6, s[2:3] offset:1024
	global_store_dword v2, v7, s[2:3] offset:1280
	s_waitcnt lgkmcnt(12)
	global_store_dword v2, v8, s[2:3] offset:1536
	global_store_dword v2, v9, s[2:3] offset:1792
	;; [unrolled: 3-line block ×6, first 2 shown]
	s_movk_i32 s2, 0x1000
	v_add_co_u32_e32 v0, vcc, s2, v34
	s_or_b64 s[0:1], s[0:1], exec
	s_nop 0
	v_addc_co_u32_e32 v1, vcc, 0, v35, vcc
	s_waitcnt lgkmcnt(7)
	global_store_dword v[0:1], v18, off
	global_store_dword v[0:1], v19, off offset:256
	s_waitcnt lgkmcnt(6)
	global_store_dword v[0:1], v20, off offset:512
	global_store_dword v[0:1], v21, off offset:768
	s_waitcnt lgkmcnt(5)
	global_store_dword v[0:1], v22, off offset:1024
	global_store_dword v[0:1], v23, off offset:1280
	s_waitcnt lgkmcnt(4)
	global_store_dword v[0:1], v24, off offset:1536
	global_store_dword v[0:1], v25, off offset:1792
	s_waitcnt lgkmcnt(3)
	global_store_dword v[0:1], v26, off offset:2048
	global_store_dword v[0:1], v27, off offset:2304
	s_waitcnt lgkmcnt(2)
	global_store_dword v[0:1], v28, off offset:2560
	global_store_dword v[0:1], v29, off offset:2816
	s_waitcnt lgkmcnt(1)
	global_store_dword v[0:1], v30, off offset:3072
	global_store_dword v[0:1], v31, off offset:3328
.LBB180_149:
	s_and_saveexec_b64 s[2:3], s[0:1]
	s_cbranch_execnz .LBB180_151
; %bb.150:
	s_endpgm
.LBB180_151:
	v_add_co_u32_e32 v0, vcc, 0x1000, v34
	s_nop 1
	v_addc_co_u32_e32 v1, vcc, 0, v35, vcc
	s_waitcnt lgkmcnt(0)
	global_store_dword v[0:1], v33, off offset:3584
	s_endpgm
	.section	.rodata,"a",@progbits
	.p2align	6, 0x0
	.amdhsa_kernel _ZN7rocprim17ROCPRIM_400000_NS6detail17trampoline_kernelINS0_14default_configENS1_35adjacent_difference_config_selectorILb0EfEEZNS1_24adjacent_difference_implIS3_Lb0ELb0EPfS7_N6thrust23THRUST_200600_302600_NS4plusIfEEEE10hipError_tPvRmT2_T3_mT4_P12ihipStream_tbEUlT_E_NS1_11comp_targetILNS1_3genE5ELNS1_11target_archE942ELNS1_3gpuE9ELNS1_3repE0EEENS1_30default_config_static_selectorELNS0_4arch9wavefront6targetE1EEEvT1_
		.amdhsa_group_segment_fixed_size 7936
		.amdhsa_private_segment_fixed_size 0
		.amdhsa_kernarg_size 56
		.amdhsa_user_sgpr_count 2
		.amdhsa_user_sgpr_dispatch_ptr 0
		.amdhsa_user_sgpr_queue_ptr 0
		.amdhsa_user_sgpr_kernarg_segment_ptr 1
		.amdhsa_user_sgpr_dispatch_id 0
		.amdhsa_user_sgpr_kernarg_preload_length 0
		.amdhsa_user_sgpr_kernarg_preload_offset 0
		.amdhsa_user_sgpr_private_segment_size 0
		.amdhsa_uses_dynamic_stack 0
		.amdhsa_enable_private_segment 0
		.amdhsa_system_sgpr_workgroup_id_x 1
		.amdhsa_system_sgpr_workgroup_id_y 0
		.amdhsa_system_sgpr_workgroup_id_z 0
		.amdhsa_system_sgpr_workgroup_info 0
		.amdhsa_system_vgpr_workitem_id 0
		.amdhsa_next_free_vgpr 68
		.amdhsa_next_free_sgpr 23
		.amdhsa_accum_offset 68
		.amdhsa_reserve_vcc 1
		.amdhsa_float_round_mode_32 0
		.amdhsa_float_round_mode_16_64 0
		.amdhsa_float_denorm_mode_32 3
		.amdhsa_float_denorm_mode_16_64 3
		.amdhsa_dx10_clamp 1
		.amdhsa_ieee_mode 1
		.amdhsa_fp16_overflow 0
		.amdhsa_tg_split 0
		.amdhsa_exception_fp_ieee_invalid_op 0
		.amdhsa_exception_fp_denorm_src 0
		.amdhsa_exception_fp_ieee_div_zero 0
		.amdhsa_exception_fp_ieee_overflow 0
		.amdhsa_exception_fp_ieee_underflow 0
		.amdhsa_exception_fp_ieee_inexact 0
		.amdhsa_exception_int_div_zero 0
	.end_amdhsa_kernel
	.section	.text._ZN7rocprim17ROCPRIM_400000_NS6detail17trampoline_kernelINS0_14default_configENS1_35adjacent_difference_config_selectorILb0EfEEZNS1_24adjacent_difference_implIS3_Lb0ELb0EPfS7_N6thrust23THRUST_200600_302600_NS4plusIfEEEE10hipError_tPvRmT2_T3_mT4_P12ihipStream_tbEUlT_E_NS1_11comp_targetILNS1_3genE5ELNS1_11target_archE942ELNS1_3gpuE9ELNS1_3repE0EEENS1_30default_config_static_selectorELNS0_4arch9wavefront6targetE1EEEvT1_,"axG",@progbits,_ZN7rocprim17ROCPRIM_400000_NS6detail17trampoline_kernelINS0_14default_configENS1_35adjacent_difference_config_selectorILb0EfEEZNS1_24adjacent_difference_implIS3_Lb0ELb0EPfS7_N6thrust23THRUST_200600_302600_NS4plusIfEEEE10hipError_tPvRmT2_T3_mT4_P12ihipStream_tbEUlT_E_NS1_11comp_targetILNS1_3genE5ELNS1_11target_archE942ELNS1_3gpuE9ELNS1_3repE0EEENS1_30default_config_static_selectorELNS0_4arch9wavefront6targetE1EEEvT1_,comdat
.Lfunc_end180:
	.size	_ZN7rocprim17ROCPRIM_400000_NS6detail17trampoline_kernelINS0_14default_configENS1_35adjacent_difference_config_selectorILb0EfEEZNS1_24adjacent_difference_implIS3_Lb0ELb0EPfS7_N6thrust23THRUST_200600_302600_NS4plusIfEEEE10hipError_tPvRmT2_T3_mT4_P12ihipStream_tbEUlT_E_NS1_11comp_targetILNS1_3genE5ELNS1_11target_archE942ELNS1_3gpuE9ELNS1_3repE0EEENS1_30default_config_static_selectorELNS0_4arch9wavefront6targetE1EEEvT1_, .Lfunc_end180-_ZN7rocprim17ROCPRIM_400000_NS6detail17trampoline_kernelINS0_14default_configENS1_35adjacent_difference_config_selectorILb0EfEEZNS1_24adjacent_difference_implIS3_Lb0ELb0EPfS7_N6thrust23THRUST_200600_302600_NS4plusIfEEEE10hipError_tPvRmT2_T3_mT4_P12ihipStream_tbEUlT_E_NS1_11comp_targetILNS1_3genE5ELNS1_11target_archE942ELNS1_3gpuE9ELNS1_3repE0EEENS1_30default_config_static_selectorELNS0_4arch9wavefront6targetE1EEEvT1_
                                        ; -- End function
	.section	.AMDGPU.csdata,"",@progbits
; Kernel info:
; codeLenInByte = 7176
; NumSgprs: 29
; NumVgprs: 68
; NumAgprs: 0
; TotalNumVgprs: 68
; ScratchSize: 0
; MemoryBound: 0
; FloatMode: 240
; IeeeMode: 1
; LDSByteSize: 7936 bytes/workgroup (compile time only)
; SGPRBlocks: 3
; VGPRBlocks: 8
; NumSGPRsForWavesPerEU: 29
; NumVGPRsForWavesPerEU: 68
; AccumOffset: 68
; Occupancy: 2
; WaveLimiterHint : 1
; COMPUTE_PGM_RSRC2:SCRATCH_EN: 0
; COMPUTE_PGM_RSRC2:USER_SGPR: 2
; COMPUTE_PGM_RSRC2:TRAP_HANDLER: 0
; COMPUTE_PGM_RSRC2:TGID_X_EN: 1
; COMPUTE_PGM_RSRC2:TGID_Y_EN: 0
; COMPUTE_PGM_RSRC2:TGID_Z_EN: 0
; COMPUTE_PGM_RSRC2:TIDIG_COMP_CNT: 0
; COMPUTE_PGM_RSRC3_GFX90A:ACCUM_OFFSET: 16
; COMPUTE_PGM_RSRC3_GFX90A:TG_SPLIT: 0
	.section	.text._ZN7rocprim17ROCPRIM_400000_NS6detail17trampoline_kernelINS0_14default_configENS1_35adjacent_difference_config_selectorILb0EfEEZNS1_24adjacent_difference_implIS3_Lb0ELb0EPfS7_N6thrust23THRUST_200600_302600_NS4plusIfEEEE10hipError_tPvRmT2_T3_mT4_P12ihipStream_tbEUlT_E_NS1_11comp_targetILNS1_3genE4ELNS1_11target_archE910ELNS1_3gpuE8ELNS1_3repE0EEENS1_30default_config_static_selectorELNS0_4arch9wavefront6targetE1EEEvT1_,"axG",@progbits,_ZN7rocprim17ROCPRIM_400000_NS6detail17trampoline_kernelINS0_14default_configENS1_35adjacent_difference_config_selectorILb0EfEEZNS1_24adjacent_difference_implIS3_Lb0ELb0EPfS7_N6thrust23THRUST_200600_302600_NS4plusIfEEEE10hipError_tPvRmT2_T3_mT4_P12ihipStream_tbEUlT_E_NS1_11comp_targetILNS1_3genE4ELNS1_11target_archE910ELNS1_3gpuE8ELNS1_3repE0EEENS1_30default_config_static_selectorELNS0_4arch9wavefront6targetE1EEEvT1_,comdat
	.protected	_ZN7rocprim17ROCPRIM_400000_NS6detail17trampoline_kernelINS0_14default_configENS1_35adjacent_difference_config_selectorILb0EfEEZNS1_24adjacent_difference_implIS3_Lb0ELb0EPfS7_N6thrust23THRUST_200600_302600_NS4plusIfEEEE10hipError_tPvRmT2_T3_mT4_P12ihipStream_tbEUlT_E_NS1_11comp_targetILNS1_3genE4ELNS1_11target_archE910ELNS1_3gpuE8ELNS1_3repE0EEENS1_30default_config_static_selectorELNS0_4arch9wavefront6targetE1EEEvT1_ ; -- Begin function _ZN7rocprim17ROCPRIM_400000_NS6detail17trampoline_kernelINS0_14default_configENS1_35adjacent_difference_config_selectorILb0EfEEZNS1_24adjacent_difference_implIS3_Lb0ELb0EPfS7_N6thrust23THRUST_200600_302600_NS4plusIfEEEE10hipError_tPvRmT2_T3_mT4_P12ihipStream_tbEUlT_E_NS1_11comp_targetILNS1_3genE4ELNS1_11target_archE910ELNS1_3gpuE8ELNS1_3repE0EEENS1_30default_config_static_selectorELNS0_4arch9wavefront6targetE1EEEvT1_
	.globl	_ZN7rocprim17ROCPRIM_400000_NS6detail17trampoline_kernelINS0_14default_configENS1_35adjacent_difference_config_selectorILb0EfEEZNS1_24adjacent_difference_implIS3_Lb0ELb0EPfS7_N6thrust23THRUST_200600_302600_NS4plusIfEEEE10hipError_tPvRmT2_T3_mT4_P12ihipStream_tbEUlT_E_NS1_11comp_targetILNS1_3genE4ELNS1_11target_archE910ELNS1_3gpuE8ELNS1_3repE0EEENS1_30default_config_static_selectorELNS0_4arch9wavefront6targetE1EEEvT1_
	.p2align	8
	.type	_ZN7rocprim17ROCPRIM_400000_NS6detail17trampoline_kernelINS0_14default_configENS1_35adjacent_difference_config_selectorILb0EfEEZNS1_24adjacent_difference_implIS3_Lb0ELb0EPfS7_N6thrust23THRUST_200600_302600_NS4plusIfEEEE10hipError_tPvRmT2_T3_mT4_P12ihipStream_tbEUlT_E_NS1_11comp_targetILNS1_3genE4ELNS1_11target_archE910ELNS1_3gpuE8ELNS1_3repE0EEENS1_30default_config_static_selectorELNS0_4arch9wavefront6targetE1EEEvT1_,@function
_ZN7rocprim17ROCPRIM_400000_NS6detail17trampoline_kernelINS0_14default_configENS1_35adjacent_difference_config_selectorILb0EfEEZNS1_24adjacent_difference_implIS3_Lb0ELb0EPfS7_N6thrust23THRUST_200600_302600_NS4plusIfEEEE10hipError_tPvRmT2_T3_mT4_P12ihipStream_tbEUlT_E_NS1_11comp_targetILNS1_3genE4ELNS1_11target_archE910ELNS1_3gpuE8ELNS1_3repE0EEENS1_30default_config_static_selectorELNS0_4arch9wavefront6targetE1EEEvT1_: ; @_ZN7rocprim17ROCPRIM_400000_NS6detail17trampoline_kernelINS0_14default_configENS1_35adjacent_difference_config_selectorILb0EfEEZNS1_24adjacent_difference_implIS3_Lb0ELb0EPfS7_N6thrust23THRUST_200600_302600_NS4plusIfEEEE10hipError_tPvRmT2_T3_mT4_P12ihipStream_tbEUlT_E_NS1_11comp_targetILNS1_3genE4ELNS1_11target_archE910ELNS1_3gpuE8ELNS1_3repE0EEENS1_30default_config_static_selectorELNS0_4arch9wavefront6targetE1EEEvT1_
; %bb.0:
	.section	.rodata,"a",@progbits
	.p2align	6, 0x0
	.amdhsa_kernel _ZN7rocprim17ROCPRIM_400000_NS6detail17trampoline_kernelINS0_14default_configENS1_35adjacent_difference_config_selectorILb0EfEEZNS1_24adjacent_difference_implIS3_Lb0ELb0EPfS7_N6thrust23THRUST_200600_302600_NS4plusIfEEEE10hipError_tPvRmT2_T3_mT4_P12ihipStream_tbEUlT_E_NS1_11comp_targetILNS1_3genE4ELNS1_11target_archE910ELNS1_3gpuE8ELNS1_3repE0EEENS1_30default_config_static_selectorELNS0_4arch9wavefront6targetE1EEEvT1_
		.amdhsa_group_segment_fixed_size 0
		.amdhsa_private_segment_fixed_size 0
		.amdhsa_kernarg_size 56
		.amdhsa_user_sgpr_count 2
		.amdhsa_user_sgpr_dispatch_ptr 0
		.amdhsa_user_sgpr_queue_ptr 0
		.amdhsa_user_sgpr_kernarg_segment_ptr 1
		.amdhsa_user_sgpr_dispatch_id 0
		.amdhsa_user_sgpr_kernarg_preload_length 0
		.amdhsa_user_sgpr_kernarg_preload_offset 0
		.amdhsa_user_sgpr_private_segment_size 0
		.amdhsa_uses_dynamic_stack 0
		.amdhsa_enable_private_segment 0
		.amdhsa_system_sgpr_workgroup_id_x 1
		.amdhsa_system_sgpr_workgroup_id_y 0
		.amdhsa_system_sgpr_workgroup_id_z 0
		.amdhsa_system_sgpr_workgroup_info 0
		.amdhsa_system_vgpr_workitem_id 0
		.amdhsa_next_free_vgpr 1
		.amdhsa_next_free_sgpr 0
		.amdhsa_accum_offset 4
		.amdhsa_reserve_vcc 0
		.amdhsa_float_round_mode_32 0
		.amdhsa_float_round_mode_16_64 0
		.amdhsa_float_denorm_mode_32 3
		.amdhsa_float_denorm_mode_16_64 3
		.amdhsa_dx10_clamp 1
		.amdhsa_ieee_mode 1
		.amdhsa_fp16_overflow 0
		.amdhsa_tg_split 0
		.amdhsa_exception_fp_ieee_invalid_op 0
		.amdhsa_exception_fp_denorm_src 0
		.amdhsa_exception_fp_ieee_div_zero 0
		.amdhsa_exception_fp_ieee_overflow 0
		.amdhsa_exception_fp_ieee_underflow 0
		.amdhsa_exception_fp_ieee_inexact 0
		.amdhsa_exception_int_div_zero 0
	.end_amdhsa_kernel
	.section	.text._ZN7rocprim17ROCPRIM_400000_NS6detail17trampoline_kernelINS0_14default_configENS1_35adjacent_difference_config_selectorILb0EfEEZNS1_24adjacent_difference_implIS3_Lb0ELb0EPfS7_N6thrust23THRUST_200600_302600_NS4plusIfEEEE10hipError_tPvRmT2_T3_mT4_P12ihipStream_tbEUlT_E_NS1_11comp_targetILNS1_3genE4ELNS1_11target_archE910ELNS1_3gpuE8ELNS1_3repE0EEENS1_30default_config_static_selectorELNS0_4arch9wavefront6targetE1EEEvT1_,"axG",@progbits,_ZN7rocprim17ROCPRIM_400000_NS6detail17trampoline_kernelINS0_14default_configENS1_35adjacent_difference_config_selectorILb0EfEEZNS1_24adjacent_difference_implIS3_Lb0ELb0EPfS7_N6thrust23THRUST_200600_302600_NS4plusIfEEEE10hipError_tPvRmT2_T3_mT4_P12ihipStream_tbEUlT_E_NS1_11comp_targetILNS1_3genE4ELNS1_11target_archE910ELNS1_3gpuE8ELNS1_3repE0EEENS1_30default_config_static_selectorELNS0_4arch9wavefront6targetE1EEEvT1_,comdat
.Lfunc_end181:
	.size	_ZN7rocprim17ROCPRIM_400000_NS6detail17trampoline_kernelINS0_14default_configENS1_35adjacent_difference_config_selectorILb0EfEEZNS1_24adjacent_difference_implIS3_Lb0ELb0EPfS7_N6thrust23THRUST_200600_302600_NS4plusIfEEEE10hipError_tPvRmT2_T3_mT4_P12ihipStream_tbEUlT_E_NS1_11comp_targetILNS1_3genE4ELNS1_11target_archE910ELNS1_3gpuE8ELNS1_3repE0EEENS1_30default_config_static_selectorELNS0_4arch9wavefront6targetE1EEEvT1_, .Lfunc_end181-_ZN7rocprim17ROCPRIM_400000_NS6detail17trampoline_kernelINS0_14default_configENS1_35adjacent_difference_config_selectorILb0EfEEZNS1_24adjacent_difference_implIS3_Lb0ELb0EPfS7_N6thrust23THRUST_200600_302600_NS4plusIfEEEE10hipError_tPvRmT2_T3_mT4_P12ihipStream_tbEUlT_E_NS1_11comp_targetILNS1_3genE4ELNS1_11target_archE910ELNS1_3gpuE8ELNS1_3repE0EEENS1_30default_config_static_selectorELNS0_4arch9wavefront6targetE1EEEvT1_
                                        ; -- End function
	.section	.AMDGPU.csdata,"",@progbits
; Kernel info:
; codeLenInByte = 0
; NumSgprs: 6
; NumVgprs: 0
; NumAgprs: 0
; TotalNumVgprs: 0
; ScratchSize: 0
; MemoryBound: 0
; FloatMode: 240
; IeeeMode: 1
; LDSByteSize: 0 bytes/workgroup (compile time only)
; SGPRBlocks: 0
; VGPRBlocks: 0
; NumSGPRsForWavesPerEU: 6
; NumVGPRsForWavesPerEU: 1
; AccumOffset: 4
; Occupancy: 8
; WaveLimiterHint : 0
; COMPUTE_PGM_RSRC2:SCRATCH_EN: 0
; COMPUTE_PGM_RSRC2:USER_SGPR: 2
; COMPUTE_PGM_RSRC2:TRAP_HANDLER: 0
; COMPUTE_PGM_RSRC2:TGID_X_EN: 1
; COMPUTE_PGM_RSRC2:TGID_Y_EN: 0
; COMPUTE_PGM_RSRC2:TGID_Z_EN: 0
; COMPUTE_PGM_RSRC2:TIDIG_COMP_CNT: 0
; COMPUTE_PGM_RSRC3_GFX90A:ACCUM_OFFSET: 0
; COMPUTE_PGM_RSRC3_GFX90A:TG_SPLIT: 0
	.section	.text._ZN7rocprim17ROCPRIM_400000_NS6detail17trampoline_kernelINS0_14default_configENS1_35adjacent_difference_config_selectorILb0EfEEZNS1_24adjacent_difference_implIS3_Lb0ELb0EPfS7_N6thrust23THRUST_200600_302600_NS4plusIfEEEE10hipError_tPvRmT2_T3_mT4_P12ihipStream_tbEUlT_E_NS1_11comp_targetILNS1_3genE3ELNS1_11target_archE908ELNS1_3gpuE7ELNS1_3repE0EEENS1_30default_config_static_selectorELNS0_4arch9wavefront6targetE1EEEvT1_,"axG",@progbits,_ZN7rocprim17ROCPRIM_400000_NS6detail17trampoline_kernelINS0_14default_configENS1_35adjacent_difference_config_selectorILb0EfEEZNS1_24adjacent_difference_implIS3_Lb0ELb0EPfS7_N6thrust23THRUST_200600_302600_NS4plusIfEEEE10hipError_tPvRmT2_T3_mT4_P12ihipStream_tbEUlT_E_NS1_11comp_targetILNS1_3genE3ELNS1_11target_archE908ELNS1_3gpuE7ELNS1_3repE0EEENS1_30default_config_static_selectorELNS0_4arch9wavefront6targetE1EEEvT1_,comdat
	.protected	_ZN7rocprim17ROCPRIM_400000_NS6detail17trampoline_kernelINS0_14default_configENS1_35adjacent_difference_config_selectorILb0EfEEZNS1_24adjacent_difference_implIS3_Lb0ELb0EPfS7_N6thrust23THRUST_200600_302600_NS4plusIfEEEE10hipError_tPvRmT2_T3_mT4_P12ihipStream_tbEUlT_E_NS1_11comp_targetILNS1_3genE3ELNS1_11target_archE908ELNS1_3gpuE7ELNS1_3repE0EEENS1_30default_config_static_selectorELNS0_4arch9wavefront6targetE1EEEvT1_ ; -- Begin function _ZN7rocprim17ROCPRIM_400000_NS6detail17trampoline_kernelINS0_14default_configENS1_35adjacent_difference_config_selectorILb0EfEEZNS1_24adjacent_difference_implIS3_Lb0ELb0EPfS7_N6thrust23THRUST_200600_302600_NS4plusIfEEEE10hipError_tPvRmT2_T3_mT4_P12ihipStream_tbEUlT_E_NS1_11comp_targetILNS1_3genE3ELNS1_11target_archE908ELNS1_3gpuE7ELNS1_3repE0EEENS1_30default_config_static_selectorELNS0_4arch9wavefront6targetE1EEEvT1_
	.globl	_ZN7rocprim17ROCPRIM_400000_NS6detail17trampoline_kernelINS0_14default_configENS1_35adjacent_difference_config_selectorILb0EfEEZNS1_24adjacent_difference_implIS3_Lb0ELb0EPfS7_N6thrust23THRUST_200600_302600_NS4plusIfEEEE10hipError_tPvRmT2_T3_mT4_P12ihipStream_tbEUlT_E_NS1_11comp_targetILNS1_3genE3ELNS1_11target_archE908ELNS1_3gpuE7ELNS1_3repE0EEENS1_30default_config_static_selectorELNS0_4arch9wavefront6targetE1EEEvT1_
	.p2align	8
	.type	_ZN7rocprim17ROCPRIM_400000_NS6detail17trampoline_kernelINS0_14default_configENS1_35adjacent_difference_config_selectorILb0EfEEZNS1_24adjacent_difference_implIS3_Lb0ELb0EPfS7_N6thrust23THRUST_200600_302600_NS4plusIfEEEE10hipError_tPvRmT2_T3_mT4_P12ihipStream_tbEUlT_E_NS1_11comp_targetILNS1_3genE3ELNS1_11target_archE908ELNS1_3gpuE7ELNS1_3repE0EEENS1_30default_config_static_selectorELNS0_4arch9wavefront6targetE1EEEvT1_,@function
_ZN7rocprim17ROCPRIM_400000_NS6detail17trampoline_kernelINS0_14default_configENS1_35adjacent_difference_config_selectorILb0EfEEZNS1_24adjacent_difference_implIS3_Lb0ELb0EPfS7_N6thrust23THRUST_200600_302600_NS4plusIfEEEE10hipError_tPvRmT2_T3_mT4_P12ihipStream_tbEUlT_E_NS1_11comp_targetILNS1_3genE3ELNS1_11target_archE908ELNS1_3gpuE7ELNS1_3repE0EEENS1_30default_config_static_selectorELNS0_4arch9wavefront6targetE1EEEvT1_: ; @_ZN7rocprim17ROCPRIM_400000_NS6detail17trampoline_kernelINS0_14default_configENS1_35adjacent_difference_config_selectorILb0EfEEZNS1_24adjacent_difference_implIS3_Lb0ELb0EPfS7_N6thrust23THRUST_200600_302600_NS4plusIfEEEE10hipError_tPvRmT2_T3_mT4_P12ihipStream_tbEUlT_E_NS1_11comp_targetILNS1_3genE3ELNS1_11target_archE908ELNS1_3gpuE7ELNS1_3repE0EEENS1_30default_config_static_selectorELNS0_4arch9wavefront6targetE1EEEvT1_
; %bb.0:
	.section	.rodata,"a",@progbits
	.p2align	6, 0x0
	.amdhsa_kernel _ZN7rocprim17ROCPRIM_400000_NS6detail17trampoline_kernelINS0_14default_configENS1_35adjacent_difference_config_selectorILb0EfEEZNS1_24adjacent_difference_implIS3_Lb0ELb0EPfS7_N6thrust23THRUST_200600_302600_NS4plusIfEEEE10hipError_tPvRmT2_T3_mT4_P12ihipStream_tbEUlT_E_NS1_11comp_targetILNS1_3genE3ELNS1_11target_archE908ELNS1_3gpuE7ELNS1_3repE0EEENS1_30default_config_static_selectorELNS0_4arch9wavefront6targetE1EEEvT1_
		.amdhsa_group_segment_fixed_size 0
		.amdhsa_private_segment_fixed_size 0
		.amdhsa_kernarg_size 56
		.amdhsa_user_sgpr_count 2
		.amdhsa_user_sgpr_dispatch_ptr 0
		.amdhsa_user_sgpr_queue_ptr 0
		.amdhsa_user_sgpr_kernarg_segment_ptr 1
		.amdhsa_user_sgpr_dispatch_id 0
		.amdhsa_user_sgpr_kernarg_preload_length 0
		.amdhsa_user_sgpr_kernarg_preload_offset 0
		.amdhsa_user_sgpr_private_segment_size 0
		.amdhsa_uses_dynamic_stack 0
		.amdhsa_enable_private_segment 0
		.amdhsa_system_sgpr_workgroup_id_x 1
		.amdhsa_system_sgpr_workgroup_id_y 0
		.amdhsa_system_sgpr_workgroup_id_z 0
		.amdhsa_system_sgpr_workgroup_info 0
		.amdhsa_system_vgpr_workitem_id 0
		.amdhsa_next_free_vgpr 1
		.amdhsa_next_free_sgpr 0
		.amdhsa_accum_offset 4
		.amdhsa_reserve_vcc 0
		.amdhsa_float_round_mode_32 0
		.amdhsa_float_round_mode_16_64 0
		.amdhsa_float_denorm_mode_32 3
		.amdhsa_float_denorm_mode_16_64 3
		.amdhsa_dx10_clamp 1
		.amdhsa_ieee_mode 1
		.amdhsa_fp16_overflow 0
		.amdhsa_tg_split 0
		.amdhsa_exception_fp_ieee_invalid_op 0
		.amdhsa_exception_fp_denorm_src 0
		.amdhsa_exception_fp_ieee_div_zero 0
		.amdhsa_exception_fp_ieee_overflow 0
		.amdhsa_exception_fp_ieee_underflow 0
		.amdhsa_exception_fp_ieee_inexact 0
		.amdhsa_exception_int_div_zero 0
	.end_amdhsa_kernel
	.section	.text._ZN7rocprim17ROCPRIM_400000_NS6detail17trampoline_kernelINS0_14default_configENS1_35adjacent_difference_config_selectorILb0EfEEZNS1_24adjacent_difference_implIS3_Lb0ELb0EPfS7_N6thrust23THRUST_200600_302600_NS4plusIfEEEE10hipError_tPvRmT2_T3_mT4_P12ihipStream_tbEUlT_E_NS1_11comp_targetILNS1_3genE3ELNS1_11target_archE908ELNS1_3gpuE7ELNS1_3repE0EEENS1_30default_config_static_selectorELNS0_4arch9wavefront6targetE1EEEvT1_,"axG",@progbits,_ZN7rocprim17ROCPRIM_400000_NS6detail17trampoline_kernelINS0_14default_configENS1_35adjacent_difference_config_selectorILb0EfEEZNS1_24adjacent_difference_implIS3_Lb0ELb0EPfS7_N6thrust23THRUST_200600_302600_NS4plusIfEEEE10hipError_tPvRmT2_T3_mT4_P12ihipStream_tbEUlT_E_NS1_11comp_targetILNS1_3genE3ELNS1_11target_archE908ELNS1_3gpuE7ELNS1_3repE0EEENS1_30default_config_static_selectorELNS0_4arch9wavefront6targetE1EEEvT1_,comdat
.Lfunc_end182:
	.size	_ZN7rocprim17ROCPRIM_400000_NS6detail17trampoline_kernelINS0_14default_configENS1_35adjacent_difference_config_selectorILb0EfEEZNS1_24adjacent_difference_implIS3_Lb0ELb0EPfS7_N6thrust23THRUST_200600_302600_NS4plusIfEEEE10hipError_tPvRmT2_T3_mT4_P12ihipStream_tbEUlT_E_NS1_11comp_targetILNS1_3genE3ELNS1_11target_archE908ELNS1_3gpuE7ELNS1_3repE0EEENS1_30default_config_static_selectorELNS0_4arch9wavefront6targetE1EEEvT1_, .Lfunc_end182-_ZN7rocprim17ROCPRIM_400000_NS6detail17trampoline_kernelINS0_14default_configENS1_35adjacent_difference_config_selectorILb0EfEEZNS1_24adjacent_difference_implIS3_Lb0ELb0EPfS7_N6thrust23THRUST_200600_302600_NS4plusIfEEEE10hipError_tPvRmT2_T3_mT4_P12ihipStream_tbEUlT_E_NS1_11comp_targetILNS1_3genE3ELNS1_11target_archE908ELNS1_3gpuE7ELNS1_3repE0EEENS1_30default_config_static_selectorELNS0_4arch9wavefront6targetE1EEEvT1_
                                        ; -- End function
	.section	.AMDGPU.csdata,"",@progbits
; Kernel info:
; codeLenInByte = 0
; NumSgprs: 6
; NumVgprs: 0
; NumAgprs: 0
; TotalNumVgprs: 0
; ScratchSize: 0
; MemoryBound: 0
; FloatMode: 240
; IeeeMode: 1
; LDSByteSize: 0 bytes/workgroup (compile time only)
; SGPRBlocks: 0
; VGPRBlocks: 0
; NumSGPRsForWavesPerEU: 6
; NumVGPRsForWavesPerEU: 1
; AccumOffset: 4
; Occupancy: 8
; WaveLimiterHint : 0
; COMPUTE_PGM_RSRC2:SCRATCH_EN: 0
; COMPUTE_PGM_RSRC2:USER_SGPR: 2
; COMPUTE_PGM_RSRC2:TRAP_HANDLER: 0
; COMPUTE_PGM_RSRC2:TGID_X_EN: 1
; COMPUTE_PGM_RSRC2:TGID_Y_EN: 0
; COMPUTE_PGM_RSRC2:TGID_Z_EN: 0
; COMPUTE_PGM_RSRC2:TIDIG_COMP_CNT: 0
; COMPUTE_PGM_RSRC3_GFX90A:ACCUM_OFFSET: 0
; COMPUTE_PGM_RSRC3_GFX90A:TG_SPLIT: 0
	.section	.text._ZN7rocprim17ROCPRIM_400000_NS6detail17trampoline_kernelINS0_14default_configENS1_35adjacent_difference_config_selectorILb0EfEEZNS1_24adjacent_difference_implIS3_Lb0ELb0EPfS7_N6thrust23THRUST_200600_302600_NS4plusIfEEEE10hipError_tPvRmT2_T3_mT4_P12ihipStream_tbEUlT_E_NS1_11comp_targetILNS1_3genE2ELNS1_11target_archE906ELNS1_3gpuE6ELNS1_3repE0EEENS1_30default_config_static_selectorELNS0_4arch9wavefront6targetE1EEEvT1_,"axG",@progbits,_ZN7rocprim17ROCPRIM_400000_NS6detail17trampoline_kernelINS0_14default_configENS1_35adjacent_difference_config_selectorILb0EfEEZNS1_24adjacent_difference_implIS3_Lb0ELb0EPfS7_N6thrust23THRUST_200600_302600_NS4plusIfEEEE10hipError_tPvRmT2_T3_mT4_P12ihipStream_tbEUlT_E_NS1_11comp_targetILNS1_3genE2ELNS1_11target_archE906ELNS1_3gpuE6ELNS1_3repE0EEENS1_30default_config_static_selectorELNS0_4arch9wavefront6targetE1EEEvT1_,comdat
	.protected	_ZN7rocprim17ROCPRIM_400000_NS6detail17trampoline_kernelINS0_14default_configENS1_35adjacent_difference_config_selectorILb0EfEEZNS1_24adjacent_difference_implIS3_Lb0ELb0EPfS7_N6thrust23THRUST_200600_302600_NS4plusIfEEEE10hipError_tPvRmT2_T3_mT4_P12ihipStream_tbEUlT_E_NS1_11comp_targetILNS1_3genE2ELNS1_11target_archE906ELNS1_3gpuE6ELNS1_3repE0EEENS1_30default_config_static_selectorELNS0_4arch9wavefront6targetE1EEEvT1_ ; -- Begin function _ZN7rocprim17ROCPRIM_400000_NS6detail17trampoline_kernelINS0_14default_configENS1_35adjacent_difference_config_selectorILb0EfEEZNS1_24adjacent_difference_implIS3_Lb0ELb0EPfS7_N6thrust23THRUST_200600_302600_NS4plusIfEEEE10hipError_tPvRmT2_T3_mT4_P12ihipStream_tbEUlT_E_NS1_11comp_targetILNS1_3genE2ELNS1_11target_archE906ELNS1_3gpuE6ELNS1_3repE0EEENS1_30default_config_static_selectorELNS0_4arch9wavefront6targetE1EEEvT1_
	.globl	_ZN7rocprim17ROCPRIM_400000_NS6detail17trampoline_kernelINS0_14default_configENS1_35adjacent_difference_config_selectorILb0EfEEZNS1_24adjacent_difference_implIS3_Lb0ELb0EPfS7_N6thrust23THRUST_200600_302600_NS4plusIfEEEE10hipError_tPvRmT2_T3_mT4_P12ihipStream_tbEUlT_E_NS1_11comp_targetILNS1_3genE2ELNS1_11target_archE906ELNS1_3gpuE6ELNS1_3repE0EEENS1_30default_config_static_selectorELNS0_4arch9wavefront6targetE1EEEvT1_
	.p2align	8
	.type	_ZN7rocprim17ROCPRIM_400000_NS6detail17trampoline_kernelINS0_14default_configENS1_35adjacent_difference_config_selectorILb0EfEEZNS1_24adjacent_difference_implIS3_Lb0ELb0EPfS7_N6thrust23THRUST_200600_302600_NS4plusIfEEEE10hipError_tPvRmT2_T3_mT4_P12ihipStream_tbEUlT_E_NS1_11comp_targetILNS1_3genE2ELNS1_11target_archE906ELNS1_3gpuE6ELNS1_3repE0EEENS1_30default_config_static_selectorELNS0_4arch9wavefront6targetE1EEEvT1_,@function
_ZN7rocprim17ROCPRIM_400000_NS6detail17trampoline_kernelINS0_14default_configENS1_35adjacent_difference_config_selectorILb0EfEEZNS1_24adjacent_difference_implIS3_Lb0ELb0EPfS7_N6thrust23THRUST_200600_302600_NS4plusIfEEEE10hipError_tPvRmT2_T3_mT4_P12ihipStream_tbEUlT_E_NS1_11comp_targetILNS1_3genE2ELNS1_11target_archE906ELNS1_3gpuE6ELNS1_3repE0EEENS1_30default_config_static_selectorELNS0_4arch9wavefront6targetE1EEEvT1_: ; @_ZN7rocprim17ROCPRIM_400000_NS6detail17trampoline_kernelINS0_14default_configENS1_35adjacent_difference_config_selectorILb0EfEEZNS1_24adjacent_difference_implIS3_Lb0ELb0EPfS7_N6thrust23THRUST_200600_302600_NS4plusIfEEEE10hipError_tPvRmT2_T3_mT4_P12ihipStream_tbEUlT_E_NS1_11comp_targetILNS1_3genE2ELNS1_11target_archE906ELNS1_3gpuE6ELNS1_3repE0EEENS1_30default_config_static_selectorELNS0_4arch9wavefront6targetE1EEEvT1_
; %bb.0:
	.section	.rodata,"a",@progbits
	.p2align	6, 0x0
	.amdhsa_kernel _ZN7rocprim17ROCPRIM_400000_NS6detail17trampoline_kernelINS0_14default_configENS1_35adjacent_difference_config_selectorILb0EfEEZNS1_24adjacent_difference_implIS3_Lb0ELb0EPfS7_N6thrust23THRUST_200600_302600_NS4plusIfEEEE10hipError_tPvRmT2_T3_mT4_P12ihipStream_tbEUlT_E_NS1_11comp_targetILNS1_3genE2ELNS1_11target_archE906ELNS1_3gpuE6ELNS1_3repE0EEENS1_30default_config_static_selectorELNS0_4arch9wavefront6targetE1EEEvT1_
		.amdhsa_group_segment_fixed_size 0
		.amdhsa_private_segment_fixed_size 0
		.amdhsa_kernarg_size 56
		.amdhsa_user_sgpr_count 2
		.amdhsa_user_sgpr_dispatch_ptr 0
		.amdhsa_user_sgpr_queue_ptr 0
		.amdhsa_user_sgpr_kernarg_segment_ptr 1
		.amdhsa_user_sgpr_dispatch_id 0
		.amdhsa_user_sgpr_kernarg_preload_length 0
		.amdhsa_user_sgpr_kernarg_preload_offset 0
		.amdhsa_user_sgpr_private_segment_size 0
		.amdhsa_uses_dynamic_stack 0
		.amdhsa_enable_private_segment 0
		.amdhsa_system_sgpr_workgroup_id_x 1
		.amdhsa_system_sgpr_workgroup_id_y 0
		.amdhsa_system_sgpr_workgroup_id_z 0
		.amdhsa_system_sgpr_workgroup_info 0
		.amdhsa_system_vgpr_workitem_id 0
		.amdhsa_next_free_vgpr 1
		.amdhsa_next_free_sgpr 0
		.amdhsa_accum_offset 4
		.amdhsa_reserve_vcc 0
		.amdhsa_float_round_mode_32 0
		.amdhsa_float_round_mode_16_64 0
		.amdhsa_float_denorm_mode_32 3
		.amdhsa_float_denorm_mode_16_64 3
		.amdhsa_dx10_clamp 1
		.amdhsa_ieee_mode 1
		.amdhsa_fp16_overflow 0
		.amdhsa_tg_split 0
		.amdhsa_exception_fp_ieee_invalid_op 0
		.amdhsa_exception_fp_denorm_src 0
		.amdhsa_exception_fp_ieee_div_zero 0
		.amdhsa_exception_fp_ieee_overflow 0
		.amdhsa_exception_fp_ieee_underflow 0
		.amdhsa_exception_fp_ieee_inexact 0
		.amdhsa_exception_int_div_zero 0
	.end_amdhsa_kernel
	.section	.text._ZN7rocprim17ROCPRIM_400000_NS6detail17trampoline_kernelINS0_14default_configENS1_35adjacent_difference_config_selectorILb0EfEEZNS1_24adjacent_difference_implIS3_Lb0ELb0EPfS7_N6thrust23THRUST_200600_302600_NS4plusIfEEEE10hipError_tPvRmT2_T3_mT4_P12ihipStream_tbEUlT_E_NS1_11comp_targetILNS1_3genE2ELNS1_11target_archE906ELNS1_3gpuE6ELNS1_3repE0EEENS1_30default_config_static_selectorELNS0_4arch9wavefront6targetE1EEEvT1_,"axG",@progbits,_ZN7rocprim17ROCPRIM_400000_NS6detail17trampoline_kernelINS0_14default_configENS1_35adjacent_difference_config_selectorILb0EfEEZNS1_24adjacent_difference_implIS3_Lb0ELb0EPfS7_N6thrust23THRUST_200600_302600_NS4plusIfEEEE10hipError_tPvRmT2_T3_mT4_P12ihipStream_tbEUlT_E_NS1_11comp_targetILNS1_3genE2ELNS1_11target_archE906ELNS1_3gpuE6ELNS1_3repE0EEENS1_30default_config_static_selectorELNS0_4arch9wavefront6targetE1EEEvT1_,comdat
.Lfunc_end183:
	.size	_ZN7rocprim17ROCPRIM_400000_NS6detail17trampoline_kernelINS0_14default_configENS1_35adjacent_difference_config_selectorILb0EfEEZNS1_24adjacent_difference_implIS3_Lb0ELb0EPfS7_N6thrust23THRUST_200600_302600_NS4plusIfEEEE10hipError_tPvRmT2_T3_mT4_P12ihipStream_tbEUlT_E_NS1_11comp_targetILNS1_3genE2ELNS1_11target_archE906ELNS1_3gpuE6ELNS1_3repE0EEENS1_30default_config_static_selectorELNS0_4arch9wavefront6targetE1EEEvT1_, .Lfunc_end183-_ZN7rocprim17ROCPRIM_400000_NS6detail17trampoline_kernelINS0_14default_configENS1_35adjacent_difference_config_selectorILb0EfEEZNS1_24adjacent_difference_implIS3_Lb0ELb0EPfS7_N6thrust23THRUST_200600_302600_NS4plusIfEEEE10hipError_tPvRmT2_T3_mT4_P12ihipStream_tbEUlT_E_NS1_11comp_targetILNS1_3genE2ELNS1_11target_archE906ELNS1_3gpuE6ELNS1_3repE0EEENS1_30default_config_static_selectorELNS0_4arch9wavefront6targetE1EEEvT1_
                                        ; -- End function
	.section	.AMDGPU.csdata,"",@progbits
; Kernel info:
; codeLenInByte = 0
; NumSgprs: 6
; NumVgprs: 0
; NumAgprs: 0
; TotalNumVgprs: 0
; ScratchSize: 0
; MemoryBound: 0
; FloatMode: 240
; IeeeMode: 1
; LDSByteSize: 0 bytes/workgroup (compile time only)
; SGPRBlocks: 0
; VGPRBlocks: 0
; NumSGPRsForWavesPerEU: 6
; NumVGPRsForWavesPerEU: 1
; AccumOffset: 4
; Occupancy: 8
; WaveLimiterHint : 0
; COMPUTE_PGM_RSRC2:SCRATCH_EN: 0
; COMPUTE_PGM_RSRC2:USER_SGPR: 2
; COMPUTE_PGM_RSRC2:TRAP_HANDLER: 0
; COMPUTE_PGM_RSRC2:TGID_X_EN: 1
; COMPUTE_PGM_RSRC2:TGID_Y_EN: 0
; COMPUTE_PGM_RSRC2:TGID_Z_EN: 0
; COMPUTE_PGM_RSRC2:TIDIG_COMP_CNT: 0
; COMPUTE_PGM_RSRC3_GFX90A:ACCUM_OFFSET: 0
; COMPUTE_PGM_RSRC3_GFX90A:TG_SPLIT: 0
	.section	.text._ZN7rocprim17ROCPRIM_400000_NS6detail17trampoline_kernelINS0_14default_configENS1_35adjacent_difference_config_selectorILb0EfEEZNS1_24adjacent_difference_implIS3_Lb0ELb0EPfS7_N6thrust23THRUST_200600_302600_NS4plusIfEEEE10hipError_tPvRmT2_T3_mT4_P12ihipStream_tbEUlT_E_NS1_11comp_targetILNS1_3genE9ELNS1_11target_archE1100ELNS1_3gpuE3ELNS1_3repE0EEENS1_30default_config_static_selectorELNS0_4arch9wavefront6targetE1EEEvT1_,"axG",@progbits,_ZN7rocprim17ROCPRIM_400000_NS6detail17trampoline_kernelINS0_14default_configENS1_35adjacent_difference_config_selectorILb0EfEEZNS1_24adjacent_difference_implIS3_Lb0ELb0EPfS7_N6thrust23THRUST_200600_302600_NS4plusIfEEEE10hipError_tPvRmT2_T3_mT4_P12ihipStream_tbEUlT_E_NS1_11comp_targetILNS1_3genE9ELNS1_11target_archE1100ELNS1_3gpuE3ELNS1_3repE0EEENS1_30default_config_static_selectorELNS0_4arch9wavefront6targetE1EEEvT1_,comdat
	.protected	_ZN7rocprim17ROCPRIM_400000_NS6detail17trampoline_kernelINS0_14default_configENS1_35adjacent_difference_config_selectorILb0EfEEZNS1_24adjacent_difference_implIS3_Lb0ELb0EPfS7_N6thrust23THRUST_200600_302600_NS4plusIfEEEE10hipError_tPvRmT2_T3_mT4_P12ihipStream_tbEUlT_E_NS1_11comp_targetILNS1_3genE9ELNS1_11target_archE1100ELNS1_3gpuE3ELNS1_3repE0EEENS1_30default_config_static_selectorELNS0_4arch9wavefront6targetE1EEEvT1_ ; -- Begin function _ZN7rocprim17ROCPRIM_400000_NS6detail17trampoline_kernelINS0_14default_configENS1_35adjacent_difference_config_selectorILb0EfEEZNS1_24adjacent_difference_implIS3_Lb0ELb0EPfS7_N6thrust23THRUST_200600_302600_NS4plusIfEEEE10hipError_tPvRmT2_T3_mT4_P12ihipStream_tbEUlT_E_NS1_11comp_targetILNS1_3genE9ELNS1_11target_archE1100ELNS1_3gpuE3ELNS1_3repE0EEENS1_30default_config_static_selectorELNS0_4arch9wavefront6targetE1EEEvT1_
	.globl	_ZN7rocprim17ROCPRIM_400000_NS6detail17trampoline_kernelINS0_14default_configENS1_35adjacent_difference_config_selectorILb0EfEEZNS1_24adjacent_difference_implIS3_Lb0ELb0EPfS7_N6thrust23THRUST_200600_302600_NS4plusIfEEEE10hipError_tPvRmT2_T3_mT4_P12ihipStream_tbEUlT_E_NS1_11comp_targetILNS1_3genE9ELNS1_11target_archE1100ELNS1_3gpuE3ELNS1_3repE0EEENS1_30default_config_static_selectorELNS0_4arch9wavefront6targetE1EEEvT1_
	.p2align	8
	.type	_ZN7rocprim17ROCPRIM_400000_NS6detail17trampoline_kernelINS0_14default_configENS1_35adjacent_difference_config_selectorILb0EfEEZNS1_24adjacent_difference_implIS3_Lb0ELb0EPfS7_N6thrust23THRUST_200600_302600_NS4plusIfEEEE10hipError_tPvRmT2_T3_mT4_P12ihipStream_tbEUlT_E_NS1_11comp_targetILNS1_3genE9ELNS1_11target_archE1100ELNS1_3gpuE3ELNS1_3repE0EEENS1_30default_config_static_selectorELNS0_4arch9wavefront6targetE1EEEvT1_,@function
_ZN7rocprim17ROCPRIM_400000_NS6detail17trampoline_kernelINS0_14default_configENS1_35adjacent_difference_config_selectorILb0EfEEZNS1_24adjacent_difference_implIS3_Lb0ELb0EPfS7_N6thrust23THRUST_200600_302600_NS4plusIfEEEE10hipError_tPvRmT2_T3_mT4_P12ihipStream_tbEUlT_E_NS1_11comp_targetILNS1_3genE9ELNS1_11target_archE1100ELNS1_3gpuE3ELNS1_3repE0EEENS1_30default_config_static_selectorELNS0_4arch9wavefront6targetE1EEEvT1_: ; @_ZN7rocprim17ROCPRIM_400000_NS6detail17trampoline_kernelINS0_14default_configENS1_35adjacent_difference_config_selectorILb0EfEEZNS1_24adjacent_difference_implIS3_Lb0ELb0EPfS7_N6thrust23THRUST_200600_302600_NS4plusIfEEEE10hipError_tPvRmT2_T3_mT4_P12ihipStream_tbEUlT_E_NS1_11comp_targetILNS1_3genE9ELNS1_11target_archE1100ELNS1_3gpuE3ELNS1_3repE0EEENS1_30default_config_static_selectorELNS0_4arch9wavefront6targetE1EEEvT1_
; %bb.0:
	.section	.rodata,"a",@progbits
	.p2align	6, 0x0
	.amdhsa_kernel _ZN7rocprim17ROCPRIM_400000_NS6detail17trampoline_kernelINS0_14default_configENS1_35adjacent_difference_config_selectorILb0EfEEZNS1_24adjacent_difference_implIS3_Lb0ELb0EPfS7_N6thrust23THRUST_200600_302600_NS4plusIfEEEE10hipError_tPvRmT2_T3_mT4_P12ihipStream_tbEUlT_E_NS1_11comp_targetILNS1_3genE9ELNS1_11target_archE1100ELNS1_3gpuE3ELNS1_3repE0EEENS1_30default_config_static_selectorELNS0_4arch9wavefront6targetE1EEEvT1_
		.amdhsa_group_segment_fixed_size 0
		.amdhsa_private_segment_fixed_size 0
		.amdhsa_kernarg_size 56
		.amdhsa_user_sgpr_count 2
		.amdhsa_user_sgpr_dispatch_ptr 0
		.amdhsa_user_sgpr_queue_ptr 0
		.amdhsa_user_sgpr_kernarg_segment_ptr 1
		.amdhsa_user_sgpr_dispatch_id 0
		.amdhsa_user_sgpr_kernarg_preload_length 0
		.amdhsa_user_sgpr_kernarg_preload_offset 0
		.amdhsa_user_sgpr_private_segment_size 0
		.amdhsa_uses_dynamic_stack 0
		.amdhsa_enable_private_segment 0
		.amdhsa_system_sgpr_workgroup_id_x 1
		.amdhsa_system_sgpr_workgroup_id_y 0
		.amdhsa_system_sgpr_workgroup_id_z 0
		.amdhsa_system_sgpr_workgroup_info 0
		.amdhsa_system_vgpr_workitem_id 0
		.amdhsa_next_free_vgpr 1
		.amdhsa_next_free_sgpr 0
		.amdhsa_accum_offset 4
		.amdhsa_reserve_vcc 0
		.amdhsa_float_round_mode_32 0
		.amdhsa_float_round_mode_16_64 0
		.amdhsa_float_denorm_mode_32 3
		.amdhsa_float_denorm_mode_16_64 3
		.amdhsa_dx10_clamp 1
		.amdhsa_ieee_mode 1
		.amdhsa_fp16_overflow 0
		.amdhsa_tg_split 0
		.amdhsa_exception_fp_ieee_invalid_op 0
		.amdhsa_exception_fp_denorm_src 0
		.amdhsa_exception_fp_ieee_div_zero 0
		.amdhsa_exception_fp_ieee_overflow 0
		.amdhsa_exception_fp_ieee_underflow 0
		.amdhsa_exception_fp_ieee_inexact 0
		.amdhsa_exception_int_div_zero 0
	.end_amdhsa_kernel
	.section	.text._ZN7rocprim17ROCPRIM_400000_NS6detail17trampoline_kernelINS0_14default_configENS1_35adjacent_difference_config_selectorILb0EfEEZNS1_24adjacent_difference_implIS3_Lb0ELb0EPfS7_N6thrust23THRUST_200600_302600_NS4plusIfEEEE10hipError_tPvRmT2_T3_mT4_P12ihipStream_tbEUlT_E_NS1_11comp_targetILNS1_3genE9ELNS1_11target_archE1100ELNS1_3gpuE3ELNS1_3repE0EEENS1_30default_config_static_selectorELNS0_4arch9wavefront6targetE1EEEvT1_,"axG",@progbits,_ZN7rocprim17ROCPRIM_400000_NS6detail17trampoline_kernelINS0_14default_configENS1_35adjacent_difference_config_selectorILb0EfEEZNS1_24adjacent_difference_implIS3_Lb0ELb0EPfS7_N6thrust23THRUST_200600_302600_NS4plusIfEEEE10hipError_tPvRmT2_T3_mT4_P12ihipStream_tbEUlT_E_NS1_11comp_targetILNS1_3genE9ELNS1_11target_archE1100ELNS1_3gpuE3ELNS1_3repE0EEENS1_30default_config_static_selectorELNS0_4arch9wavefront6targetE1EEEvT1_,comdat
.Lfunc_end184:
	.size	_ZN7rocprim17ROCPRIM_400000_NS6detail17trampoline_kernelINS0_14default_configENS1_35adjacent_difference_config_selectorILb0EfEEZNS1_24adjacent_difference_implIS3_Lb0ELb0EPfS7_N6thrust23THRUST_200600_302600_NS4plusIfEEEE10hipError_tPvRmT2_T3_mT4_P12ihipStream_tbEUlT_E_NS1_11comp_targetILNS1_3genE9ELNS1_11target_archE1100ELNS1_3gpuE3ELNS1_3repE0EEENS1_30default_config_static_selectorELNS0_4arch9wavefront6targetE1EEEvT1_, .Lfunc_end184-_ZN7rocprim17ROCPRIM_400000_NS6detail17trampoline_kernelINS0_14default_configENS1_35adjacent_difference_config_selectorILb0EfEEZNS1_24adjacent_difference_implIS3_Lb0ELb0EPfS7_N6thrust23THRUST_200600_302600_NS4plusIfEEEE10hipError_tPvRmT2_T3_mT4_P12ihipStream_tbEUlT_E_NS1_11comp_targetILNS1_3genE9ELNS1_11target_archE1100ELNS1_3gpuE3ELNS1_3repE0EEENS1_30default_config_static_selectorELNS0_4arch9wavefront6targetE1EEEvT1_
                                        ; -- End function
	.section	.AMDGPU.csdata,"",@progbits
; Kernel info:
; codeLenInByte = 0
; NumSgprs: 6
; NumVgprs: 0
; NumAgprs: 0
; TotalNumVgprs: 0
; ScratchSize: 0
; MemoryBound: 0
; FloatMode: 240
; IeeeMode: 1
; LDSByteSize: 0 bytes/workgroup (compile time only)
; SGPRBlocks: 0
; VGPRBlocks: 0
; NumSGPRsForWavesPerEU: 6
; NumVGPRsForWavesPerEU: 1
; AccumOffset: 4
; Occupancy: 8
; WaveLimiterHint : 0
; COMPUTE_PGM_RSRC2:SCRATCH_EN: 0
; COMPUTE_PGM_RSRC2:USER_SGPR: 2
; COMPUTE_PGM_RSRC2:TRAP_HANDLER: 0
; COMPUTE_PGM_RSRC2:TGID_X_EN: 1
; COMPUTE_PGM_RSRC2:TGID_Y_EN: 0
; COMPUTE_PGM_RSRC2:TGID_Z_EN: 0
; COMPUTE_PGM_RSRC2:TIDIG_COMP_CNT: 0
; COMPUTE_PGM_RSRC3_GFX90A:ACCUM_OFFSET: 0
; COMPUTE_PGM_RSRC3_GFX90A:TG_SPLIT: 0
	.section	.text._ZN7rocprim17ROCPRIM_400000_NS6detail17trampoline_kernelINS0_14default_configENS1_35adjacent_difference_config_selectorILb0EfEEZNS1_24adjacent_difference_implIS3_Lb0ELb0EPfS7_N6thrust23THRUST_200600_302600_NS4plusIfEEEE10hipError_tPvRmT2_T3_mT4_P12ihipStream_tbEUlT_E_NS1_11comp_targetILNS1_3genE8ELNS1_11target_archE1030ELNS1_3gpuE2ELNS1_3repE0EEENS1_30default_config_static_selectorELNS0_4arch9wavefront6targetE1EEEvT1_,"axG",@progbits,_ZN7rocprim17ROCPRIM_400000_NS6detail17trampoline_kernelINS0_14default_configENS1_35adjacent_difference_config_selectorILb0EfEEZNS1_24adjacent_difference_implIS3_Lb0ELb0EPfS7_N6thrust23THRUST_200600_302600_NS4plusIfEEEE10hipError_tPvRmT2_T3_mT4_P12ihipStream_tbEUlT_E_NS1_11comp_targetILNS1_3genE8ELNS1_11target_archE1030ELNS1_3gpuE2ELNS1_3repE0EEENS1_30default_config_static_selectorELNS0_4arch9wavefront6targetE1EEEvT1_,comdat
	.protected	_ZN7rocprim17ROCPRIM_400000_NS6detail17trampoline_kernelINS0_14default_configENS1_35adjacent_difference_config_selectorILb0EfEEZNS1_24adjacent_difference_implIS3_Lb0ELb0EPfS7_N6thrust23THRUST_200600_302600_NS4plusIfEEEE10hipError_tPvRmT2_T3_mT4_P12ihipStream_tbEUlT_E_NS1_11comp_targetILNS1_3genE8ELNS1_11target_archE1030ELNS1_3gpuE2ELNS1_3repE0EEENS1_30default_config_static_selectorELNS0_4arch9wavefront6targetE1EEEvT1_ ; -- Begin function _ZN7rocprim17ROCPRIM_400000_NS6detail17trampoline_kernelINS0_14default_configENS1_35adjacent_difference_config_selectorILb0EfEEZNS1_24adjacent_difference_implIS3_Lb0ELb0EPfS7_N6thrust23THRUST_200600_302600_NS4plusIfEEEE10hipError_tPvRmT2_T3_mT4_P12ihipStream_tbEUlT_E_NS1_11comp_targetILNS1_3genE8ELNS1_11target_archE1030ELNS1_3gpuE2ELNS1_3repE0EEENS1_30default_config_static_selectorELNS0_4arch9wavefront6targetE1EEEvT1_
	.globl	_ZN7rocprim17ROCPRIM_400000_NS6detail17trampoline_kernelINS0_14default_configENS1_35adjacent_difference_config_selectorILb0EfEEZNS1_24adjacent_difference_implIS3_Lb0ELb0EPfS7_N6thrust23THRUST_200600_302600_NS4plusIfEEEE10hipError_tPvRmT2_T3_mT4_P12ihipStream_tbEUlT_E_NS1_11comp_targetILNS1_3genE8ELNS1_11target_archE1030ELNS1_3gpuE2ELNS1_3repE0EEENS1_30default_config_static_selectorELNS0_4arch9wavefront6targetE1EEEvT1_
	.p2align	8
	.type	_ZN7rocprim17ROCPRIM_400000_NS6detail17trampoline_kernelINS0_14default_configENS1_35adjacent_difference_config_selectorILb0EfEEZNS1_24adjacent_difference_implIS3_Lb0ELb0EPfS7_N6thrust23THRUST_200600_302600_NS4plusIfEEEE10hipError_tPvRmT2_T3_mT4_P12ihipStream_tbEUlT_E_NS1_11comp_targetILNS1_3genE8ELNS1_11target_archE1030ELNS1_3gpuE2ELNS1_3repE0EEENS1_30default_config_static_selectorELNS0_4arch9wavefront6targetE1EEEvT1_,@function
_ZN7rocprim17ROCPRIM_400000_NS6detail17trampoline_kernelINS0_14default_configENS1_35adjacent_difference_config_selectorILb0EfEEZNS1_24adjacent_difference_implIS3_Lb0ELb0EPfS7_N6thrust23THRUST_200600_302600_NS4plusIfEEEE10hipError_tPvRmT2_T3_mT4_P12ihipStream_tbEUlT_E_NS1_11comp_targetILNS1_3genE8ELNS1_11target_archE1030ELNS1_3gpuE2ELNS1_3repE0EEENS1_30default_config_static_selectorELNS0_4arch9wavefront6targetE1EEEvT1_: ; @_ZN7rocprim17ROCPRIM_400000_NS6detail17trampoline_kernelINS0_14default_configENS1_35adjacent_difference_config_selectorILb0EfEEZNS1_24adjacent_difference_implIS3_Lb0ELb0EPfS7_N6thrust23THRUST_200600_302600_NS4plusIfEEEE10hipError_tPvRmT2_T3_mT4_P12ihipStream_tbEUlT_E_NS1_11comp_targetILNS1_3genE8ELNS1_11target_archE1030ELNS1_3gpuE2ELNS1_3repE0EEENS1_30default_config_static_selectorELNS0_4arch9wavefront6targetE1EEEvT1_
; %bb.0:
	.section	.rodata,"a",@progbits
	.p2align	6, 0x0
	.amdhsa_kernel _ZN7rocprim17ROCPRIM_400000_NS6detail17trampoline_kernelINS0_14default_configENS1_35adjacent_difference_config_selectorILb0EfEEZNS1_24adjacent_difference_implIS3_Lb0ELb0EPfS7_N6thrust23THRUST_200600_302600_NS4plusIfEEEE10hipError_tPvRmT2_T3_mT4_P12ihipStream_tbEUlT_E_NS1_11comp_targetILNS1_3genE8ELNS1_11target_archE1030ELNS1_3gpuE2ELNS1_3repE0EEENS1_30default_config_static_selectorELNS0_4arch9wavefront6targetE1EEEvT1_
		.amdhsa_group_segment_fixed_size 0
		.amdhsa_private_segment_fixed_size 0
		.amdhsa_kernarg_size 56
		.amdhsa_user_sgpr_count 2
		.amdhsa_user_sgpr_dispatch_ptr 0
		.amdhsa_user_sgpr_queue_ptr 0
		.amdhsa_user_sgpr_kernarg_segment_ptr 1
		.amdhsa_user_sgpr_dispatch_id 0
		.amdhsa_user_sgpr_kernarg_preload_length 0
		.amdhsa_user_sgpr_kernarg_preload_offset 0
		.amdhsa_user_sgpr_private_segment_size 0
		.amdhsa_uses_dynamic_stack 0
		.amdhsa_enable_private_segment 0
		.amdhsa_system_sgpr_workgroup_id_x 1
		.amdhsa_system_sgpr_workgroup_id_y 0
		.amdhsa_system_sgpr_workgroup_id_z 0
		.amdhsa_system_sgpr_workgroup_info 0
		.amdhsa_system_vgpr_workitem_id 0
		.amdhsa_next_free_vgpr 1
		.amdhsa_next_free_sgpr 0
		.amdhsa_accum_offset 4
		.amdhsa_reserve_vcc 0
		.amdhsa_float_round_mode_32 0
		.amdhsa_float_round_mode_16_64 0
		.amdhsa_float_denorm_mode_32 3
		.amdhsa_float_denorm_mode_16_64 3
		.amdhsa_dx10_clamp 1
		.amdhsa_ieee_mode 1
		.amdhsa_fp16_overflow 0
		.amdhsa_tg_split 0
		.amdhsa_exception_fp_ieee_invalid_op 0
		.amdhsa_exception_fp_denorm_src 0
		.amdhsa_exception_fp_ieee_div_zero 0
		.amdhsa_exception_fp_ieee_overflow 0
		.amdhsa_exception_fp_ieee_underflow 0
		.amdhsa_exception_fp_ieee_inexact 0
		.amdhsa_exception_int_div_zero 0
	.end_amdhsa_kernel
	.section	.text._ZN7rocprim17ROCPRIM_400000_NS6detail17trampoline_kernelINS0_14default_configENS1_35adjacent_difference_config_selectorILb0EfEEZNS1_24adjacent_difference_implIS3_Lb0ELb0EPfS7_N6thrust23THRUST_200600_302600_NS4plusIfEEEE10hipError_tPvRmT2_T3_mT4_P12ihipStream_tbEUlT_E_NS1_11comp_targetILNS1_3genE8ELNS1_11target_archE1030ELNS1_3gpuE2ELNS1_3repE0EEENS1_30default_config_static_selectorELNS0_4arch9wavefront6targetE1EEEvT1_,"axG",@progbits,_ZN7rocprim17ROCPRIM_400000_NS6detail17trampoline_kernelINS0_14default_configENS1_35adjacent_difference_config_selectorILb0EfEEZNS1_24adjacent_difference_implIS3_Lb0ELb0EPfS7_N6thrust23THRUST_200600_302600_NS4plusIfEEEE10hipError_tPvRmT2_T3_mT4_P12ihipStream_tbEUlT_E_NS1_11comp_targetILNS1_3genE8ELNS1_11target_archE1030ELNS1_3gpuE2ELNS1_3repE0EEENS1_30default_config_static_selectorELNS0_4arch9wavefront6targetE1EEEvT1_,comdat
.Lfunc_end185:
	.size	_ZN7rocprim17ROCPRIM_400000_NS6detail17trampoline_kernelINS0_14default_configENS1_35adjacent_difference_config_selectorILb0EfEEZNS1_24adjacent_difference_implIS3_Lb0ELb0EPfS7_N6thrust23THRUST_200600_302600_NS4plusIfEEEE10hipError_tPvRmT2_T3_mT4_P12ihipStream_tbEUlT_E_NS1_11comp_targetILNS1_3genE8ELNS1_11target_archE1030ELNS1_3gpuE2ELNS1_3repE0EEENS1_30default_config_static_selectorELNS0_4arch9wavefront6targetE1EEEvT1_, .Lfunc_end185-_ZN7rocprim17ROCPRIM_400000_NS6detail17trampoline_kernelINS0_14default_configENS1_35adjacent_difference_config_selectorILb0EfEEZNS1_24adjacent_difference_implIS3_Lb0ELb0EPfS7_N6thrust23THRUST_200600_302600_NS4plusIfEEEE10hipError_tPvRmT2_T3_mT4_P12ihipStream_tbEUlT_E_NS1_11comp_targetILNS1_3genE8ELNS1_11target_archE1030ELNS1_3gpuE2ELNS1_3repE0EEENS1_30default_config_static_selectorELNS0_4arch9wavefront6targetE1EEEvT1_
                                        ; -- End function
	.section	.AMDGPU.csdata,"",@progbits
; Kernel info:
; codeLenInByte = 0
; NumSgprs: 6
; NumVgprs: 0
; NumAgprs: 0
; TotalNumVgprs: 0
; ScratchSize: 0
; MemoryBound: 0
; FloatMode: 240
; IeeeMode: 1
; LDSByteSize: 0 bytes/workgroup (compile time only)
; SGPRBlocks: 0
; VGPRBlocks: 0
; NumSGPRsForWavesPerEU: 6
; NumVGPRsForWavesPerEU: 1
; AccumOffset: 4
; Occupancy: 8
; WaveLimiterHint : 0
; COMPUTE_PGM_RSRC2:SCRATCH_EN: 0
; COMPUTE_PGM_RSRC2:USER_SGPR: 2
; COMPUTE_PGM_RSRC2:TRAP_HANDLER: 0
; COMPUTE_PGM_RSRC2:TGID_X_EN: 1
; COMPUTE_PGM_RSRC2:TGID_Y_EN: 0
; COMPUTE_PGM_RSRC2:TGID_Z_EN: 0
; COMPUTE_PGM_RSRC2:TIDIG_COMP_CNT: 0
; COMPUTE_PGM_RSRC3_GFX90A:ACCUM_OFFSET: 0
; COMPUTE_PGM_RSRC3_GFX90A:TG_SPLIT: 0
	.section	.text._ZN7rocprim17ROCPRIM_400000_NS6detail17trampoline_kernelINS0_14default_configENS1_25transform_config_selectorIfLb0EEEZNS1_14transform_implILb0ES3_S5_NS0_18transform_iteratorINS0_17counting_iteratorImlEEZNS1_24adjacent_difference_implIS3_Lb1ELb0EPfSB_N6thrust23THRUST_200600_302600_NS4plusIfEEEE10hipError_tPvRmT2_T3_mT4_P12ihipStream_tbEUlmE_fEESB_NS0_8identityIvEEEESG_SJ_SK_mSL_SN_bEUlT_E_NS1_11comp_targetILNS1_3genE0ELNS1_11target_archE4294967295ELNS1_3gpuE0ELNS1_3repE0EEENS1_30default_config_static_selectorELNS0_4arch9wavefront6targetE1EEEvT1_,"axG",@progbits,_ZN7rocprim17ROCPRIM_400000_NS6detail17trampoline_kernelINS0_14default_configENS1_25transform_config_selectorIfLb0EEEZNS1_14transform_implILb0ES3_S5_NS0_18transform_iteratorINS0_17counting_iteratorImlEEZNS1_24adjacent_difference_implIS3_Lb1ELb0EPfSB_N6thrust23THRUST_200600_302600_NS4plusIfEEEE10hipError_tPvRmT2_T3_mT4_P12ihipStream_tbEUlmE_fEESB_NS0_8identityIvEEEESG_SJ_SK_mSL_SN_bEUlT_E_NS1_11comp_targetILNS1_3genE0ELNS1_11target_archE4294967295ELNS1_3gpuE0ELNS1_3repE0EEENS1_30default_config_static_selectorELNS0_4arch9wavefront6targetE1EEEvT1_,comdat
	.protected	_ZN7rocprim17ROCPRIM_400000_NS6detail17trampoline_kernelINS0_14default_configENS1_25transform_config_selectorIfLb0EEEZNS1_14transform_implILb0ES3_S5_NS0_18transform_iteratorINS0_17counting_iteratorImlEEZNS1_24adjacent_difference_implIS3_Lb1ELb0EPfSB_N6thrust23THRUST_200600_302600_NS4plusIfEEEE10hipError_tPvRmT2_T3_mT4_P12ihipStream_tbEUlmE_fEESB_NS0_8identityIvEEEESG_SJ_SK_mSL_SN_bEUlT_E_NS1_11comp_targetILNS1_3genE0ELNS1_11target_archE4294967295ELNS1_3gpuE0ELNS1_3repE0EEENS1_30default_config_static_selectorELNS0_4arch9wavefront6targetE1EEEvT1_ ; -- Begin function _ZN7rocprim17ROCPRIM_400000_NS6detail17trampoline_kernelINS0_14default_configENS1_25transform_config_selectorIfLb0EEEZNS1_14transform_implILb0ES3_S5_NS0_18transform_iteratorINS0_17counting_iteratorImlEEZNS1_24adjacent_difference_implIS3_Lb1ELb0EPfSB_N6thrust23THRUST_200600_302600_NS4plusIfEEEE10hipError_tPvRmT2_T3_mT4_P12ihipStream_tbEUlmE_fEESB_NS0_8identityIvEEEESG_SJ_SK_mSL_SN_bEUlT_E_NS1_11comp_targetILNS1_3genE0ELNS1_11target_archE4294967295ELNS1_3gpuE0ELNS1_3repE0EEENS1_30default_config_static_selectorELNS0_4arch9wavefront6targetE1EEEvT1_
	.globl	_ZN7rocprim17ROCPRIM_400000_NS6detail17trampoline_kernelINS0_14default_configENS1_25transform_config_selectorIfLb0EEEZNS1_14transform_implILb0ES3_S5_NS0_18transform_iteratorINS0_17counting_iteratorImlEEZNS1_24adjacent_difference_implIS3_Lb1ELb0EPfSB_N6thrust23THRUST_200600_302600_NS4plusIfEEEE10hipError_tPvRmT2_T3_mT4_P12ihipStream_tbEUlmE_fEESB_NS0_8identityIvEEEESG_SJ_SK_mSL_SN_bEUlT_E_NS1_11comp_targetILNS1_3genE0ELNS1_11target_archE4294967295ELNS1_3gpuE0ELNS1_3repE0EEENS1_30default_config_static_selectorELNS0_4arch9wavefront6targetE1EEEvT1_
	.p2align	8
	.type	_ZN7rocprim17ROCPRIM_400000_NS6detail17trampoline_kernelINS0_14default_configENS1_25transform_config_selectorIfLb0EEEZNS1_14transform_implILb0ES3_S5_NS0_18transform_iteratorINS0_17counting_iteratorImlEEZNS1_24adjacent_difference_implIS3_Lb1ELb0EPfSB_N6thrust23THRUST_200600_302600_NS4plusIfEEEE10hipError_tPvRmT2_T3_mT4_P12ihipStream_tbEUlmE_fEESB_NS0_8identityIvEEEESG_SJ_SK_mSL_SN_bEUlT_E_NS1_11comp_targetILNS1_3genE0ELNS1_11target_archE4294967295ELNS1_3gpuE0ELNS1_3repE0EEENS1_30default_config_static_selectorELNS0_4arch9wavefront6targetE1EEEvT1_,@function
_ZN7rocprim17ROCPRIM_400000_NS6detail17trampoline_kernelINS0_14default_configENS1_25transform_config_selectorIfLb0EEEZNS1_14transform_implILb0ES3_S5_NS0_18transform_iteratorINS0_17counting_iteratorImlEEZNS1_24adjacent_difference_implIS3_Lb1ELb0EPfSB_N6thrust23THRUST_200600_302600_NS4plusIfEEEE10hipError_tPvRmT2_T3_mT4_P12ihipStream_tbEUlmE_fEESB_NS0_8identityIvEEEESG_SJ_SK_mSL_SN_bEUlT_E_NS1_11comp_targetILNS1_3genE0ELNS1_11target_archE4294967295ELNS1_3gpuE0ELNS1_3repE0EEENS1_30default_config_static_selectorELNS0_4arch9wavefront6targetE1EEEvT1_: ; @_ZN7rocprim17ROCPRIM_400000_NS6detail17trampoline_kernelINS0_14default_configENS1_25transform_config_selectorIfLb0EEEZNS1_14transform_implILb0ES3_S5_NS0_18transform_iteratorINS0_17counting_iteratorImlEEZNS1_24adjacent_difference_implIS3_Lb1ELb0EPfSB_N6thrust23THRUST_200600_302600_NS4plusIfEEEE10hipError_tPvRmT2_T3_mT4_P12ihipStream_tbEUlmE_fEESB_NS0_8identityIvEEEESG_SJ_SK_mSL_SN_bEUlT_E_NS1_11comp_targetILNS1_3genE0ELNS1_11target_archE4294967295ELNS1_3gpuE0ELNS1_3repE0EEENS1_30default_config_static_selectorELNS0_4arch9wavefront6targetE1EEEvT1_
; %bb.0:
	.section	.rodata,"a",@progbits
	.p2align	6, 0x0
	.amdhsa_kernel _ZN7rocprim17ROCPRIM_400000_NS6detail17trampoline_kernelINS0_14default_configENS1_25transform_config_selectorIfLb0EEEZNS1_14transform_implILb0ES3_S5_NS0_18transform_iteratorINS0_17counting_iteratorImlEEZNS1_24adjacent_difference_implIS3_Lb1ELb0EPfSB_N6thrust23THRUST_200600_302600_NS4plusIfEEEE10hipError_tPvRmT2_T3_mT4_P12ihipStream_tbEUlmE_fEESB_NS0_8identityIvEEEESG_SJ_SK_mSL_SN_bEUlT_E_NS1_11comp_targetILNS1_3genE0ELNS1_11target_archE4294967295ELNS1_3gpuE0ELNS1_3repE0EEENS1_30default_config_static_selectorELNS0_4arch9wavefront6targetE1EEEvT1_
		.amdhsa_group_segment_fixed_size 0
		.amdhsa_private_segment_fixed_size 0
		.amdhsa_kernarg_size 56
		.amdhsa_user_sgpr_count 2
		.amdhsa_user_sgpr_dispatch_ptr 0
		.amdhsa_user_sgpr_queue_ptr 0
		.amdhsa_user_sgpr_kernarg_segment_ptr 1
		.amdhsa_user_sgpr_dispatch_id 0
		.amdhsa_user_sgpr_kernarg_preload_length 0
		.amdhsa_user_sgpr_kernarg_preload_offset 0
		.amdhsa_user_sgpr_private_segment_size 0
		.amdhsa_uses_dynamic_stack 0
		.amdhsa_enable_private_segment 0
		.amdhsa_system_sgpr_workgroup_id_x 1
		.amdhsa_system_sgpr_workgroup_id_y 0
		.amdhsa_system_sgpr_workgroup_id_z 0
		.amdhsa_system_sgpr_workgroup_info 0
		.amdhsa_system_vgpr_workitem_id 0
		.amdhsa_next_free_vgpr 1
		.amdhsa_next_free_sgpr 0
		.amdhsa_accum_offset 4
		.amdhsa_reserve_vcc 0
		.amdhsa_float_round_mode_32 0
		.amdhsa_float_round_mode_16_64 0
		.amdhsa_float_denorm_mode_32 3
		.amdhsa_float_denorm_mode_16_64 3
		.amdhsa_dx10_clamp 1
		.amdhsa_ieee_mode 1
		.amdhsa_fp16_overflow 0
		.amdhsa_tg_split 0
		.amdhsa_exception_fp_ieee_invalid_op 0
		.amdhsa_exception_fp_denorm_src 0
		.amdhsa_exception_fp_ieee_div_zero 0
		.amdhsa_exception_fp_ieee_overflow 0
		.amdhsa_exception_fp_ieee_underflow 0
		.amdhsa_exception_fp_ieee_inexact 0
		.amdhsa_exception_int_div_zero 0
	.end_amdhsa_kernel
	.section	.text._ZN7rocprim17ROCPRIM_400000_NS6detail17trampoline_kernelINS0_14default_configENS1_25transform_config_selectorIfLb0EEEZNS1_14transform_implILb0ES3_S5_NS0_18transform_iteratorINS0_17counting_iteratorImlEEZNS1_24adjacent_difference_implIS3_Lb1ELb0EPfSB_N6thrust23THRUST_200600_302600_NS4plusIfEEEE10hipError_tPvRmT2_T3_mT4_P12ihipStream_tbEUlmE_fEESB_NS0_8identityIvEEEESG_SJ_SK_mSL_SN_bEUlT_E_NS1_11comp_targetILNS1_3genE0ELNS1_11target_archE4294967295ELNS1_3gpuE0ELNS1_3repE0EEENS1_30default_config_static_selectorELNS0_4arch9wavefront6targetE1EEEvT1_,"axG",@progbits,_ZN7rocprim17ROCPRIM_400000_NS6detail17trampoline_kernelINS0_14default_configENS1_25transform_config_selectorIfLb0EEEZNS1_14transform_implILb0ES3_S5_NS0_18transform_iteratorINS0_17counting_iteratorImlEEZNS1_24adjacent_difference_implIS3_Lb1ELb0EPfSB_N6thrust23THRUST_200600_302600_NS4plusIfEEEE10hipError_tPvRmT2_T3_mT4_P12ihipStream_tbEUlmE_fEESB_NS0_8identityIvEEEESG_SJ_SK_mSL_SN_bEUlT_E_NS1_11comp_targetILNS1_3genE0ELNS1_11target_archE4294967295ELNS1_3gpuE0ELNS1_3repE0EEENS1_30default_config_static_selectorELNS0_4arch9wavefront6targetE1EEEvT1_,comdat
.Lfunc_end186:
	.size	_ZN7rocprim17ROCPRIM_400000_NS6detail17trampoline_kernelINS0_14default_configENS1_25transform_config_selectorIfLb0EEEZNS1_14transform_implILb0ES3_S5_NS0_18transform_iteratorINS0_17counting_iteratorImlEEZNS1_24adjacent_difference_implIS3_Lb1ELb0EPfSB_N6thrust23THRUST_200600_302600_NS4plusIfEEEE10hipError_tPvRmT2_T3_mT4_P12ihipStream_tbEUlmE_fEESB_NS0_8identityIvEEEESG_SJ_SK_mSL_SN_bEUlT_E_NS1_11comp_targetILNS1_3genE0ELNS1_11target_archE4294967295ELNS1_3gpuE0ELNS1_3repE0EEENS1_30default_config_static_selectorELNS0_4arch9wavefront6targetE1EEEvT1_, .Lfunc_end186-_ZN7rocprim17ROCPRIM_400000_NS6detail17trampoline_kernelINS0_14default_configENS1_25transform_config_selectorIfLb0EEEZNS1_14transform_implILb0ES3_S5_NS0_18transform_iteratorINS0_17counting_iteratorImlEEZNS1_24adjacent_difference_implIS3_Lb1ELb0EPfSB_N6thrust23THRUST_200600_302600_NS4plusIfEEEE10hipError_tPvRmT2_T3_mT4_P12ihipStream_tbEUlmE_fEESB_NS0_8identityIvEEEESG_SJ_SK_mSL_SN_bEUlT_E_NS1_11comp_targetILNS1_3genE0ELNS1_11target_archE4294967295ELNS1_3gpuE0ELNS1_3repE0EEENS1_30default_config_static_selectorELNS0_4arch9wavefront6targetE1EEEvT1_
                                        ; -- End function
	.section	.AMDGPU.csdata,"",@progbits
; Kernel info:
; codeLenInByte = 0
; NumSgprs: 6
; NumVgprs: 0
; NumAgprs: 0
; TotalNumVgprs: 0
; ScratchSize: 0
; MemoryBound: 0
; FloatMode: 240
; IeeeMode: 1
; LDSByteSize: 0 bytes/workgroup (compile time only)
; SGPRBlocks: 0
; VGPRBlocks: 0
; NumSGPRsForWavesPerEU: 6
; NumVGPRsForWavesPerEU: 1
; AccumOffset: 4
; Occupancy: 8
; WaveLimiterHint : 0
; COMPUTE_PGM_RSRC2:SCRATCH_EN: 0
; COMPUTE_PGM_RSRC2:USER_SGPR: 2
; COMPUTE_PGM_RSRC2:TRAP_HANDLER: 0
; COMPUTE_PGM_RSRC2:TGID_X_EN: 1
; COMPUTE_PGM_RSRC2:TGID_Y_EN: 0
; COMPUTE_PGM_RSRC2:TGID_Z_EN: 0
; COMPUTE_PGM_RSRC2:TIDIG_COMP_CNT: 0
; COMPUTE_PGM_RSRC3_GFX90A:ACCUM_OFFSET: 0
; COMPUTE_PGM_RSRC3_GFX90A:TG_SPLIT: 0
	.section	.text._ZN7rocprim17ROCPRIM_400000_NS6detail17trampoline_kernelINS0_14default_configENS1_25transform_config_selectorIfLb0EEEZNS1_14transform_implILb0ES3_S5_NS0_18transform_iteratorINS0_17counting_iteratorImlEEZNS1_24adjacent_difference_implIS3_Lb1ELb0EPfSB_N6thrust23THRUST_200600_302600_NS4plusIfEEEE10hipError_tPvRmT2_T3_mT4_P12ihipStream_tbEUlmE_fEESB_NS0_8identityIvEEEESG_SJ_SK_mSL_SN_bEUlT_E_NS1_11comp_targetILNS1_3genE5ELNS1_11target_archE942ELNS1_3gpuE9ELNS1_3repE0EEENS1_30default_config_static_selectorELNS0_4arch9wavefront6targetE1EEEvT1_,"axG",@progbits,_ZN7rocprim17ROCPRIM_400000_NS6detail17trampoline_kernelINS0_14default_configENS1_25transform_config_selectorIfLb0EEEZNS1_14transform_implILb0ES3_S5_NS0_18transform_iteratorINS0_17counting_iteratorImlEEZNS1_24adjacent_difference_implIS3_Lb1ELb0EPfSB_N6thrust23THRUST_200600_302600_NS4plusIfEEEE10hipError_tPvRmT2_T3_mT4_P12ihipStream_tbEUlmE_fEESB_NS0_8identityIvEEEESG_SJ_SK_mSL_SN_bEUlT_E_NS1_11comp_targetILNS1_3genE5ELNS1_11target_archE942ELNS1_3gpuE9ELNS1_3repE0EEENS1_30default_config_static_selectorELNS0_4arch9wavefront6targetE1EEEvT1_,comdat
	.protected	_ZN7rocprim17ROCPRIM_400000_NS6detail17trampoline_kernelINS0_14default_configENS1_25transform_config_selectorIfLb0EEEZNS1_14transform_implILb0ES3_S5_NS0_18transform_iteratorINS0_17counting_iteratorImlEEZNS1_24adjacent_difference_implIS3_Lb1ELb0EPfSB_N6thrust23THRUST_200600_302600_NS4plusIfEEEE10hipError_tPvRmT2_T3_mT4_P12ihipStream_tbEUlmE_fEESB_NS0_8identityIvEEEESG_SJ_SK_mSL_SN_bEUlT_E_NS1_11comp_targetILNS1_3genE5ELNS1_11target_archE942ELNS1_3gpuE9ELNS1_3repE0EEENS1_30default_config_static_selectorELNS0_4arch9wavefront6targetE1EEEvT1_ ; -- Begin function _ZN7rocprim17ROCPRIM_400000_NS6detail17trampoline_kernelINS0_14default_configENS1_25transform_config_selectorIfLb0EEEZNS1_14transform_implILb0ES3_S5_NS0_18transform_iteratorINS0_17counting_iteratorImlEEZNS1_24adjacent_difference_implIS3_Lb1ELb0EPfSB_N6thrust23THRUST_200600_302600_NS4plusIfEEEE10hipError_tPvRmT2_T3_mT4_P12ihipStream_tbEUlmE_fEESB_NS0_8identityIvEEEESG_SJ_SK_mSL_SN_bEUlT_E_NS1_11comp_targetILNS1_3genE5ELNS1_11target_archE942ELNS1_3gpuE9ELNS1_3repE0EEENS1_30default_config_static_selectorELNS0_4arch9wavefront6targetE1EEEvT1_
	.globl	_ZN7rocprim17ROCPRIM_400000_NS6detail17trampoline_kernelINS0_14default_configENS1_25transform_config_selectorIfLb0EEEZNS1_14transform_implILb0ES3_S5_NS0_18transform_iteratorINS0_17counting_iteratorImlEEZNS1_24adjacent_difference_implIS3_Lb1ELb0EPfSB_N6thrust23THRUST_200600_302600_NS4plusIfEEEE10hipError_tPvRmT2_T3_mT4_P12ihipStream_tbEUlmE_fEESB_NS0_8identityIvEEEESG_SJ_SK_mSL_SN_bEUlT_E_NS1_11comp_targetILNS1_3genE5ELNS1_11target_archE942ELNS1_3gpuE9ELNS1_3repE0EEENS1_30default_config_static_selectorELNS0_4arch9wavefront6targetE1EEEvT1_
	.p2align	8
	.type	_ZN7rocprim17ROCPRIM_400000_NS6detail17trampoline_kernelINS0_14default_configENS1_25transform_config_selectorIfLb0EEEZNS1_14transform_implILb0ES3_S5_NS0_18transform_iteratorINS0_17counting_iteratorImlEEZNS1_24adjacent_difference_implIS3_Lb1ELb0EPfSB_N6thrust23THRUST_200600_302600_NS4plusIfEEEE10hipError_tPvRmT2_T3_mT4_P12ihipStream_tbEUlmE_fEESB_NS0_8identityIvEEEESG_SJ_SK_mSL_SN_bEUlT_E_NS1_11comp_targetILNS1_3genE5ELNS1_11target_archE942ELNS1_3gpuE9ELNS1_3repE0EEENS1_30default_config_static_selectorELNS0_4arch9wavefront6targetE1EEEvT1_,@function
_ZN7rocprim17ROCPRIM_400000_NS6detail17trampoline_kernelINS0_14default_configENS1_25transform_config_selectorIfLb0EEEZNS1_14transform_implILb0ES3_S5_NS0_18transform_iteratorINS0_17counting_iteratorImlEEZNS1_24adjacent_difference_implIS3_Lb1ELb0EPfSB_N6thrust23THRUST_200600_302600_NS4plusIfEEEE10hipError_tPvRmT2_T3_mT4_P12ihipStream_tbEUlmE_fEESB_NS0_8identityIvEEEESG_SJ_SK_mSL_SN_bEUlT_E_NS1_11comp_targetILNS1_3genE5ELNS1_11target_archE942ELNS1_3gpuE9ELNS1_3repE0EEENS1_30default_config_static_selectorELNS0_4arch9wavefront6targetE1EEEvT1_: ; @_ZN7rocprim17ROCPRIM_400000_NS6detail17trampoline_kernelINS0_14default_configENS1_25transform_config_selectorIfLb0EEEZNS1_14transform_implILb0ES3_S5_NS0_18transform_iteratorINS0_17counting_iteratorImlEEZNS1_24adjacent_difference_implIS3_Lb1ELb0EPfSB_N6thrust23THRUST_200600_302600_NS4plusIfEEEE10hipError_tPvRmT2_T3_mT4_P12ihipStream_tbEUlmE_fEESB_NS0_8identityIvEEEESG_SJ_SK_mSL_SN_bEUlT_E_NS1_11comp_targetILNS1_3genE5ELNS1_11target_archE942ELNS1_3gpuE9ELNS1_3repE0EEENS1_30default_config_static_selectorELNS0_4arch9wavefront6targetE1EEEvT1_
; %bb.0:
	s_load_dwordx4 s[8:11], s[0:1], 0x18
	s_load_dwordx2 s[14:15], s[0:1], 0x28
	s_load_dwordx4 s[4:7], s[0:1], 0x0
	s_load_dword s12, s[0:1], 0x10
	s_load_dword s3, s[0:1], 0x38
	s_waitcnt lgkmcnt(0)
	s_lshl_b64 s[0:1], s[8:9], 2
	s_add_u32 s18, s14, s0
	s_addc_u32 s19, s15, s1
	s_lshl_b32 s14, s2, 10
	s_add_i32 s3, s3, -1
	s_add_u32 s0, s4, s14
	s_addc_u32 s1, s5, 0
	s_add_u32 s16, s0, s8
	s_addc_u32 s17, s1, s9
	s_mov_b32 s15, 0
	s_cmp_lg_u32 s2, s3
	v_lshlrev_b32_e32 v6, 2, v0
	s_cbranch_scc0 .LBB187_2
; %bb.1:
	v_mov_b32_e32 v1, 0
	v_lshl_add_u64 v[2:3], s[16:17], 0, v[0:1]
	v_mad_u64_u32 v[4:5], s[0:1], v2, s12, 0
	v_mov_b32_e32 v2, v5
	v_mad_u64_u32 v[2:3], s[0:1], v3, s12, v[2:3]
	s_mov_b32 s13, s15
	v_mov_b32_e32 v5, v2
	v_lshl_add_u64 v[2:3], v[4:5], 2, s[6:7]
	s_lshl_b64 s[0:1], s[12:13], 10
	v_lshl_add_u64 v[4:5], v[2:3], 0, s[0:1]
	v_lshl_add_u64 v[8:9], v[4:5], 0, s[0:1]
	global_load_dword v10, v[2:3], off
	global_load_dword v11, v[4:5], off
	;; [unrolled: 1-line block ×3, first 2 shown]
	v_lshl_add_u64 v[2:3], v[8:9], 0, s[0:1]
	global_load_dword v2, v[2:3], off
	s_lshl_b64 s[2:3], s[14:15], 2
	s_add_u32 s2, s18, s2
	v_mov_b32_e32 v7, v1
	s_addc_u32 s3, s19, s3
	v_lshl_add_u64 v[8:9], s[2:3], 0, v[6:7]
	s_mov_b64 s[8:9], -1
	s_waitcnt vmcnt(3)
	global_store_dword v6, v10, s[2:3]
	s_waitcnt vmcnt(3)
	global_store_dword v6, v11, s[2:3] offset:1024
	s_waitcnt vmcnt(3)
	global_store_dword v6, v12, s[2:3] offset:2048
	s_cbranch_execz .LBB187_3
	s_branch .LBB187_17
.LBB187_2:
	s_mov_b64 s[8:9], 0
                                        ; implicit-def: $vgpr2
                                        ; implicit-def: $vgpr8_vgpr9
.LBB187_3:
	s_sub_i32 s10, s10, s14
	v_cmp_gt_u32_e32 vcc, s10, v0
                                        ; implicit-def: $vgpr2_vgpr3_vgpr4_vgpr5
	s_and_saveexec_b64 s[0:1], vcc
	s_cbranch_execz .LBB187_5
; %bb.4:
	v_mov_b32_e32 v1, 0
	s_waitcnt vmcnt(3)
	v_lshl_add_u64 v[2:3], s[16:17], 0, v[0:1]
	v_mad_u64_u32 v[4:5], s[2:3], v2, s12, 0
	v_mov_b32_e32 v2, v5
	v_mad_u64_u32 v[2:3], s[2:3], v3, s12, v[2:3]
	v_mov_b32_e32 v5, v2
	v_lshl_add_u64 v[2:3], v[4:5], 2, s[6:7]
	global_load_dword v2, v[2:3], off
.LBB187_5:
	s_or_b64 exec, exec, s[0:1]
	v_or_b32_e32 v8, 0x100, v0
	v_cmp_gt_u32_e64 s[0:1], s10, v8
	s_and_saveexec_b64 s[2:3], s[0:1]
	s_cbranch_execz .LBB187_7
; %bb.6:
	v_mov_b32_e32 v9, 0
	v_lshl_add_u64 v[8:9], s[16:17], 0, v[8:9]
	v_mad_u64_u32 v[10:11], s[4:5], v8, s12, 0
	v_mov_b32_e32 v8, v11
	v_mad_u64_u32 v[8:9], s[4:5], v9, s12, v[8:9]
	v_mov_b32_e32 v11, v8
	v_lshl_add_u64 v[8:9], v[10:11], 2, s[6:7]
	global_load_dword v3, v[8:9], off
.LBB187_7:
	s_or_b64 exec, exec, s[2:3]
	v_or_b32_e32 v8, 0x200, v0
	v_cmp_gt_u32_e64 s[2:3], s10, v8
	s_and_saveexec_b64 s[4:5], s[2:3]
	s_cbranch_execz .LBB187_9
; %bb.8:
	v_mov_b32_e32 v9, 0
	v_lshl_add_u64 v[8:9], s[16:17], 0, v[8:9]
	v_mad_u64_u32 v[10:11], s[20:21], v8, s12, 0
	v_mov_b32_e32 v4, v11
	v_mad_u64_u32 v[8:9], s[20:21], v9, s12, v[4:5]
	v_mov_b32_e32 v11, v8
	v_lshl_add_u64 v[8:9], v[10:11], 2, s[6:7]
	global_load_dword v4, v[8:9], off
.LBB187_9:
	;; [unrolled: 15-line block ×3, first 2 shown]
	s_or_b64 exec, exec, s[10:11]
	s_lshl_b64 s[6:7], s[14:15], 2
	s_add_u32 s6, s18, s6
	s_addc_u32 s7, s19, s7
	v_mov_b32_e32 v7, 0
	v_lshl_add_u64 v[8:9], s[6:7], 0, v[6:7]
	s_and_saveexec_b64 s[6:7], vcc
	s_cbranch_execnz .LBB187_20
; %bb.12:
	s_or_b64 exec, exec, s[6:7]
	s_and_saveexec_b64 s[6:7], s[0:1]
	s_cbranch_execnz .LBB187_21
.LBB187_13:
	s_or_b64 exec, exec, s[6:7]
	s_and_saveexec_b64 s[0:1], s[2:3]
	s_cbranch_execnz .LBB187_22
.LBB187_14:
	s_or_b64 exec, exec, s[0:1]
                                        ; implicit-def: $vgpr2
	s_and_saveexec_b64 s[0:1], s[4:5]
	s_cbranch_execz .LBB187_16
.LBB187_15:
	s_waitcnt vmcnt(0)
	v_cndmask_b32_e64 v2, v5, v5, s[4:5]
	s_or_b64 s[8:9], s[8:9], exec
.LBB187_16:
	s_or_b64 exec, exec, s[0:1]
.LBB187_17:
	s_and_saveexec_b64 s[0:1], s[8:9]
	s_cbranch_execnz .LBB187_19
; %bb.18:
	s_endpgm
.LBB187_19:
	s_waitcnt vmcnt(0)
	global_store_dword v[8:9], v2, off offset:3072
	s_endpgm
.LBB187_20:
	s_waitcnt vmcnt(0)
	global_store_dword v[8:9], v2, off
	s_or_b64 exec, exec, s[6:7]
	s_and_saveexec_b64 s[6:7], s[0:1]
	s_cbranch_execz .LBB187_13
.LBB187_21:
	s_waitcnt vmcnt(0)
	global_store_dword v[8:9], v3, off offset:1024
	s_or_b64 exec, exec, s[6:7]
	s_and_saveexec_b64 s[0:1], s[2:3]
	s_cbranch_execz .LBB187_14
.LBB187_22:
	s_waitcnt vmcnt(0)
	v_cndmask_b32_e64 v0, v4, v4, s[2:3]
	global_store_dword v[8:9], v0, off offset:2048
	s_or_b64 exec, exec, s[0:1]
                                        ; implicit-def: $vgpr2
	s_and_saveexec_b64 s[0:1], s[4:5]
	s_cbranch_execnz .LBB187_15
	s_branch .LBB187_16
	.section	.rodata,"a",@progbits
	.p2align	6, 0x0
	.amdhsa_kernel _ZN7rocprim17ROCPRIM_400000_NS6detail17trampoline_kernelINS0_14default_configENS1_25transform_config_selectorIfLb0EEEZNS1_14transform_implILb0ES3_S5_NS0_18transform_iteratorINS0_17counting_iteratorImlEEZNS1_24adjacent_difference_implIS3_Lb1ELb0EPfSB_N6thrust23THRUST_200600_302600_NS4plusIfEEEE10hipError_tPvRmT2_T3_mT4_P12ihipStream_tbEUlmE_fEESB_NS0_8identityIvEEEESG_SJ_SK_mSL_SN_bEUlT_E_NS1_11comp_targetILNS1_3genE5ELNS1_11target_archE942ELNS1_3gpuE9ELNS1_3repE0EEENS1_30default_config_static_selectorELNS0_4arch9wavefront6targetE1EEEvT1_
		.amdhsa_group_segment_fixed_size 0
		.amdhsa_private_segment_fixed_size 0
		.amdhsa_kernarg_size 312
		.amdhsa_user_sgpr_count 2
		.amdhsa_user_sgpr_dispatch_ptr 0
		.amdhsa_user_sgpr_queue_ptr 0
		.amdhsa_user_sgpr_kernarg_segment_ptr 1
		.amdhsa_user_sgpr_dispatch_id 0
		.amdhsa_user_sgpr_kernarg_preload_length 0
		.amdhsa_user_sgpr_kernarg_preload_offset 0
		.amdhsa_user_sgpr_private_segment_size 0
		.amdhsa_uses_dynamic_stack 0
		.amdhsa_enable_private_segment 0
		.amdhsa_system_sgpr_workgroup_id_x 1
		.amdhsa_system_sgpr_workgroup_id_y 0
		.amdhsa_system_sgpr_workgroup_id_z 0
		.amdhsa_system_sgpr_workgroup_info 0
		.amdhsa_system_vgpr_workitem_id 0
		.amdhsa_next_free_vgpr 13
		.amdhsa_next_free_sgpr 22
		.amdhsa_accum_offset 16
		.amdhsa_reserve_vcc 1
		.amdhsa_float_round_mode_32 0
		.amdhsa_float_round_mode_16_64 0
		.amdhsa_float_denorm_mode_32 3
		.amdhsa_float_denorm_mode_16_64 3
		.amdhsa_dx10_clamp 1
		.amdhsa_ieee_mode 1
		.amdhsa_fp16_overflow 0
		.amdhsa_tg_split 0
		.amdhsa_exception_fp_ieee_invalid_op 0
		.amdhsa_exception_fp_denorm_src 0
		.amdhsa_exception_fp_ieee_div_zero 0
		.amdhsa_exception_fp_ieee_overflow 0
		.amdhsa_exception_fp_ieee_underflow 0
		.amdhsa_exception_fp_ieee_inexact 0
		.amdhsa_exception_int_div_zero 0
	.end_amdhsa_kernel
	.section	.text._ZN7rocprim17ROCPRIM_400000_NS6detail17trampoline_kernelINS0_14default_configENS1_25transform_config_selectorIfLb0EEEZNS1_14transform_implILb0ES3_S5_NS0_18transform_iteratorINS0_17counting_iteratorImlEEZNS1_24adjacent_difference_implIS3_Lb1ELb0EPfSB_N6thrust23THRUST_200600_302600_NS4plusIfEEEE10hipError_tPvRmT2_T3_mT4_P12ihipStream_tbEUlmE_fEESB_NS0_8identityIvEEEESG_SJ_SK_mSL_SN_bEUlT_E_NS1_11comp_targetILNS1_3genE5ELNS1_11target_archE942ELNS1_3gpuE9ELNS1_3repE0EEENS1_30default_config_static_selectorELNS0_4arch9wavefront6targetE1EEEvT1_,"axG",@progbits,_ZN7rocprim17ROCPRIM_400000_NS6detail17trampoline_kernelINS0_14default_configENS1_25transform_config_selectorIfLb0EEEZNS1_14transform_implILb0ES3_S5_NS0_18transform_iteratorINS0_17counting_iteratorImlEEZNS1_24adjacent_difference_implIS3_Lb1ELb0EPfSB_N6thrust23THRUST_200600_302600_NS4plusIfEEEE10hipError_tPvRmT2_T3_mT4_P12ihipStream_tbEUlmE_fEESB_NS0_8identityIvEEEESG_SJ_SK_mSL_SN_bEUlT_E_NS1_11comp_targetILNS1_3genE5ELNS1_11target_archE942ELNS1_3gpuE9ELNS1_3repE0EEENS1_30default_config_static_selectorELNS0_4arch9wavefront6targetE1EEEvT1_,comdat
.Lfunc_end187:
	.size	_ZN7rocprim17ROCPRIM_400000_NS6detail17trampoline_kernelINS0_14default_configENS1_25transform_config_selectorIfLb0EEEZNS1_14transform_implILb0ES3_S5_NS0_18transform_iteratorINS0_17counting_iteratorImlEEZNS1_24adjacent_difference_implIS3_Lb1ELb0EPfSB_N6thrust23THRUST_200600_302600_NS4plusIfEEEE10hipError_tPvRmT2_T3_mT4_P12ihipStream_tbEUlmE_fEESB_NS0_8identityIvEEEESG_SJ_SK_mSL_SN_bEUlT_E_NS1_11comp_targetILNS1_3genE5ELNS1_11target_archE942ELNS1_3gpuE9ELNS1_3repE0EEENS1_30default_config_static_selectorELNS0_4arch9wavefront6targetE1EEEvT1_, .Lfunc_end187-_ZN7rocprim17ROCPRIM_400000_NS6detail17trampoline_kernelINS0_14default_configENS1_25transform_config_selectorIfLb0EEEZNS1_14transform_implILb0ES3_S5_NS0_18transform_iteratorINS0_17counting_iteratorImlEEZNS1_24adjacent_difference_implIS3_Lb1ELb0EPfSB_N6thrust23THRUST_200600_302600_NS4plusIfEEEE10hipError_tPvRmT2_T3_mT4_P12ihipStream_tbEUlmE_fEESB_NS0_8identityIvEEEESG_SJ_SK_mSL_SN_bEUlT_E_NS1_11comp_targetILNS1_3genE5ELNS1_11target_archE942ELNS1_3gpuE9ELNS1_3repE0EEENS1_30default_config_static_selectorELNS0_4arch9wavefront6targetE1EEEvT1_
                                        ; -- End function
	.section	.AMDGPU.csdata,"",@progbits
; Kernel info:
; codeLenInByte = 796
; NumSgprs: 28
; NumVgprs: 13
; NumAgprs: 0
; TotalNumVgprs: 13
; ScratchSize: 0
; MemoryBound: 0
; FloatMode: 240
; IeeeMode: 1
; LDSByteSize: 0 bytes/workgroup (compile time only)
; SGPRBlocks: 3
; VGPRBlocks: 1
; NumSGPRsForWavesPerEU: 28
; NumVGPRsForWavesPerEU: 13
; AccumOffset: 16
; Occupancy: 8
; WaveLimiterHint : 1
; COMPUTE_PGM_RSRC2:SCRATCH_EN: 0
; COMPUTE_PGM_RSRC2:USER_SGPR: 2
; COMPUTE_PGM_RSRC2:TRAP_HANDLER: 0
; COMPUTE_PGM_RSRC2:TGID_X_EN: 1
; COMPUTE_PGM_RSRC2:TGID_Y_EN: 0
; COMPUTE_PGM_RSRC2:TGID_Z_EN: 0
; COMPUTE_PGM_RSRC2:TIDIG_COMP_CNT: 0
; COMPUTE_PGM_RSRC3_GFX90A:ACCUM_OFFSET: 3
; COMPUTE_PGM_RSRC3_GFX90A:TG_SPLIT: 0
	.section	.text._ZN7rocprim17ROCPRIM_400000_NS6detail17trampoline_kernelINS0_14default_configENS1_25transform_config_selectorIfLb0EEEZNS1_14transform_implILb0ES3_S5_NS0_18transform_iteratorINS0_17counting_iteratorImlEEZNS1_24adjacent_difference_implIS3_Lb1ELb0EPfSB_N6thrust23THRUST_200600_302600_NS4plusIfEEEE10hipError_tPvRmT2_T3_mT4_P12ihipStream_tbEUlmE_fEESB_NS0_8identityIvEEEESG_SJ_SK_mSL_SN_bEUlT_E_NS1_11comp_targetILNS1_3genE4ELNS1_11target_archE910ELNS1_3gpuE8ELNS1_3repE0EEENS1_30default_config_static_selectorELNS0_4arch9wavefront6targetE1EEEvT1_,"axG",@progbits,_ZN7rocprim17ROCPRIM_400000_NS6detail17trampoline_kernelINS0_14default_configENS1_25transform_config_selectorIfLb0EEEZNS1_14transform_implILb0ES3_S5_NS0_18transform_iteratorINS0_17counting_iteratorImlEEZNS1_24adjacent_difference_implIS3_Lb1ELb0EPfSB_N6thrust23THRUST_200600_302600_NS4plusIfEEEE10hipError_tPvRmT2_T3_mT4_P12ihipStream_tbEUlmE_fEESB_NS0_8identityIvEEEESG_SJ_SK_mSL_SN_bEUlT_E_NS1_11comp_targetILNS1_3genE4ELNS1_11target_archE910ELNS1_3gpuE8ELNS1_3repE0EEENS1_30default_config_static_selectorELNS0_4arch9wavefront6targetE1EEEvT1_,comdat
	.protected	_ZN7rocprim17ROCPRIM_400000_NS6detail17trampoline_kernelINS0_14default_configENS1_25transform_config_selectorIfLb0EEEZNS1_14transform_implILb0ES3_S5_NS0_18transform_iteratorINS0_17counting_iteratorImlEEZNS1_24adjacent_difference_implIS3_Lb1ELb0EPfSB_N6thrust23THRUST_200600_302600_NS4plusIfEEEE10hipError_tPvRmT2_T3_mT4_P12ihipStream_tbEUlmE_fEESB_NS0_8identityIvEEEESG_SJ_SK_mSL_SN_bEUlT_E_NS1_11comp_targetILNS1_3genE4ELNS1_11target_archE910ELNS1_3gpuE8ELNS1_3repE0EEENS1_30default_config_static_selectorELNS0_4arch9wavefront6targetE1EEEvT1_ ; -- Begin function _ZN7rocprim17ROCPRIM_400000_NS6detail17trampoline_kernelINS0_14default_configENS1_25transform_config_selectorIfLb0EEEZNS1_14transform_implILb0ES3_S5_NS0_18transform_iteratorINS0_17counting_iteratorImlEEZNS1_24adjacent_difference_implIS3_Lb1ELb0EPfSB_N6thrust23THRUST_200600_302600_NS4plusIfEEEE10hipError_tPvRmT2_T3_mT4_P12ihipStream_tbEUlmE_fEESB_NS0_8identityIvEEEESG_SJ_SK_mSL_SN_bEUlT_E_NS1_11comp_targetILNS1_3genE4ELNS1_11target_archE910ELNS1_3gpuE8ELNS1_3repE0EEENS1_30default_config_static_selectorELNS0_4arch9wavefront6targetE1EEEvT1_
	.globl	_ZN7rocprim17ROCPRIM_400000_NS6detail17trampoline_kernelINS0_14default_configENS1_25transform_config_selectorIfLb0EEEZNS1_14transform_implILb0ES3_S5_NS0_18transform_iteratorINS0_17counting_iteratorImlEEZNS1_24adjacent_difference_implIS3_Lb1ELb0EPfSB_N6thrust23THRUST_200600_302600_NS4plusIfEEEE10hipError_tPvRmT2_T3_mT4_P12ihipStream_tbEUlmE_fEESB_NS0_8identityIvEEEESG_SJ_SK_mSL_SN_bEUlT_E_NS1_11comp_targetILNS1_3genE4ELNS1_11target_archE910ELNS1_3gpuE8ELNS1_3repE0EEENS1_30default_config_static_selectorELNS0_4arch9wavefront6targetE1EEEvT1_
	.p2align	8
	.type	_ZN7rocprim17ROCPRIM_400000_NS6detail17trampoline_kernelINS0_14default_configENS1_25transform_config_selectorIfLb0EEEZNS1_14transform_implILb0ES3_S5_NS0_18transform_iteratorINS0_17counting_iteratorImlEEZNS1_24adjacent_difference_implIS3_Lb1ELb0EPfSB_N6thrust23THRUST_200600_302600_NS4plusIfEEEE10hipError_tPvRmT2_T3_mT4_P12ihipStream_tbEUlmE_fEESB_NS0_8identityIvEEEESG_SJ_SK_mSL_SN_bEUlT_E_NS1_11comp_targetILNS1_3genE4ELNS1_11target_archE910ELNS1_3gpuE8ELNS1_3repE0EEENS1_30default_config_static_selectorELNS0_4arch9wavefront6targetE1EEEvT1_,@function
_ZN7rocprim17ROCPRIM_400000_NS6detail17trampoline_kernelINS0_14default_configENS1_25transform_config_selectorIfLb0EEEZNS1_14transform_implILb0ES3_S5_NS0_18transform_iteratorINS0_17counting_iteratorImlEEZNS1_24adjacent_difference_implIS3_Lb1ELb0EPfSB_N6thrust23THRUST_200600_302600_NS4plusIfEEEE10hipError_tPvRmT2_T3_mT4_P12ihipStream_tbEUlmE_fEESB_NS0_8identityIvEEEESG_SJ_SK_mSL_SN_bEUlT_E_NS1_11comp_targetILNS1_3genE4ELNS1_11target_archE910ELNS1_3gpuE8ELNS1_3repE0EEENS1_30default_config_static_selectorELNS0_4arch9wavefront6targetE1EEEvT1_: ; @_ZN7rocprim17ROCPRIM_400000_NS6detail17trampoline_kernelINS0_14default_configENS1_25transform_config_selectorIfLb0EEEZNS1_14transform_implILb0ES3_S5_NS0_18transform_iteratorINS0_17counting_iteratorImlEEZNS1_24adjacent_difference_implIS3_Lb1ELb0EPfSB_N6thrust23THRUST_200600_302600_NS4plusIfEEEE10hipError_tPvRmT2_T3_mT4_P12ihipStream_tbEUlmE_fEESB_NS0_8identityIvEEEESG_SJ_SK_mSL_SN_bEUlT_E_NS1_11comp_targetILNS1_3genE4ELNS1_11target_archE910ELNS1_3gpuE8ELNS1_3repE0EEENS1_30default_config_static_selectorELNS0_4arch9wavefront6targetE1EEEvT1_
; %bb.0:
	.section	.rodata,"a",@progbits
	.p2align	6, 0x0
	.amdhsa_kernel _ZN7rocprim17ROCPRIM_400000_NS6detail17trampoline_kernelINS0_14default_configENS1_25transform_config_selectorIfLb0EEEZNS1_14transform_implILb0ES3_S5_NS0_18transform_iteratorINS0_17counting_iteratorImlEEZNS1_24adjacent_difference_implIS3_Lb1ELb0EPfSB_N6thrust23THRUST_200600_302600_NS4plusIfEEEE10hipError_tPvRmT2_T3_mT4_P12ihipStream_tbEUlmE_fEESB_NS0_8identityIvEEEESG_SJ_SK_mSL_SN_bEUlT_E_NS1_11comp_targetILNS1_3genE4ELNS1_11target_archE910ELNS1_3gpuE8ELNS1_3repE0EEENS1_30default_config_static_selectorELNS0_4arch9wavefront6targetE1EEEvT1_
		.amdhsa_group_segment_fixed_size 0
		.amdhsa_private_segment_fixed_size 0
		.amdhsa_kernarg_size 56
		.amdhsa_user_sgpr_count 2
		.amdhsa_user_sgpr_dispatch_ptr 0
		.amdhsa_user_sgpr_queue_ptr 0
		.amdhsa_user_sgpr_kernarg_segment_ptr 1
		.amdhsa_user_sgpr_dispatch_id 0
		.amdhsa_user_sgpr_kernarg_preload_length 0
		.amdhsa_user_sgpr_kernarg_preload_offset 0
		.amdhsa_user_sgpr_private_segment_size 0
		.amdhsa_uses_dynamic_stack 0
		.amdhsa_enable_private_segment 0
		.amdhsa_system_sgpr_workgroup_id_x 1
		.amdhsa_system_sgpr_workgroup_id_y 0
		.amdhsa_system_sgpr_workgroup_id_z 0
		.amdhsa_system_sgpr_workgroup_info 0
		.amdhsa_system_vgpr_workitem_id 0
		.amdhsa_next_free_vgpr 1
		.amdhsa_next_free_sgpr 0
		.amdhsa_accum_offset 4
		.amdhsa_reserve_vcc 0
		.amdhsa_float_round_mode_32 0
		.amdhsa_float_round_mode_16_64 0
		.amdhsa_float_denorm_mode_32 3
		.amdhsa_float_denorm_mode_16_64 3
		.amdhsa_dx10_clamp 1
		.amdhsa_ieee_mode 1
		.amdhsa_fp16_overflow 0
		.amdhsa_tg_split 0
		.amdhsa_exception_fp_ieee_invalid_op 0
		.amdhsa_exception_fp_denorm_src 0
		.amdhsa_exception_fp_ieee_div_zero 0
		.amdhsa_exception_fp_ieee_overflow 0
		.amdhsa_exception_fp_ieee_underflow 0
		.amdhsa_exception_fp_ieee_inexact 0
		.amdhsa_exception_int_div_zero 0
	.end_amdhsa_kernel
	.section	.text._ZN7rocprim17ROCPRIM_400000_NS6detail17trampoline_kernelINS0_14default_configENS1_25transform_config_selectorIfLb0EEEZNS1_14transform_implILb0ES3_S5_NS0_18transform_iteratorINS0_17counting_iteratorImlEEZNS1_24adjacent_difference_implIS3_Lb1ELb0EPfSB_N6thrust23THRUST_200600_302600_NS4plusIfEEEE10hipError_tPvRmT2_T3_mT4_P12ihipStream_tbEUlmE_fEESB_NS0_8identityIvEEEESG_SJ_SK_mSL_SN_bEUlT_E_NS1_11comp_targetILNS1_3genE4ELNS1_11target_archE910ELNS1_3gpuE8ELNS1_3repE0EEENS1_30default_config_static_selectorELNS0_4arch9wavefront6targetE1EEEvT1_,"axG",@progbits,_ZN7rocprim17ROCPRIM_400000_NS6detail17trampoline_kernelINS0_14default_configENS1_25transform_config_selectorIfLb0EEEZNS1_14transform_implILb0ES3_S5_NS0_18transform_iteratorINS0_17counting_iteratorImlEEZNS1_24adjacent_difference_implIS3_Lb1ELb0EPfSB_N6thrust23THRUST_200600_302600_NS4plusIfEEEE10hipError_tPvRmT2_T3_mT4_P12ihipStream_tbEUlmE_fEESB_NS0_8identityIvEEEESG_SJ_SK_mSL_SN_bEUlT_E_NS1_11comp_targetILNS1_3genE4ELNS1_11target_archE910ELNS1_3gpuE8ELNS1_3repE0EEENS1_30default_config_static_selectorELNS0_4arch9wavefront6targetE1EEEvT1_,comdat
.Lfunc_end188:
	.size	_ZN7rocprim17ROCPRIM_400000_NS6detail17trampoline_kernelINS0_14default_configENS1_25transform_config_selectorIfLb0EEEZNS1_14transform_implILb0ES3_S5_NS0_18transform_iteratorINS0_17counting_iteratorImlEEZNS1_24adjacent_difference_implIS3_Lb1ELb0EPfSB_N6thrust23THRUST_200600_302600_NS4plusIfEEEE10hipError_tPvRmT2_T3_mT4_P12ihipStream_tbEUlmE_fEESB_NS0_8identityIvEEEESG_SJ_SK_mSL_SN_bEUlT_E_NS1_11comp_targetILNS1_3genE4ELNS1_11target_archE910ELNS1_3gpuE8ELNS1_3repE0EEENS1_30default_config_static_selectorELNS0_4arch9wavefront6targetE1EEEvT1_, .Lfunc_end188-_ZN7rocprim17ROCPRIM_400000_NS6detail17trampoline_kernelINS0_14default_configENS1_25transform_config_selectorIfLb0EEEZNS1_14transform_implILb0ES3_S5_NS0_18transform_iteratorINS0_17counting_iteratorImlEEZNS1_24adjacent_difference_implIS3_Lb1ELb0EPfSB_N6thrust23THRUST_200600_302600_NS4plusIfEEEE10hipError_tPvRmT2_T3_mT4_P12ihipStream_tbEUlmE_fEESB_NS0_8identityIvEEEESG_SJ_SK_mSL_SN_bEUlT_E_NS1_11comp_targetILNS1_3genE4ELNS1_11target_archE910ELNS1_3gpuE8ELNS1_3repE0EEENS1_30default_config_static_selectorELNS0_4arch9wavefront6targetE1EEEvT1_
                                        ; -- End function
	.section	.AMDGPU.csdata,"",@progbits
; Kernel info:
; codeLenInByte = 0
; NumSgprs: 6
; NumVgprs: 0
; NumAgprs: 0
; TotalNumVgprs: 0
; ScratchSize: 0
; MemoryBound: 0
; FloatMode: 240
; IeeeMode: 1
; LDSByteSize: 0 bytes/workgroup (compile time only)
; SGPRBlocks: 0
; VGPRBlocks: 0
; NumSGPRsForWavesPerEU: 6
; NumVGPRsForWavesPerEU: 1
; AccumOffset: 4
; Occupancy: 8
; WaveLimiterHint : 0
; COMPUTE_PGM_RSRC2:SCRATCH_EN: 0
; COMPUTE_PGM_RSRC2:USER_SGPR: 2
; COMPUTE_PGM_RSRC2:TRAP_HANDLER: 0
; COMPUTE_PGM_RSRC2:TGID_X_EN: 1
; COMPUTE_PGM_RSRC2:TGID_Y_EN: 0
; COMPUTE_PGM_RSRC2:TGID_Z_EN: 0
; COMPUTE_PGM_RSRC2:TIDIG_COMP_CNT: 0
; COMPUTE_PGM_RSRC3_GFX90A:ACCUM_OFFSET: 0
; COMPUTE_PGM_RSRC3_GFX90A:TG_SPLIT: 0
	.section	.text._ZN7rocprim17ROCPRIM_400000_NS6detail17trampoline_kernelINS0_14default_configENS1_25transform_config_selectorIfLb0EEEZNS1_14transform_implILb0ES3_S5_NS0_18transform_iteratorINS0_17counting_iteratorImlEEZNS1_24adjacent_difference_implIS3_Lb1ELb0EPfSB_N6thrust23THRUST_200600_302600_NS4plusIfEEEE10hipError_tPvRmT2_T3_mT4_P12ihipStream_tbEUlmE_fEESB_NS0_8identityIvEEEESG_SJ_SK_mSL_SN_bEUlT_E_NS1_11comp_targetILNS1_3genE3ELNS1_11target_archE908ELNS1_3gpuE7ELNS1_3repE0EEENS1_30default_config_static_selectorELNS0_4arch9wavefront6targetE1EEEvT1_,"axG",@progbits,_ZN7rocprim17ROCPRIM_400000_NS6detail17trampoline_kernelINS0_14default_configENS1_25transform_config_selectorIfLb0EEEZNS1_14transform_implILb0ES3_S5_NS0_18transform_iteratorINS0_17counting_iteratorImlEEZNS1_24adjacent_difference_implIS3_Lb1ELb0EPfSB_N6thrust23THRUST_200600_302600_NS4plusIfEEEE10hipError_tPvRmT2_T3_mT4_P12ihipStream_tbEUlmE_fEESB_NS0_8identityIvEEEESG_SJ_SK_mSL_SN_bEUlT_E_NS1_11comp_targetILNS1_3genE3ELNS1_11target_archE908ELNS1_3gpuE7ELNS1_3repE0EEENS1_30default_config_static_selectorELNS0_4arch9wavefront6targetE1EEEvT1_,comdat
	.protected	_ZN7rocprim17ROCPRIM_400000_NS6detail17trampoline_kernelINS0_14default_configENS1_25transform_config_selectorIfLb0EEEZNS1_14transform_implILb0ES3_S5_NS0_18transform_iteratorINS0_17counting_iteratorImlEEZNS1_24adjacent_difference_implIS3_Lb1ELb0EPfSB_N6thrust23THRUST_200600_302600_NS4plusIfEEEE10hipError_tPvRmT2_T3_mT4_P12ihipStream_tbEUlmE_fEESB_NS0_8identityIvEEEESG_SJ_SK_mSL_SN_bEUlT_E_NS1_11comp_targetILNS1_3genE3ELNS1_11target_archE908ELNS1_3gpuE7ELNS1_3repE0EEENS1_30default_config_static_selectorELNS0_4arch9wavefront6targetE1EEEvT1_ ; -- Begin function _ZN7rocprim17ROCPRIM_400000_NS6detail17trampoline_kernelINS0_14default_configENS1_25transform_config_selectorIfLb0EEEZNS1_14transform_implILb0ES3_S5_NS0_18transform_iteratorINS0_17counting_iteratorImlEEZNS1_24adjacent_difference_implIS3_Lb1ELb0EPfSB_N6thrust23THRUST_200600_302600_NS4plusIfEEEE10hipError_tPvRmT2_T3_mT4_P12ihipStream_tbEUlmE_fEESB_NS0_8identityIvEEEESG_SJ_SK_mSL_SN_bEUlT_E_NS1_11comp_targetILNS1_3genE3ELNS1_11target_archE908ELNS1_3gpuE7ELNS1_3repE0EEENS1_30default_config_static_selectorELNS0_4arch9wavefront6targetE1EEEvT1_
	.globl	_ZN7rocprim17ROCPRIM_400000_NS6detail17trampoline_kernelINS0_14default_configENS1_25transform_config_selectorIfLb0EEEZNS1_14transform_implILb0ES3_S5_NS0_18transform_iteratorINS0_17counting_iteratorImlEEZNS1_24adjacent_difference_implIS3_Lb1ELb0EPfSB_N6thrust23THRUST_200600_302600_NS4plusIfEEEE10hipError_tPvRmT2_T3_mT4_P12ihipStream_tbEUlmE_fEESB_NS0_8identityIvEEEESG_SJ_SK_mSL_SN_bEUlT_E_NS1_11comp_targetILNS1_3genE3ELNS1_11target_archE908ELNS1_3gpuE7ELNS1_3repE0EEENS1_30default_config_static_selectorELNS0_4arch9wavefront6targetE1EEEvT1_
	.p2align	8
	.type	_ZN7rocprim17ROCPRIM_400000_NS6detail17trampoline_kernelINS0_14default_configENS1_25transform_config_selectorIfLb0EEEZNS1_14transform_implILb0ES3_S5_NS0_18transform_iteratorINS0_17counting_iteratorImlEEZNS1_24adjacent_difference_implIS3_Lb1ELb0EPfSB_N6thrust23THRUST_200600_302600_NS4plusIfEEEE10hipError_tPvRmT2_T3_mT4_P12ihipStream_tbEUlmE_fEESB_NS0_8identityIvEEEESG_SJ_SK_mSL_SN_bEUlT_E_NS1_11comp_targetILNS1_3genE3ELNS1_11target_archE908ELNS1_3gpuE7ELNS1_3repE0EEENS1_30default_config_static_selectorELNS0_4arch9wavefront6targetE1EEEvT1_,@function
_ZN7rocprim17ROCPRIM_400000_NS6detail17trampoline_kernelINS0_14default_configENS1_25transform_config_selectorIfLb0EEEZNS1_14transform_implILb0ES3_S5_NS0_18transform_iteratorINS0_17counting_iteratorImlEEZNS1_24adjacent_difference_implIS3_Lb1ELb0EPfSB_N6thrust23THRUST_200600_302600_NS4plusIfEEEE10hipError_tPvRmT2_T3_mT4_P12ihipStream_tbEUlmE_fEESB_NS0_8identityIvEEEESG_SJ_SK_mSL_SN_bEUlT_E_NS1_11comp_targetILNS1_3genE3ELNS1_11target_archE908ELNS1_3gpuE7ELNS1_3repE0EEENS1_30default_config_static_selectorELNS0_4arch9wavefront6targetE1EEEvT1_: ; @_ZN7rocprim17ROCPRIM_400000_NS6detail17trampoline_kernelINS0_14default_configENS1_25transform_config_selectorIfLb0EEEZNS1_14transform_implILb0ES3_S5_NS0_18transform_iteratorINS0_17counting_iteratorImlEEZNS1_24adjacent_difference_implIS3_Lb1ELb0EPfSB_N6thrust23THRUST_200600_302600_NS4plusIfEEEE10hipError_tPvRmT2_T3_mT4_P12ihipStream_tbEUlmE_fEESB_NS0_8identityIvEEEESG_SJ_SK_mSL_SN_bEUlT_E_NS1_11comp_targetILNS1_3genE3ELNS1_11target_archE908ELNS1_3gpuE7ELNS1_3repE0EEENS1_30default_config_static_selectorELNS0_4arch9wavefront6targetE1EEEvT1_
; %bb.0:
	.section	.rodata,"a",@progbits
	.p2align	6, 0x0
	.amdhsa_kernel _ZN7rocprim17ROCPRIM_400000_NS6detail17trampoline_kernelINS0_14default_configENS1_25transform_config_selectorIfLb0EEEZNS1_14transform_implILb0ES3_S5_NS0_18transform_iteratorINS0_17counting_iteratorImlEEZNS1_24adjacent_difference_implIS3_Lb1ELb0EPfSB_N6thrust23THRUST_200600_302600_NS4plusIfEEEE10hipError_tPvRmT2_T3_mT4_P12ihipStream_tbEUlmE_fEESB_NS0_8identityIvEEEESG_SJ_SK_mSL_SN_bEUlT_E_NS1_11comp_targetILNS1_3genE3ELNS1_11target_archE908ELNS1_3gpuE7ELNS1_3repE0EEENS1_30default_config_static_selectorELNS0_4arch9wavefront6targetE1EEEvT1_
		.amdhsa_group_segment_fixed_size 0
		.amdhsa_private_segment_fixed_size 0
		.amdhsa_kernarg_size 56
		.amdhsa_user_sgpr_count 2
		.amdhsa_user_sgpr_dispatch_ptr 0
		.amdhsa_user_sgpr_queue_ptr 0
		.amdhsa_user_sgpr_kernarg_segment_ptr 1
		.amdhsa_user_sgpr_dispatch_id 0
		.amdhsa_user_sgpr_kernarg_preload_length 0
		.amdhsa_user_sgpr_kernarg_preload_offset 0
		.amdhsa_user_sgpr_private_segment_size 0
		.amdhsa_uses_dynamic_stack 0
		.amdhsa_enable_private_segment 0
		.amdhsa_system_sgpr_workgroup_id_x 1
		.amdhsa_system_sgpr_workgroup_id_y 0
		.amdhsa_system_sgpr_workgroup_id_z 0
		.amdhsa_system_sgpr_workgroup_info 0
		.amdhsa_system_vgpr_workitem_id 0
		.amdhsa_next_free_vgpr 1
		.amdhsa_next_free_sgpr 0
		.amdhsa_accum_offset 4
		.amdhsa_reserve_vcc 0
		.amdhsa_float_round_mode_32 0
		.amdhsa_float_round_mode_16_64 0
		.amdhsa_float_denorm_mode_32 3
		.amdhsa_float_denorm_mode_16_64 3
		.amdhsa_dx10_clamp 1
		.amdhsa_ieee_mode 1
		.amdhsa_fp16_overflow 0
		.amdhsa_tg_split 0
		.amdhsa_exception_fp_ieee_invalid_op 0
		.amdhsa_exception_fp_denorm_src 0
		.amdhsa_exception_fp_ieee_div_zero 0
		.amdhsa_exception_fp_ieee_overflow 0
		.amdhsa_exception_fp_ieee_underflow 0
		.amdhsa_exception_fp_ieee_inexact 0
		.amdhsa_exception_int_div_zero 0
	.end_amdhsa_kernel
	.section	.text._ZN7rocprim17ROCPRIM_400000_NS6detail17trampoline_kernelINS0_14default_configENS1_25transform_config_selectorIfLb0EEEZNS1_14transform_implILb0ES3_S5_NS0_18transform_iteratorINS0_17counting_iteratorImlEEZNS1_24adjacent_difference_implIS3_Lb1ELb0EPfSB_N6thrust23THRUST_200600_302600_NS4plusIfEEEE10hipError_tPvRmT2_T3_mT4_P12ihipStream_tbEUlmE_fEESB_NS0_8identityIvEEEESG_SJ_SK_mSL_SN_bEUlT_E_NS1_11comp_targetILNS1_3genE3ELNS1_11target_archE908ELNS1_3gpuE7ELNS1_3repE0EEENS1_30default_config_static_selectorELNS0_4arch9wavefront6targetE1EEEvT1_,"axG",@progbits,_ZN7rocprim17ROCPRIM_400000_NS6detail17trampoline_kernelINS0_14default_configENS1_25transform_config_selectorIfLb0EEEZNS1_14transform_implILb0ES3_S5_NS0_18transform_iteratorINS0_17counting_iteratorImlEEZNS1_24adjacent_difference_implIS3_Lb1ELb0EPfSB_N6thrust23THRUST_200600_302600_NS4plusIfEEEE10hipError_tPvRmT2_T3_mT4_P12ihipStream_tbEUlmE_fEESB_NS0_8identityIvEEEESG_SJ_SK_mSL_SN_bEUlT_E_NS1_11comp_targetILNS1_3genE3ELNS1_11target_archE908ELNS1_3gpuE7ELNS1_3repE0EEENS1_30default_config_static_selectorELNS0_4arch9wavefront6targetE1EEEvT1_,comdat
.Lfunc_end189:
	.size	_ZN7rocprim17ROCPRIM_400000_NS6detail17trampoline_kernelINS0_14default_configENS1_25transform_config_selectorIfLb0EEEZNS1_14transform_implILb0ES3_S5_NS0_18transform_iteratorINS0_17counting_iteratorImlEEZNS1_24adjacent_difference_implIS3_Lb1ELb0EPfSB_N6thrust23THRUST_200600_302600_NS4plusIfEEEE10hipError_tPvRmT2_T3_mT4_P12ihipStream_tbEUlmE_fEESB_NS0_8identityIvEEEESG_SJ_SK_mSL_SN_bEUlT_E_NS1_11comp_targetILNS1_3genE3ELNS1_11target_archE908ELNS1_3gpuE7ELNS1_3repE0EEENS1_30default_config_static_selectorELNS0_4arch9wavefront6targetE1EEEvT1_, .Lfunc_end189-_ZN7rocprim17ROCPRIM_400000_NS6detail17trampoline_kernelINS0_14default_configENS1_25transform_config_selectorIfLb0EEEZNS1_14transform_implILb0ES3_S5_NS0_18transform_iteratorINS0_17counting_iteratorImlEEZNS1_24adjacent_difference_implIS3_Lb1ELb0EPfSB_N6thrust23THRUST_200600_302600_NS4plusIfEEEE10hipError_tPvRmT2_T3_mT4_P12ihipStream_tbEUlmE_fEESB_NS0_8identityIvEEEESG_SJ_SK_mSL_SN_bEUlT_E_NS1_11comp_targetILNS1_3genE3ELNS1_11target_archE908ELNS1_3gpuE7ELNS1_3repE0EEENS1_30default_config_static_selectorELNS0_4arch9wavefront6targetE1EEEvT1_
                                        ; -- End function
	.section	.AMDGPU.csdata,"",@progbits
; Kernel info:
; codeLenInByte = 0
; NumSgprs: 6
; NumVgprs: 0
; NumAgprs: 0
; TotalNumVgprs: 0
; ScratchSize: 0
; MemoryBound: 0
; FloatMode: 240
; IeeeMode: 1
; LDSByteSize: 0 bytes/workgroup (compile time only)
; SGPRBlocks: 0
; VGPRBlocks: 0
; NumSGPRsForWavesPerEU: 6
; NumVGPRsForWavesPerEU: 1
; AccumOffset: 4
; Occupancy: 8
; WaveLimiterHint : 0
; COMPUTE_PGM_RSRC2:SCRATCH_EN: 0
; COMPUTE_PGM_RSRC2:USER_SGPR: 2
; COMPUTE_PGM_RSRC2:TRAP_HANDLER: 0
; COMPUTE_PGM_RSRC2:TGID_X_EN: 1
; COMPUTE_PGM_RSRC2:TGID_Y_EN: 0
; COMPUTE_PGM_RSRC2:TGID_Z_EN: 0
; COMPUTE_PGM_RSRC2:TIDIG_COMP_CNT: 0
; COMPUTE_PGM_RSRC3_GFX90A:ACCUM_OFFSET: 0
; COMPUTE_PGM_RSRC3_GFX90A:TG_SPLIT: 0
	.section	.text._ZN7rocprim17ROCPRIM_400000_NS6detail17trampoline_kernelINS0_14default_configENS1_25transform_config_selectorIfLb0EEEZNS1_14transform_implILb0ES3_S5_NS0_18transform_iteratorINS0_17counting_iteratorImlEEZNS1_24adjacent_difference_implIS3_Lb1ELb0EPfSB_N6thrust23THRUST_200600_302600_NS4plusIfEEEE10hipError_tPvRmT2_T3_mT4_P12ihipStream_tbEUlmE_fEESB_NS0_8identityIvEEEESG_SJ_SK_mSL_SN_bEUlT_E_NS1_11comp_targetILNS1_3genE2ELNS1_11target_archE906ELNS1_3gpuE6ELNS1_3repE0EEENS1_30default_config_static_selectorELNS0_4arch9wavefront6targetE1EEEvT1_,"axG",@progbits,_ZN7rocprim17ROCPRIM_400000_NS6detail17trampoline_kernelINS0_14default_configENS1_25transform_config_selectorIfLb0EEEZNS1_14transform_implILb0ES3_S5_NS0_18transform_iteratorINS0_17counting_iteratorImlEEZNS1_24adjacent_difference_implIS3_Lb1ELb0EPfSB_N6thrust23THRUST_200600_302600_NS4plusIfEEEE10hipError_tPvRmT2_T3_mT4_P12ihipStream_tbEUlmE_fEESB_NS0_8identityIvEEEESG_SJ_SK_mSL_SN_bEUlT_E_NS1_11comp_targetILNS1_3genE2ELNS1_11target_archE906ELNS1_3gpuE6ELNS1_3repE0EEENS1_30default_config_static_selectorELNS0_4arch9wavefront6targetE1EEEvT1_,comdat
	.protected	_ZN7rocprim17ROCPRIM_400000_NS6detail17trampoline_kernelINS0_14default_configENS1_25transform_config_selectorIfLb0EEEZNS1_14transform_implILb0ES3_S5_NS0_18transform_iteratorINS0_17counting_iteratorImlEEZNS1_24adjacent_difference_implIS3_Lb1ELb0EPfSB_N6thrust23THRUST_200600_302600_NS4plusIfEEEE10hipError_tPvRmT2_T3_mT4_P12ihipStream_tbEUlmE_fEESB_NS0_8identityIvEEEESG_SJ_SK_mSL_SN_bEUlT_E_NS1_11comp_targetILNS1_3genE2ELNS1_11target_archE906ELNS1_3gpuE6ELNS1_3repE0EEENS1_30default_config_static_selectorELNS0_4arch9wavefront6targetE1EEEvT1_ ; -- Begin function _ZN7rocprim17ROCPRIM_400000_NS6detail17trampoline_kernelINS0_14default_configENS1_25transform_config_selectorIfLb0EEEZNS1_14transform_implILb0ES3_S5_NS0_18transform_iteratorINS0_17counting_iteratorImlEEZNS1_24adjacent_difference_implIS3_Lb1ELb0EPfSB_N6thrust23THRUST_200600_302600_NS4plusIfEEEE10hipError_tPvRmT2_T3_mT4_P12ihipStream_tbEUlmE_fEESB_NS0_8identityIvEEEESG_SJ_SK_mSL_SN_bEUlT_E_NS1_11comp_targetILNS1_3genE2ELNS1_11target_archE906ELNS1_3gpuE6ELNS1_3repE0EEENS1_30default_config_static_selectorELNS0_4arch9wavefront6targetE1EEEvT1_
	.globl	_ZN7rocprim17ROCPRIM_400000_NS6detail17trampoline_kernelINS0_14default_configENS1_25transform_config_selectorIfLb0EEEZNS1_14transform_implILb0ES3_S5_NS0_18transform_iteratorINS0_17counting_iteratorImlEEZNS1_24adjacent_difference_implIS3_Lb1ELb0EPfSB_N6thrust23THRUST_200600_302600_NS4plusIfEEEE10hipError_tPvRmT2_T3_mT4_P12ihipStream_tbEUlmE_fEESB_NS0_8identityIvEEEESG_SJ_SK_mSL_SN_bEUlT_E_NS1_11comp_targetILNS1_3genE2ELNS1_11target_archE906ELNS1_3gpuE6ELNS1_3repE0EEENS1_30default_config_static_selectorELNS0_4arch9wavefront6targetE1EEEvT1_
	.p2align	8
	.type	_ZN7rocprim17ROCPRIM_400000_NS6detail17trampoline_kernelINS0_14default_configENS1_25transform_config_selectorIfLb0EEEZNS1_14transform_implILb0ES3_S5_NS0_18transform_iteratorINS0_17counting_iteratorImlEEZNS1_24adjacent_difference_implIS3_Lb1ELb0EPfSB_N6thrust23THRUST_200600_302600_NS4plusIfEEEE10hipError_tPvRmT2_T3_mT4_P12ihipStream_tbEUlmE_fEESB_NS0_8identityIvEEEESG_SJ_SK_mSL_SN_bEUlT_E_NS1_11comp_targetILNS1_3genE2ELNS1_11target_archE906ELNS1_3gpuE6ELNS1_3repE0EEENS1_30default_config_static_selectorELNS0_4arch9wavefront6targetE1EEEvT1_,@function
_ZN7rocprim17ROCPRIM_400000_NS6detail17trampoline_kernelINS0_14default_configENS1_25transform_config_selectorIfLb0EEEZNS1_14transform_implILb0ES3_S5_NS0_18transform_iteratorINS0_17counting_iteratorImlEEZNS1_24adjacent_difference_implIS3_Lb1ELb0EPfSB_N6thrust23THRUST_200600_302600_NS4plusIfEEEE10hipError_tPvRmT2_T3_mT4_P12ihipStream_tbEUlmE_fEESB_NS0_8identityIvEEEESG_SJ_SK_mSL_SN_bEUlT_E_NS1_11comp_targetILNS1_3genE2ELNS1_11target_archE906ELNS1_3gpuE6ELNS1_3repE0EEENS1_30default_config_static_selectorELNS0_4arch9wavefront6targetE1EEEvT1_: ; @_ZN7rocprim17ROCPRIM_400000_NS6detail17trampoline_kernelINS0_14default_configENS1_25transform_config_selectorIfLb0EEEZNS1_14transform_implILb0ES3_S5_NS0_18transform_iteratorINS0_17counting_iteratorImlEEZNS1_24adjacent_difference_implIS3_Lb1ELb0EPfSB_N6thrust23THRUST_200600_302600_NS4plusIfEEEE10hipError_tPvRmT2_T3_mT4_P12ihipStream_tbEUlmE_fEESB_NS0_8identityIvEEEESG_SJ_SK_mSL_SN_bEUlT_E_NS1_11comp_targetILNS1_3genE2ELNS1_11target_archE906ELNS1_3gpuE6ELNS1_3repE0EEENS1_30default_config_static_selectorELNS0_4arch9wavefront6targetE1EEEvT1_
; %bb.0:
	.section	.rodata,"a",@progbits
	.p2align	6, 0x0
	.amdhsa_kernel _ZN7rocprim17ROCPRIM_400000_NS6detail17trampoline_kernelINS0_14default_configENS1_25transform_config_selectorIfLb0EEEZNS1_14transform_implILb0ES3_S5_NS0_18transform_iteratorINS0_17counting_iteratorImlEEZNS1_24adjacent_difference_implIS3_Lb1ELb0EPfSB_N6thrust23THRUST_200600_302600_NS4plusIfEEEE10hipError_tPvRmT2_T3_mT4_P12ihipStream_tbEUlmE_fEESB_NS0_8identityIvEEEESG_SJ_SK_mSL_SN_bEUlT_E_NS1_11comp_targetILNS1_3genE2ELNS1_11target_archE906ELNS1_3gpuE6ELNS1_3repE0EEENS1_30default_config_static_selectorELNS0_4arch9wavefront6targetE1EEEvT1_
		.amdhsa_group_segment_fixed_size 0
		.amdhsa_private_segment_fixed_size 0
		.amdhsa_kernarg_size 56
		.amdhsa_user_sgpr_count 2
		.amdhsa_user_sgpr_dispatch_ptr 0
		.amdhsa_user_sgpr_queue_ptr 0
		.amdhsa_user_sgpr_kernarg_segment_ptr 1
		.amdhsa_user_sgpr_dispatch_id 0
		.amdhsa_user_sgpr_kernarg_preload_length 0
		.amdhsa_user_sgpr_kernarg_preload_offset 0
		.amdhsa_user_sgpr_private_segment_size 0
		.amdhsa_uses_dynamic_stack 0
		.amdhsa_enable_private_segment 0
		.amdhsa_system_sgpr_workgroup_id_x 1
		.amdhsa_system_sgpr_workgroup_id_y 0
		.amdhsa_system_sgpr_workgroup_id_z 0
		.amdhsa_system_sgpr_workgroup_info 0
		.amdhsa_system_vgpr_workitem_id 0
		.amdhsa_next_free_vgpr 1
		.amdhsa_next_free_sgpr 0
		.amdhsa_accum_offset 4
		.amdhsa_reserve_vcc 0
		.amdhsa_float_round_mode_32 0
		.amdhsa_float_round_mode_16_64 0
		.amdhsa_float_denorm_mode_32 3
		.amdhsa_float_denorm_mode_16_64 3
		.amdhsa_dx10_clamp 1
		.amdhsa_ieee_mode 1
		.amdhsa_fp16_overflow 0
		.amdhsa_tg_split 0
		.amdhsa_exception_fp_ieee_invalid_op 0
		.amdhsa_exception_fp_denorm_src 0
		.amdhsa_exception_fp_ieee_div_zero 0
		.amdhsa_exception_fp_ieee_overflow 0
		.amdhsa_exception_fp_ieee_underflow 0
		.amdhsa_exception_fp_ieee_inexact 0
		.amdhsa_exception_int_div_zero 0
	.end_amdhsa_kernel
	.section	.text._ZN7rocprim17ROCPRIM_400000_NS6detail17trampoline_kernelINS0_14default_configENS1_25transform_config_selectorIfLb0EEEZNS1_14transform_implILb0ES3_S5_NS0_18transform_iteratorINS0_17counting_iteratorImlEEZNS1_24adjacent_difference_implIS3_Lb1ELb0EPfSB_N6thrust23THRUST_200600_302600_NS4plusIfEEEE10hipError_tPvRmT2_T3_mT4_P12ihipStream_tbEUlmE_fEESB_NS0_8identityIvEEEESG_SJ_SK_mSL_SN_bEUlT_E_NS1_11comp_targetILNS1_3genE2ELNS1_11target_archE906ELNS1_3gpuE6ELNS1_3repE0EEENS1_30default_config_static_selectorELNS0_4arch9wavefront6targetE1EEEvT1_,"axG",@progbits,_ZN7rocprim17ROCPRIM_400000_NS6detail17trampoline_kernelINS0_14default_configENS1_25transform_config_selectorIfLb0EEEZNS1_14transform_implILb0ES3_S5_NS0_18transform_iteratorINS0_17counting_iteratorImlEEZNS1_24adjacent_difference_implIS3_Lb1ELb0EPfSB_N6thrust23THRUST_200600_302600_NS4plusIfEEEE10hipError_tPvRmT2_T3_mT4_P12ihipStream_tbEUlmE_fEESB_NS0_8identityIvEEEESG_SJ_SK_mSL_SN_bEUlT_E_NS1_11comp_targetILNS1_3genE2ELNS1_11target_archE906ELNS1_3gpuE6ELNS1_3repE0EEENS1_30default_config_static_selectorELNS0_4arch9wavefront6targetE1EEEvT1_,comdat
.Lfunc_end190:
	.size	_ZN7rocprim17ROCPRIM_400000_NS6detail17trampoline_kernelINS0_14default_configENS1_25transform_config_selectorIfLb0EEEZNS1_14transform_implILb0ES3_S5_NS0_18transform_iteratorINS0_17counting_iteratorImlEEZNS1_24adjacent_difference_implIS3_Lb1ELb0EPfSB_N6thrust23THRUST_200600_302600_NS4plusIfEEEE10hipError_tPvRmT2_T3_mT4_P12ihipStream_tbEUlmE_fEESB_NS0_8identityIvEEEESG_SJ_SK_mSL_SN_bEUlT_E_NS1_11comp_targetILNS1_3genE2ELNS1_11target_archE906ELNS1_3gpuE6ELNS1_3repE0EEENS1_30default_config_static_selectorELNS0_4arch9wavefront6targetE1EEEvT1_, .Lfunc_end190-_ZN7rocprim17ROCPRIM_400000_NS6detail17trampoline_kernelINS0_14default_configENS1_25transform_config_selectorIfLb0EEEZNS1_14transform_implILb0ES3_S5_NS0_18transform_iteratorINS0_17counting_iteratorImlEEZNS1_24adjacent_difference_implIS3_Lb1ELb0EPfSB_N6thrust23THRUST_200600_302600_NS4plusIfEEEE10hipError_tPvRmT2_T3_mT4_P12ihipStream_tbEUlmE_fEESB_NS0_8identityIvEEEESG_SJ_SK_mSL_SN_bEUlT_E_NS1_11comp_targetILNS1_3genE2ELNS1_11target_archE906ELNS1_3gpuE6ELNS1_3repE0EEENS1_30default_config_static_selectorELNS0_4arch9wavefront6targetE1EEEvT1_
                                        ; -- End function
	.section	.AMDGPU.csdata,"",@progbits
; Kernel info:
; codeLenInByte = 0
; NumSgprs: 6
; NumVgprs: 0
; NumAgprs: 0
; TotalNumVgprs: 0
; ScratchSize: 0
; MemoryBound: 0
; FloatMode: 240
; IeeeMode: 1
; LDSByteSize: 0 bytes/workgroup (compile time only)
; SGPRBlocks: 0
; VGPRBlocks: 0
; NumSGPRsForWavesPerEU: 6
; NumVGPRsForWavesPerEU: 1
; AccumOffset: 4
; Occupancy: 8
; WaveLimiterHint : 0
; COMPUTE_PGM_RSRC2:SCRATCH_EN: 0
; COMPUTE_PGM_RSRC2:USER_SGPR: 2
; COMPUTE_PGM_RSRC2:TRAP_HANDLER: 0
; COMPUTE_PGM_RSRC2:TGID_X_EN: 1
; COMPUTE_PGM_RSRC2:TGID_Y_EN: 0
; COMPUTE_PGM_RSRC2:TGID_Z_EN: 0
; COMPUTE_PGM_RSRC2:TIDIG_COMP_CNT: 0
; COMPUTE_PGM_RSRC3_GFX90A:ACCUM_OFFSET: 0
; COMPUTE_PGM_RSRC3_GFX90A:TG_SPLIT: 0
	.section	.text._ZN7rocprim17ROCPRIM_400000_NS6detail17trampoline_kernelINS0_14default_configENS1_25transform_config_selectorIfLb0EEEZNS1_14transform_implILb0ES3_S5_NS0_18transform_iteratorINS0_17counting_iteratorImlEEZNS1_24adjacent_difference_implIS3_Lb1ELb0EPfSB_N6thrust23THRUST_200600_302600_NS4plusIfEEEE10hipError_tPvRmT2_T3_mT4_P12ihipStream_tbEUlmE_fEESB_NS0_8identityIvEEEESG_SJ_SK_mSL_SN_bEUlT_E_NS1_11comp_targetILNS1_3genE10ELNS1_11target_archE1201ELNS1_3gpuE5ELNS1_3repE0EEENS1_30default_config_static_selectorELNS0_4arch9wavefront6targetE1EEEvT1_,"axG",@progbits,_ZN7rocprim17ROCPRIM_400000_NS6detail17trampoline_kernelINS0_14default_configENS1_25transform_config_selectorIfLb0EEEZNS1_14transform_implILb0ES3_S5_NS0_18transform_iteratorINS0_17counting_iteratorImlEEZNS1_24adjacent_difference_implIS3_Lb1ELb0EPfSB_N6thrust23THRUST_200600_302600_NS4plusIfEEEE10hipError_tPvRmT2_T3_mT4_P12ihipStream_tbEUlmE_fEESB_NS0_8identityIvEEEESG_SJ_SK_mSL_SN_bEUlT_E_NS1_11comp_targetILNS1_3genE10ELNS1_11target_archE1201ELNS1_3gpuE5ELNS1_3repE0EEENS1_30default_config_static_selectorELNS0_4arch9wavefront6targetE1EEEvT1_,comdat
	.protected	_ZN7rocprim17ROCPRIM_400000_NS6detail17trampoline_kernelINS0_14default_configENS1_25transform_config_selectorIfLb0EEEZNS1_14transform_implILb0ES3_S5_NS0_18transform_iteratorINS0_17counting_iteratorImlEEZNS1_24adjacent_difference_implIS3_Lb1ELb0EPfSB_N6thrust23THRUST_200600_302600_NS4plusIfEEEE10hipError_tPvRmT2_T3_mT4_P12ihipStream_tbEUlmE_fEESB_NS0_8identityIvEEEESG_SJ_SK_mSL_SN_bEUlT_E_NS1_11comp_targetILNS1_3genE10ELNS1_11target_archE1201ELNS1_3gpuE5ELNS1_3repE0EEENS1_30default_config_static_selectorELNS0_4arch9wavefront6targetE1EEEvT1_ ; -- Begin function _ZN7rocprim17ROCPRIM_400000_NS6detail17trampoline_kernelINS0_14default_configENS1_25transform_config_selectorIfLb0EEEZNS1_14transform_implILb0ES3_S5_NS0_18transform_iteratorINS0_17counting_iteratorImlEEZNS1_24adjacent_difference_implIS3_Lb1ELb0EPfSB_N6thrust23THRUST_200600_302600_NS4plusIfEEEE10hipError_tPvRmT2_T3_mT4_P12ihipStream_tbEUlmE_fEESB_NS0_8identityIvEEEESG_SJ_SK_mSL_SN_bEUlT_E_NS1_11comp_targetILNS1_3genE10ELNS1_11target_archE1201ELNS1_3gpuE5ELNS1_3repE0EEENS1_30default_config_static_selectorELNS0_4arch9wavefront6targetE1EEEvT1_
	.globl	_ZN7rocprim17ROCPRIM_400000_NS6detail17trampoline_kernelINS0_14default_configENS1_25transform_config_selectorIfLb0EEEZNS1_14transform_implILb0ES3_S5_NS0_18transform_iteratorINS0_17counting_iteratorImlEEZNS1_24adjacent_difference_implIS3_Lb1ELb0EPfSB_N6thrust23THRUST_200600_302600_NS4plusIfEEEE10hipError_tPvRmT2_T3_mT4_P12ihipStream_tbEUlmE_fEESB_NS0_8identityIvEEEESG_SJ_SK_mSL_SN_bEUlT_E_NS1_11comp_targetILNS1_3genE10ELNS1_11target_archE1201ELNS1_3gpuE5ELNS1_3repE0EEENS1_30default_config_static_selectorELNS0_4arch9wavefront6targetE1EEEvT1_
	.p2align	8
	.type	_ZN7rocprim17ROCPRIM_400000_NS6detail17trampoline_kernelINS0_14default_configENS1_25transform_config_selectorIfLb0EEEZNS1_14transform_implILb0ES3_S5_NS0_18transform_iteratorINS0_17counting_iteratorImlEEZNS1_24adjacent_difference_implIS3_Lb1ELb0EPfSB_N6thrust23THRUST_200600_302600_NS4plusIfEEEE10hipError_tPvRmT2_T3_mT4_P12ihipStream_tbEUlmE_fEESB_NS0_8identityIvEEEESG_SJ_SK_mSL_SN_bEUlT_E_NS1_11comp_targetILNS1_3genE10ELNS1_11target_archE1201ELNS1_3gpuE5ELNS1_3repE0EEENS1_30default_config_static_selectorELNS0_4arch9wavefront6targetE1EEEvT1_,@function
_ZN7rocprim17ROCPRIM_400000_NS6detail17trampoline_kernelINS0_14default_configENS1_25transform_config_selectorIfLb0EEEZNS1_14transform_implILb0ES3_S5_NS0_18transform_iteratorINS0_17counting_iteratorImlEEZNS1_24adjacent_difference_implIS3_Lb1ELb0EPfSB_N6thrust23THRUST_200600_302600_NS4plusIfEEEE10hipError_tPvRmT2_T3_mT4_P12ihipStream_tbEUlmE_fEESB_NS0_8identityIvEEEESG_SJ_SK_mSL_SN_bEUlT_E_NS1_11comp_targetILNS1_3genE10ELNS1_11target_archE1201ELNS1_3gpuE5ELNS1_3repE0EEENS1_30default_config_static_selectorELNS0_4arch9wavefront6targetE1EEEvT1_: ; @_ZN7rocprim17ROCPRIM_400000_NS6detail17trampoline_kernelINS0_14default_configENS1_25transform_config_selectorIfLb0EEEZNS1_14transform_implILb0ES3_S5_NS0_18transform_iteratorINS0_17counting_iteratorImlEEZNS1_24adjacent_difference_implIS3_Lb1ELb0EPfSB_N6thrust23THRUST_200600_302600_NS4plusIfEEEE10hipError_tPvRmT2_T3_mT4_P12ihipStream_tbEUlmE_fEESB_NS0_8identityIvEEEESG_SJ_SK_mSL_SN_bEUlT_E_NS1_11comp_targetILNS1_3genE10ELNS1_11target_archE1201ELNS1_3gpuE5ELNS1_3repE0EEENS1_30default_config_static_selectorELNS0_4arch9wavefront6targetE1EEEvT1_
; %bb.0:
	.section	.rodata,"a",@progbits
	.p2align	6, 0x0
	.amdhsa_kernel _ZN7rocprim17ROCPRIM_400000_NS6detail17trampoline_kernelINS0_14default_configENS1_25transform_config_selectorIfLb0EEEZNS1_14transform_implILb0ES3_S5_NS0_18transform_iteratorINS0_17counting_iteratorImlEEZNS1_24adjacent_difference_implIS3_Lb1ELb0EPfSB_N6thrust23THRUST_200600_302600_NS4plusIfEEEE10hipError_tPvRmT2_T3_mT4_P12ihipStream_tbEUlmE_fEESB_NS0_8identityIvEEEESG_SJ_SK_mSL_SN_bEUlT_E_NS1_11comp_targetILNS1_3genE10ELNS1_11target_archE1201ELNS1_3gpuE5ELNS1_3repE0EEENS1_30default_config_static_selectorELNS0_4arch9wavefront6targetE1EEEvT1_
		.amdhsa_group_segment_fixed_size 0
		.amdhsa_private_segment_fixed_size 0
		.amdhsa_kernarg_size 56
		.amdhsa_user_sgpr_count 2
		.amdhsa_user_sgpr_dispatch_ptr 0
		.amdhsa_user_sgpr_queue_ptr 0
		.amdhsa_user_sgpr_kernarg_segment_ptr 1
		.amdhsa_user_sgpr_dispatch_id 0
		.amdhsa_user_sgpr_kernarg_preload_length 0
		.amdhsa_user_sgpr_kernarg_preload_offset 0
		.amdhsa_user_sgpr_private_segment_size 0
		.amdhsa_uses_dynamic_stack 0
		.amdhsa_enable_private_segment 0
		.amdhsa_system_sgpr_workgroup_id_x 1
		.amdhsa_system_sgpr_workgroup_id_y 0
		.amdhsa_system_sgpr_workgroup_id_z 0
		.amdhsa_system_sgpr_workgroup_info 0
		.amdhsa_system_vgpr_workitem_id 0
		.amdhsa_next_free_vgpr 1
		.amdhsa_next_free_sgpr 0
		.amdhsa_accum_offset 4
		.amdhsa_reserve_vcc 0
		.amdhsa_float_round_mode_32 0
		.amdhsa_float_round_mode_16_64 0
		.amdhsa_float_denorm_mode_32 3
		.amdhsa_float_denorm_mode_16_64 3
		.amdhsa_dx10_clamp 1
		.amdhsa_ieee_mode 1
		.amdhsa_fp16_overflow 0
		.amdhsa_tg_split 0
		.amdhsa_exception_fp_ieee_invalid_op 0
		.amdhsa_exception_fp_denorm_src 0
		.amdhsa_exception_fp_ieee_div_zero 0
		.amdhsa_exception_fp_ieee_overflow 0
		.amdhsa_exception_fp_ieee_underflow 0
		.amdhsa_exception_fp_ieee_inexact 0
		.amdhsa_exception_int_div_zero 0
	.end_amdhsa_kernel
	.section	.text._ZN7rocprim17ROCPRIM_400000_NS6detail17trampoline_kernelINS0_14default_configENS1_25transform_config_selectorIfLb0EEEZNS1_14transform_implILb0ES3_S5_NS0_18transform_iteratorINS0_17counting_iteratorImlEEZNS1_24adjacent_difference_implIS3_Lb1ELb0EPfSB_N6thrust23THRUST_200600_302600_NS4plusIfEEEE10hipError_tPvRmT2_T3_mT4_P12ihipStream_tbEUlmE_fEESB_NS0_8identityIvEEEESG_SJ_SK_mSL_SN_bEUlT_E_NS1_11comp_targetILNS1_3genE10ELNS1_11target_archE1201ELNS1_3gpuE5ELNS1_3repE0EEENS1_30default_config_static_selectorELNS0_4arch9wavefront6targetE1EEEvT1_,"axG",@progbits,_ZN7rocprim17ROCPRIM_400000_NS6detail17trampoline_kernelINS0_14default_configENS1_25transform_config_selectorIfLb0EEEZNS1_14transform_implILb0ES3_S5_NS0_18transform_iteratorINS0_17counting_iteratorImlEEZNS1_24adjacent_difference_implIS3_Lb1ELb0EPfSB_N6thrust23THRUST_200600_302600_NS4plusIfEEEE10hipError_tPvRmT2_T3_mT4_P12ihipStream_tbEUlmE_fEESB_NS0_8identityIvEEEESG_SJ_SK_mSL_SN_bEUlT_E_NS1_11comp_targetILNS1_3genE10ELNS1_11target_archE1201ELNS1_3gpuE5ELNS1_3repE0EEENS1_30default_config_static_selectorELNS0_4arch9wavefront6targetE1EEEvT1_,comdat
.Lfunc_end191:
	.size	_ZN7rocprim17ROCPRIM_400000_NS6detail17trampoline_kernelINS0_14default_configENS1_25transform_config_selectorIfLb0EEEZNS1_14transform_implILb0ES3_S5_NS0_18transform_iteratorINS0_17counting_iteratorImlEEZNS1_24adjacent_difference_implIS3_Lb1ELb0EPfSB_N6thrust23THRUST_200600_302600_NS4plusIfEEEE10hipError_tPvRmT2_T3_mT4_P12ihipStream_tbEUlmE_fEESB_NS0_8identityIvEEEESG_SJ_SK_mSL_SN_bEUlT_E_NS1_11comp_targetILNS1_3genE10ELNS1_11target_archE1201ELNS1_3gpuE5ELNS1_3repE0EEENS1_30default_config_static_selectorELNS0_4arch9wavefront6targetE1EEEvT1_, .Lfunc_end191-_ZN7rocprim17ROCPRIM_400000_NS6detail17trampoline_kernelINS0_14default_configENS1_25transform_config_selectorIfLb0EEEZNS1_14transform_implILb0ES3_S5_NS0_18transform_iteratorINS0_17counting_iteratorImlEEZNS1_24adjacent_difference_implIS3_Lb1ELb0EPfSB_N6thrust23THRUST_200600_302600_NS4plusIfEEEE10hipError_tPvRmT2_T3_mT4_P12ihipStream_tbEUlmE_fEESB_NS0_8identityIvEEEESG_SJ_SK_mSL_SN_bEUlT_E_NS1_11comp_targetILNS1_3genE10ELNS1_11target_archE1201ELNS1_3gpuE5ELNS1_3repE0EEENS1_30default_config_static_selectorELNS0_4arch9wavefront6targetE1EEEvT1_
                                        ; -- End function
	.section	.AMDGPU.csdata,"",@progbits
; Kernel info:
; codeLenInByte = 0
; NumSgprs: 6
; NumVgprs: 0
; NumAgprs: 0
; TotalNumVgprs: 0
; ScratchSize: 0
; MemoryBound: 0
; FloatMode: 240
; IeeeMode: 1
; LDSByteSize: 0 bytes/workgroup (compile time only)
; SGPRBlocks: 0
; VGPRBlocks: 0
; NumSGPRsForWavesPerEU: 6
; NumVGPRsForWavesPerEU: 1
; AccumOffset: 4
; Occupancy: 8
; WaveLimiterHint : 0
; COMPUTE_PGM_RSRC2:SCRATCH_EN: 0
; COMPUTE_PGM_RSRC2:USER_SGPR: 2
; COMPUTE_PGM_RSRC2:TRAP_HANDLER: 0
; COMPUTE_PGM_RSRC2:TGID_X_EN: 1
; COMPUTE_PGM_RSRC2:TGID_Y_EN: 0
; COMPUTE_PGM_RSRC2:TGID_Z_EN: 0
; COMPUTE_PGM_RSRC2:TIDIG_COMP_CNT: 0
; COMPUTE_PGM_RSRC3_GFX90A:ACCUM_OFFSET: 0
; COMPUTE_PGM_RSRC3_GFX90A:TG_SPLIT: 0
	.section	.text._ZN7rocprim17ROCPRIM_400000_NS6detail17trampoline_kernelINS0_14default_configENS1_25transform_config_selectorIfLb0EEEZNS1_14transform_implILb0ES3_S5_NS0_18transform_iteratorINS0_17counting_iteratorImlEEZNS1_24adjacent_difference_implIS3_Lb1ELb0EPfSB_N6thrust23THRUST_200600_302600_NS4plusIfEEEE10hipError_tPvRmT2_T3_mT4_P12ihipStream_tbEUlmE_fEESB_NS0_8identityIvEEEESG_SJ_SK_mSL_SN_bEUlT_E_NS1_11comp_targetILNS1_3genE10ELNS1_11target_archE1200ELNS1_3gpuE4ELNS1_3repE0EEENS1_30default_config_static_selectorELNS0_4arch9wavefront6targetE1EEEvT1_,"axG",@progbits,_ZN7rocprim17ROCPRIM_400000_NS6detail17trampoline_kernelINS0_14default_configENS1_25transform_config_selectorIfLb0EEEZNS1_14transform_implILb0ES3_S5_NS0_18transform_iteratorINS0_17counting_iteratorImlEEZNS1_24adjacent_difference_implIS3_Lb1ELb0EPfSB_N6thrust23THRUST_200600_302600_NS4plusIfEEEE10hipError_tPvRmT2_T3_mT4_P12ihipStream_tbEUlmE_fEESB_NS0_8identityIvEEEESG_SJ_SK_mSL_SN_bEUlT_E_NS1_11comp_targetILNS1_3genE10ELNS1_11target_archE1200ELNS1_3gpuE4ELNS1_3repE0EEENS1_30default_config_static_selectorELNS0_4arch9wavefront6targetE1EEEvT1_,comdat
	.protected	_ZN7rocprim17ROCPRIM_400000_NS6detail17trampoline_kernelINS0_14default_configENS1_25transform_config_selectorIfLb0EEEZNS1_14transform_implILb0ES3_S5_NS0_18transform_iteratorINS0_17counting_iteratorImlEEZNS1_24adjacent_difference_implIS3_Lb1ELb0EPfSB_N6thrust23THRUST_200600_302600_NS4plusIfEEEE10hipError_tPvRmT2_T3_mT4_P12ihipStream_tbEUlmE_fEESB_NS0_8identityIvEEEESG_SJ_SK_mSL_SN_bEUlT_E_NS1_11comp_targetILNS1_3genE10ELNS1_11target_archE1200ELNS1_3gpuE4ELNS1_3repE0EEENS1_30default_config_static_selectorELNS0_4arch9wavefront6targetE1EEEvT1_ ; -- Begin function _ZN7rocprim17ROCPRIM_400000_NS6detail17trampoline_kernelINS0_14default_configENS1_25transform_config_selectorIfLb0EEEZNS1_14transform_implILb0ES3_S5_NS0_18transform_iteratorINS0_17counting_iteratorImlEEZNS1_24adjacent_difference_implIS3_Lb1ELb0EPfSB_N6thrust23THRUST_200600_302600_NS4plusIfEEEE10hipError_tPvRmT2_T3_mT4_P12ihipStream_tbEUlmE_fEESB_NS0_8identityIvEEEESG_SJ_SK_mSL_SN_bEUlT_E_NS1_11comp_targetILNS1_3genE10ELNS1_11target_archE1200ELNS1_3gpuE4ELNS1_3repE0EEENS1_30default_config_static_selectorELNS0_4arch9wavefront6targetE1EEEvT1_
	.globl	_ZN7rocprim17ROCPRIM_400000_NS6detail17trampoline_kernelINS0_14default_configENS1_25transform_config_selectorIfLb0EEEZNS1_14transform_implILb0ES3_S5_NS0_18transform_iteratorINS0_17counting_iteratorImlEEZNS1_24adjacent_difference_implIS3_Lb1ELb0EPfSB_N6thrust23THRUST_200600_302600_NS4plusIfEEEE10hipError_tPvRmT2_T3_mT4_P12ihipStream_tbEUlmE_fEESB_NS0_8identityIvEEEESG_SJ_SK_mSL_SN_bEUlT_E_NS1_11comp_targetILNS1_3genE10ELNS1_11target_archE1200ELNS1_3gpuE4ELNS1_3repE0EEENS1_30default_config_static_selectorELNS0_4arch9wavefront6targetE1EEEvT1_
	.p2align	8
	.type	_ZN7rocprim17ROCPRIM_400000_NS6detail17trampoline_kernelINS0_14default_configENS1_25transform_config_selectorIfLb0EEEZNS1_14transform_implILb0ES3_S5_NS0_18transform_iteratorINS0_17counting_iteratorImlEEZNS1_24adjacent_difference_implIS3_Lb1ELb0EPfSB_N6thrust23THRUST_200600_302600_NS4plusIfEEEE10hipError_tPvRmT2_T3_mT4_P12ihipStream_tbEUlmE_fEESB_NS0_8identityIvEEEESG_SJ_SK_mSL_SN_bEUlT_E_NS1_11comp_targetILNS1_3genE10ELNS1_11target_archE1200ELNS1_3gpuE4ELNS1_3repE0EEENS1_30default_config_static_selectorELNS0_4arch9wavefront6targetE1EEEvT1_,@function
_ZN7rocprim17ROCPRIM_400000_NS6detail17trampoline_kernelINS0_14default_configENS1_25transform_config_selectorIfLb0EEEZNS1_14transform_implILb0ES3_S5_NS0_18transform_iteratorINS0_17counting_iteratorImlEEZNS1_24adjacent_difference_implIS3_Lb1ELb0EPfSB_N6thrust23THRUST_200600_302600_NS4plusIfEEEE10hipError_tPvRmT2_T3_mT4_P12ihipStream_tbEUlmE_fEESB_NS0_8identityIvEEEESG_SJ_SK_mSL_SN_bEUlT_E_NS1_11comp_targetILNS1_3genE10ELNS1_11target_archE1200ELNS1_3gpuE4ELNS1_3repE0EEENS1_30default_config_static_selectorELNS0_4arch9wavefront6targetE1EEEvT1_: ; @_ZN7rocprim17ROCPRIM_400000_NS6detail17trampoline_kernelINS0_14default_configENS1_25transform_config_selectorIfLb0EEEZNS1_14transform_implILb0ES3_S5_NS0_18transform_iteratorINS0_17counting_iteratorImlEEZNS1_24adjacent_difference_implIS3_Lb1ELb0EPfSB_N6thrust23THRUST_200600_302600_NS4plusIfEEEE10hipError_tPvRmT2_T3_mT4_P12ihipStream_tbEUlmE_fEESB_NS0_8identityIvEEEESG_SJ_SK_mSL_SN_bEUlT_E_NS1_11comp_targetILNS1_3genE10ELNS1_11target_archE1200ELNS1_3gpuE4ELNS1_3repE0EEENS1_30default_config_static_selectorELNS0_4arch9wavefront6targetE1EEEvT1_
; %bb.0:
	.section	.rodata,"a",@progbits
	.p2align	6, 0x0
	.amdhsa_kernel _ZN7rocprim17ROCPRIM_400000_NS6detail17trampoline_kernelINS0_14default_configENS1_25transform_config_selectorIfLb0EEEZNS1_14transform_implILb0ES3_S5_NS0_18transform_iteratorINS0_17counting_iteratorImlEEZNS1_24adjacent_difference_implIS3_Lb1ELb0EPfSB_N6thrust23THRUST_200600_302600_NS4plusIfEEEE10hipError_tPvRmT2_T3_mT4_P12ihipStream_tbEUlmE_fEESB_NS0_8identityIvEEEESG_SJ_SK_mSL_SN_bEUlT_E_NS1_11comp_targetILNS1_3genE10ELNS1_11target_archE1200ELNS1_3gpuE4ELNS1_3repE0EEENS1_30default_config_static_selectorELNS0_4arch9wavefront6targetE1EEEvT1_
		.amdhsa_group_segment_fixed_size 0
		.amdhsa_private_segment_fixed_size 0
		.amdhsa_kernarg_size 56
		.amdhsa_user_sgpr_count 2
		.amdhsa_user_sgpr_dispatch_ptr 0
		.amdhsa_user_sgpr_queue_ptr 0
		.amdhsa_user_sgpr_kernarg_segment_ptr 1
		.amdhsa_user_sgpr_dispatch_id 0
		.amdhsa_user_sgpr_kernarg_preload_length 0
		.amdhsa_user_sgpr_kernarg_preload_offset 0
		.amdhsa_user_sgpr_private_segment_size 0
		.amdhsa_uses_dynamic_stack 0
		.amdhsa_enable_private_segment 0
		.amdhsa_system_sgpr_workgroup_id_x 1
		.amdhsa_system_sgpr_workgroup_id_y 0
		.amdhsa_system_sgpr_workgroup_id_z 0
		.amdhsa_system_sgpr_workgroup_info 0
		.amdhsa_system_vgpr_workitem_id 0
		.amdhsa_next_free_vgpr 1
		.amdhsa_next_free_sgpr 0
		.amdhsa_accum_offset 4
		.amdhsa_reserve_vcc 0
		.amdhsa_float_round_mode_32 0
		.amdhsa_float_round_mode_16_64 0
		.amdhsa_float_denorm_mode_32 3
		.amdhsa_float_denorm_mode_16_64 3
		.amdhsa_dx10_clamp 1
		.amdhsa_ieee_mode 1
		.amdhsa_fp16_overflow 0
		.amdhsa_tg_split 0
		.amdhsa_exception_fp_ieee_invalid_op 0
		.amdhsa_exception_fp_denorm_src 0
		.amdhsa_exception_fp_ieee_div_zero 0
		.amdhsa_exception_fp_ieee_overflow 0
		.amdhsa_exception_fp_ieee_underflow 0
		.amdhsa_exception_fp_ieee_inexact 0
		.amdhsa_exception_int_div_zero 0
	.end_amdhsa_kernel
	.section	.text._ZN7rocprim17ROCPRIM_400000_NS6detail17trampoline_kernelINS0_14default_configENS1_25transform_config_selectorIfLb0EEEZNS1_14transform_implILb0ES3_S5_NS0_18transform_iteratorINS0_17counting_iteratorImlEEZNS1_24adjacent_difference_implIS3_Lb1ELb0EPfSB_N6thrust23THRUST_200600_302600_NS4plusIfEEEE10hipError_tPvRmT2_T3_mT4_P12ihipStream_tbEUlmE_fEESB_NS0_8identityIvEEEESG_SJ_SK_mSL_SN_bEUlT_E_NS1_11comp_targetILNS1_3genE10ELNS1_11target_archE1200ELNS1_3gpuE4ELNS1_3repE0EEENS1_30default_config_static_selectorELNS0_4arch9wavefront6targetE1EEEvT1_,"axG",@progbits,_ZN7rocprim17ROCPRIM_400000_NS6detail17trampoline_kernelINS0_14default_configENS1_25transform_config_selectorIfLb0EEEZNS1_14transform_implILb0ES3_S5_NS0_18transform_iteratorINS0_17counting_iteratorImlEEZNS1_24adjacent_difference_implIS3_Lb1ELb0EPfSB_N6thrust23THRUST_200600_302600_NS4plusIfEEEE10hipError_tPvRmT2_T3_mT4_P12ihipStream_tbEUlmE_fEESB_NS0_8identityIvEEEESG_SJ_SK_mSL_SN_bEUlT_E_NS1_11comp_targetILNS1_3genE10ELNS1_11target_archE1200ELNS1_3gpuE4ELNS1_3repE0EEENS1_30default_config_static_selectorELNS0_4arch9wavefront6targetE1EEEvT1_,comdat
.Lfunc_end192:
	.size	_ZN7rocprim17ROCPRIM_400000_NS6detail17trampoline_kernelINS0_14default_configENS1_25transform_config_selectorIfLb0EEEZNS1_14transform_implILb0ES3_S5_NS0_18transform_iteratorINS0_17counting_iteratorImlEEZNS1_24adjacent_difference_implIS3_Lb1ELb0EPfSB_N6thrust23THRUST_200600_302600_NS4plusIfEEEE10hipError_tPvRmT2_T3_mT4_P12ihipStream_tbEUlmE_fEESB_NS0_8identityIvEEEESG_SJ_SK_mSL_SN_bEUlT_E_NS1_11comp_targetILNS1_3genE10ELNS1_11target_archE1200ELNS1_3gpuE4ELNS1_3repE0EEENS1_30default_config_static_selectorELNS0_4arch9wavefront6targetE1EEEvT1_, .Lfunc_end192-_ZN7rocprim17ROCPRIM_400000_NS6detail17trampoline_kernelINS0_14default_configENS1_25transform_config_selectorIfLb0EEEZNS1_14transform_implILb0ES3_S5_NS0_18transform_iteratorINS0_17counting_iteratorImlEEZNS1_24adjacent_difference_implIS3_Lb1ELb0EPfSB_N6thrust23THRUST_200600_302600_NS4plusIfEEEE10hipError_tPvRmT2_T3_mT4_P12ihipStream_tbEUlmE_fEESB_NS0_8identityIvEEEESG_SJ_SK_mSL_SN_bEUlT_E_NS1_11comp_targetILNS1_3genE10ELNS1_11target_archE1200ELNS1_3gpuE4ELNS1_3repE0EEENS1_30default_config_static_selectorELNS0_4arch9wavefront6targetE1EEEvT1_
                                        ; -- End function
	.section	.AMDGPU.csdata,"",@progbits
; Kernel info:
; codeLenInByte = 0
; NumSgprs: 6
; NumVgprs: 0
; NumAgprs: 0
; TotalNumVgprs: 0
; ScratchSize: 0
; MemoryBound: 0
; FloatMode: 240
; IeeeMode: 1
; LDSByteSize: 0 bytes/workgroup (compile time only)
; SGPRBlocks: 0
; VGPRBlocks: 0
; NumSGPRsForWavesPerEU: 6
; NumVGPRsForWavesPerEU: 1
; AccumOffset: 4
; Occupancy: 8
; WaveLimiterHint : 0
; COMPUTE_PGM_RSRC2:SCRATCH_EN: 0
; COMPUTE_PGM_RSRC2:USER_SGPR: 2
; COMPUTE_PGM_RSRC2:TRAP_HANDLER: 0
; COMPUTE_PGM_RSRC2:TGID_X_EN: 1
; COMPUTE_PGM_RSRC2:TGID_Y_EN: 0
; COMPUTE_PGM_RSRC2:TGID_Z_EN: 0
; COMPUTE_PGM_RSRC2:TIDIG_COMP_CNT: 0
; COMPUTE_PGM_RSRC3_GFX90A:ACCUM_OFFSET: 0
; COMPUTE_PGM_RSRC3_GFX90A:TG_SPLIT: 0
	.section	.text._ZN7rocprim17ROCPRIM_400000_NS6detail17trampoline_kernelINS0_14default_configENS1_25transform_config_selectorIfLb0EEEZNS1_14transform_implILb0ES3_S5_NS0_18transform_iteratorINS0_17counting_iteratorImlEEZNS1_24adjacent_difference_implIS3_Lb1ELb0EPfSB_N6thrust23THRUST_200600_302600_NS4plusIfEEEE10hipError_tPvRmT2_T3_mT4_P12ihipStream_tbEUlmE_fEESB_NS0_8identityIvEEEESG_SJ_SK_mSL_SN_bEUlT_E_NS1_11comp_targetILNS1_3genE9ELNS1_11target_archE1100ELNS1_3gpuE3ELNS1_3repE0EEENS1_30default_config_static_selectorELNS0_4arch9wavefront6targetE1EEEvT1_,"axG",@progbits,_ZN7rocprim17ROCPRIM_400000_NS6detail17trampoline_kernelINS0_14default_configENS1_25transform_config_selectorIfLb0EEEZNS1_14transform_implILb0ES3_S5_NS0_18transform_iteratorINS0_17counting_iteratorImlEEZNS1_24adjacent_difference_implIS3_Lb1ELb0EPfSB_N6thrust23THRUST_200600_302600_NS4plusIfEEEE10hipError_tPvRmT2_T3_mT4_P12ihipStream_tbEUlmE_fEESB_NS0_8identityIvEEEESG_SJ_SK_mSL_SN_bEUlT_E_NS1_11comp_targetILNS1_3genE9ELNS1_11target_archE1100ELNS1_3gpuE3ELNS1_3repE0EEENS1_30default_config_static_selectorELNS0_4arch9wavefront6targetE1EEEvT1_,comdat
	.protected	_ZN7rocprim17ROCPRIM_400000_NS6detail17trampoline_kernelINS0_14default_configENS1_25transform_config_selectorIfLb0EEEZNS1_14transform_implILb0ES3_S5_NS0_18transform_iteratorINS0_17counting_iteratorImlEEZNS1_24adjacent_difference_implIS3_Lb1ELb0EPfSB_N6thrust23THRUST_200600_302600_NS4plusIfEEEE10hipError_tPvRmT2_T3_mT4_P12ihipStream_tbEUlmE_fEESB_NS0_8identityIvEEEESG_SJ_SK_mSL_SN_bEUlT_E_NS1_11comp_targetILNS1_3genE9ELNS1_11target_archE1100ELNS1_3gpuE3ELNS1_3repE0EEENS1_30default_config_static_selectorELNS0_4arch9wavefront6targetE1EEEvT1_ ; -- Begin function _ZN7rocprim17ROCPRIM_400000_NS6detail17trampoline_kernelINS0_14default_configENS1_25transform_config_selectorIfLb0EEEZNS1_14transform_implILb0ES3_S5_NS0_18transform_iteratorINS0_17counting_iteratorImlEEZNS1_24adjacent_difference_implIS3_Lb1ELb0EPfSB_N6thrust23THRUST_200600_302600_NS4plusIfEEEE10hipError_tPvRmT2_T3_mT4_P12ihipStream_tbEUlmE_fEESB_NS0_8identityIvEEEESG_SJ_SK_mSL_SN_bEUlT_E_NS1_11comp_targetILNS1_3genE9ELNS1_11target_archE1100ELNS1_3gpuE3ELNS1_3repE0EEENS1_30default_config_static_selectorELNS0_4arch9wavefront6targetE1EEEvT1_
	.globl	_ZN7rocprim17ROCPRIM_400000_NS6detail17trampoline_kernelINS0_14default_configENS1_25transform_config_selectorIfLb0EEEZNS1_14transform_implILb0ES3_S5_NS0_18transform_iteratorINS0_17counting_iteratorImlEEZNS1_24adjacent_difference_implIS3_Lb1ELb0EPfSB_N6thrust23THRUST_200600_302600_NS4plusIfEEEE10hipError_tPvRmT2_T3_mT4_P12ihipStream_tbEUlmE_fEESB_NS0_8identityIvEEEESG_SJ_SK_mSL_SN_bEUlT_E_NS1_11comp_targetILNS1_3genE9ELNS1_11target_archE1100ELNS1_3gpuE3ELNS1_3repE0EEENS1_30default_config_static_selectorELNS0_4arch9wavefront6targetE1EEEvT1_
	.p2align	8
	.type	_ZN7rocprim17ROCPRIM_400000_NS6detail17trampoline_kernelINS0_14default_configENS1_25transform_config_selectorIfLb0EEEZNS1_14transform_implILb0ES3_S5_NS0_18transform_iteratorINS0_17counting_iteratorImlEEZNS1_24adjacent_difference_implIS3_Lb1ELb0EPfSB_N6thrust23THRUST_200600_302600_NS4plusIfEEEE10hipError_tPvRmT2_T3_mT4_P12ihipStream_tbEUlmE_fEESB_NS0_8identityIvEEEESG_SJ_SK_mSL_SN_bEUlT_E_NS1_11comp_targetILNS1_3genE9ELNS1_11target_archE1100ELNS1_3gpuE3ELNS1_3repE0EEENS1_30default_config_static_selectorELNS0_4arch9wavefront6targetE1EEEvT1_,@function
_ZN7rocprim17ROCPRIM_400000_NS6detail17trampoline_kernelINS0_14default_configENS1_25transform_config_selectorIfLb0EEEZNS1_14transform_implILb0ES3_S5_NS0_18transform_iteratorINS0_17counting_iteratorImlEEZNS1_24adjacent_difference_implIS3_Lb1ELb0EPfSB_N6thrust23THRUST_200600_302600_NS4plusIfEEEE10hipError_tPvRmT2_T3_mT4_P12ihipStream_tbEUlmE_fEESB_NS0_8identityIvEEEESG_SJ_SK_mSL_SN_bEUlT_E_NS1_11comp_targetILNS1_3genE9ELNS1_11target_archE1100ELNS1_3gpuE3ELNS1_3repE0EEENS1_30default_config_static_selectorELNS0_4arch9wavefront6targetE1EEEvT1_: ; @_ZN7rocprim17ROCPRIM_400000_NS6detail17trampoline_kernelINS0_14default_configENS1_25transform_config_selectorIfLb0EEEZNS1_14transform_implILb0ES3_S5_NS0_18transform_iteratorINS0_17counting_iteratorImlEEZNS1_24adjacent_difference_implIS3_Lb1ELb0EPfSB_N6thrust23THRUST_200600_302600_NS4plusIfEEEE10hipError_tPvRmT2_T3_mT4_P12ihipStream_tbEUlmE_fEESB_NS0_8identityIvEEEESG_SJ_SK_mSL_SN_bEUlT_E_NS1_11comp_targetILNS1_3genE9ELNS1_11target_archE1100ELNS1_3gpuE3ELNS1_3repE0EEENS1_30default_config_static_selectorELNS0_4arch9wavefront6targetE1EEEvT1_
; %bb.0:
	.section	.rodata,"a",@progbits
	.p2align	6, 0x0
	.amdhsa_kernel _ZN7rocprim17ROCPRIM_400000_NS6detail17trampoline_kernelINS0_14default_configENS1_25transform_config_selectorIfLb0EEEZNS1_14transform_implILb0ES3_S5_NS0_18transform_iteratorINS0_17counting_iteratorImlEEZNS1_24adjacent_difference_implIS3_Lb1ELb0EPfSB_N6thrust23THRUST_200600_302600_NS4plusIfEEEE10hipError_tPvRmT2_T3_mT4_P12ihipStream_tbEUlmE_fEESB_NS0_8identityIvEEEESG_SJ_SK_mSL_SN_bEUlT_E_NS1_11comp_targetILNS1_3genE9ELNS1_11target_archE1100ELNS1_3gpuE3ELNS1_3repE0EEENS1_30default_config_static_selectorELNS0_4arch9wavefront6targetE1EEEvT1_
		.amdhsa_group_segment_fixed_size 0
		.amdhsa_private_segment_fixed_size 0
		.amdhsa_kernarg_size 56
		.amdhsa_user_sgpr_count 2
		.amdhsa_user_sgpr_dispatch_ptr 0
		.amdhsa_user_sgpr_queue_ptr 0
		.amdhsa_user_sgpr_kernarg_segment_ptr 1
		.amdhsa_user_sgpr_dispatch_id 0
		.amdhsa_user_sgpr_kernarg_preload_length 0
		.amdhsa_user_sgpr_kernarg_preload_offset 0
		.amdhsa_user_sgpr_private_segment_size 0
		.amdhsa_uses_dynamic_stack 0
		.amdhsa_enable_private_segment 0
		.amdhsa_system_sgpr_workgroup_id_x 1
		.amdhsa_system_sgpr_workgroup_id_y 0
		.amdhsa_system_sgpr_workgroup_id_z 0
		.amdhsa_system_sgpr_workgroup_info 0
		.amdhsa_system_vgpr_workitem_id 0
		.amdhsa_next_free_vgpr 1
		.amdhsa_next_free_sgpr 0
		.amdhsa_accum_offset 4
		.amdhsa_reserve_vcc 0
		.amdhsa_float_round_mode_32 0
		.amdhsa_float_round_mode_16_64 0
		.amdhsa_float_denorm_mode_32 3
		.amdhsa_float_denorm_mode_16_64 3
		.amdhsa_dx10_clamp 1
		.amdhsa_ieee_mode 1
		.amdhsa_fp16_overflow 0
		.amdhsa_tg_split 0
		.amdhsa_exception_fp_ieee_invalid_op 0
		.amdhsa_exception_fp_denorm_src 0
		.amdhsa_exception_fp_ieee_div_zero 0
		.amdhsa_exception_fp_ieee_overflow 0
		.amdhsa_exception_fp_ieee_underflow 0
		.amdhsa_exception_fp_ieee_inexact 0
		.amdhsa_exception_int_div_zero 0
	.end_amdhsa_kernel
	.section	.text._ZN7rocprim17ROCPRIM_400000_NS6detail17trampoline_kernelINS0_14default_configENS1_25transform_config_selectorIfLb0EEEZNS1_14transform_implILb0ES3_S5_NS0_18transform_iteratorINS0_17counting_iteratorImlEEZNS1_24adjacent_difference_implIS3_Lb1ELb0EPfSB_N6thrust23THRUST_200600_302600_NS4plusIfEEEE10hipError_tPvRmT2_T3_mT4_P12ihipStream_tbEUlmE_fEESB_NS0_8identityIvEEEESG_SJ_SK_mSL_SN_bEUlT_E_NS1_11comp_targetILNS1_3genE9ELNS1_11target_archE1100ELNS1_3gpuE3ELNS1_3repE0EEENS1_30default_config_static_selectorELNS0_4arch9wavefront6targetE1EEEvT1_,"axG",@progbits,_ZN7rocprim17ROCPRIM_400000_NS6detail17trampoline_kernelINS0_14default_configENS1_25transform_config_selectorIfLb0EEEZNS1_14transform_implILb0ES3_S5_NS0_18transform_iteratorINS0_17counting_iteratorImlEEZNS1_24adjacent_difference_implIS3_Lb1ELb0EPfSB_N6thrust23THRUST_200600_302600_NS4plusIfEEEE10hipError_tPvRmT2_T3_mT4_P12ihipStream_tbEUlmE_fEESB_NS0_8identityIvEEEESG_SJ_SK_mSL_SN_bEUlT_E_NS1_11comp_targetILNS1_3genE9ELNS1_11target_archE1100ELNS1_3gpuE3ELNS1_3repE0EEENS1_30default_config_static_selectorELNS0_4arch9wavefront6targetE1EEEvT1_,comdat
.Lfunc_end193:
	.size	_ZN7rocprim17ROCPRIM_400000_NS6detail17trampoline_kernelINS0_14default_configENS1_25transform_config_selectorIfLb0EEEZNS1_14transform_implILb0ES3_S5_NS0_18transform_iteratorINS0_17counting_iteratorImlEEZNS1_24adjacent_difference_implIS3_Lb1ELb0EPfSB_N6thrust23THRUST_200600_302600_NS4plusIfEEEE10hipError_tPvRmT2_T3_mT4_P12ihipStream_tbEUlmE_fEESB_NS0_8identityIvEEEESG_SJ_SK_mSL_SN_bEUlT_E_NS1_11comp_targetILNS1_3genE9ELNS1_11target_archE1100ELNS1_3gpuE3ELNS1_3repE0EEENS1_30default_config_static_selectorELNS0_4arch9wavefront6targetE1EEEvT1_, .Lfunc_end193-_ZN7rocprim17ROCPRIM_400000_NS6detail17trampoline_kernelINS0_14default_configENS1_25transform_config_selectorIfLb0EEEZNS1_14transform_implILb0ES3_S5_NS0_18transform_iteratorINS0_17counting_iteratorImlEEZNS1_24adjacent_difference_implIS3_Lb1ELb0EPfSB_N6thrust23THRUST_200600_302600_NS4plusIfEEEE10hipError_tPvRmT2_T3_mT4_P12ihipStream_tbEUlmE_fEESB_NS0_8identityIvEEEESG_SJ_SK_mSL_SN_bEUlT_E_NS1_11comp_targetILNS1_3genE9ELNS1_11target_archE1100ELNS1_3gpuE3ELNS1_3repE0EEENS1_30default_config_static_selectorELNS0_4arch9wavefront6targetE1EEEvT1_
                                        ; -- End function
	.section	.AMDGPU.csdata,"",@progbits
; Kernel info:
; codeLenInByte = 0
; NumSgprs: 6
; NumVgprs: 0
; NumAgprs: 0
; TotalNumVgprs: 0
; ScratchSize: 0
; MemoryBound: 0
; FloatMode: 240
; IeeeMode: 1
; LDSByteSize: 0 bytes/workgroup (compile time only)
; SGPRBlocks: 0
; VGPRBlocks: 0
; NumSGPRsForWavesPerEU: 6
; NumVGPRsForWavesPerEU: 1
; AccumOffset: 4
; Occupancy: 8
; WaveLimiterHint : 0
; COMPUTE_PGM_RSRC2:SCRATCH_EN: 0
; COMPUTE_PGM_RSRC2:USER_SGPR: 2
; COMPUTE_PGM_RSRC2:TRAP_HANDLER: 0
; COMPUTE_PGM_RSRC2:TGID_X_EN: 1
; COMPUTE_PGM_RSRC2:TGID_Y_EN: 0
; COMPUTE_PGM_RSRC2:TGID_Z_EN: 0
; COMPUTE_PGM_RSRC2:TIDIG_COMP_CNT: 0
; COMPUTE_PGM_RSRC3_GFX90A:ACCUM_OFFSET: 0
; COMPUTE_PGM_RSRC3_GFX90A:TG_SPLIT: 0
	.section	.text._ZN7rocprim17ROCPRIM_400000_NS6detail17trampoline_kernelINS0_14default_configENS1_25transform_config_selectorIfLb0EEEZNS1_14transform_implILb0ES3_S5_NS0_18transform_iteratorINS0_17counting_iteratorImlEEZNS1_24adjacent_difference_implIS3_Lb1ELb0EPfSB_N6thrust23THRUST_200600_302600_NS4plusIfEEEE10hipError_tPvRmT2_T3_mT4_P12ihipStream_tbEUlmE_fEESB_NS0_8identityIvEEEESG_SJ_SK_mSL_SN_bEUlT_E_NS1_11comp_targetILNS1_3genE8ELNS1_11target_archE1030ELNS1_3gpuE2ELNS1_3repE0EEENS1_30default_config_static_selectorELNS0_4arch9wavefront6targetE1EEEvT1_,"axG",@progbits,_ZN7rocprim17ROCPRIM_400000_NS6detail17trampoline_kernelINS0_14default_configENS1_25transform_config_selectorIfLb0EEEZNS1_14transform_implILb0ES3_S5_NS0_18transform_iteratorINS0_17counting_iteratorImlEEZNS1_24adjacent_difference_implIS3_Lb1ELb0EPfSB_N6thrust23THRUST_200600_302600_NS4plusIfEEEE10hipError_tPvRmT2_T3_mT4_P12ihipStream_tbEUlmE_fEESB_NS0_8identityIvEEEESG_SJ_SK_mSL_SN_bEUlT_E_NS1_11comp_targetILNS1_3genE8ELNS1_11target_archE1030ELNS1_3gpuE2ELNS1_3repE0EEENS1_30default_config_static_selectorELNS0_4arch9wavefront6targetE1EEEvT1_,comdat
	.protected	_ZN7rocprim17ROCPRIM_400000_NS6detail17trampoline_kernelINS0_14default_configENS1_25transform_config_selectorIfLb0EEEZNS1_14transform_implILb0ES3_S5_NS0_18transform_iteratorINS0_17counting_iteratorImlEEZNS1_24adjacent_difference_implIS3_Lb1ELb0EPfSB_N6thrust23THRUST_200600_302600_NS4plusIfEEEE10hipError_tPvRmT2_T3_mT4_P12ihipStream_tbEUlmE_fEESB_NS0_8identityIvEEEESG_SJ_SK_mSL_SN_bEUlT_E_NS1_11comp_targetILNS1_3genE8ELNS1_11target_archE1030ELNS1_3gpuE2ELNS1_3repE0EEENS1_30default_config_static_selectorELNS0_4arch9wavefront6targetE1EEEvT1_ ; -- Begin function _ZN7rocprim17ROCPRIM_400000_NS6detail17trampoline_kernelINS0_14default_configENS1_25transform_config_selectorIfLb0EEEZNS1_14transform_implILb0ES3_S5_NS0_18transform_iteratorINS0_17counting_iteratorImlEEZNS1_24adjacent_difference_implIS3_Lb1ELb0EPfSB_N6thrust23THRUST_200600_302600_NS4plusIfEEEE10hipError_tPvRmT2_T3_mT4_P12ihipStream_tbEUlmE_fEESB_NS0_8identityIvEEEESG_SJ_SK_mSL_SN_bEUlT_E_NS1_11comp_targetILNS1_3genE8ELNS1_11target_archE1030ELNS1_3gpuE2ELNS1_3repE0EEENS1_30default_config_static_selectorELNS0_4arch9wavefront6targetE1EEEvT1_
	.globl	_ZN7rocprim17ROCPRIM_400000_NS6detail17trampoline_kernelINS0_14default_configENS1_25transform_config_selectorIfLb0EEEZNS1_14transform_implILb0ES3_S5_NS0_18transform_iteratorINS0_17counting_iteratorImlEEZNS1_24adjacent_difference_implIS3_Lb1ELb0EPfSB_N6thrust23THRUST_200600_302600_NS4plusIfEEEE10hipError_tPvRmT2_T3_mT4_P12ihipStream_tbEUlmE_fEESB_NS0_8identityIvEEEESG_SJ_SK_mSL_SN_bEUlT_E_NS1_11comp_targetILNS1_3genE8ELNS1_11target_archE1030ELNS1_3gpuE2ELNS1_3repE0EEENS1_30default_config_static_selectorELNS0_4arch9wavefront6targetE1EEEvT1_
	.p2align	8
	.type	_ZN7rocprim17ROCPRIM_400000_NS6detail17trampoline_kernelINS0_14default_configENS1_25transform_config_selectorIfLb0EEEZNS1_14transform_implILb0ES3_S5_NS0_18transform_iteratorINS0_17counting_iteratorImlEEZNS1_24adjacent_difference_implIS3_Lb1ELb0EPfSB_N6thrust23THRUST_200600_302600_NS4plusIfEEEE10hipError_tPvRmT2_T3_mT4_P12ihipStream_tbEUlmE_fEESB_NS0_8identityIvEEEESG_SJ_SK_mSL_SN_bEUlT_E_NS1_11comp_targetILNS1_3genE8ELNS1_11target_archE1030ELNS1_3gpuE2ELNS1_3repE0EEENS1_30default_config_static_selectorELNS0_4arch9wavefront6targetE1EEEvT1_,@function
_ZN7rocprim17ROCPRIM_400000_NS6detail17trampoline_kernelINS0_14default_configENS1_25transform_config_selectorIfLb0EEEZNS1_14transform_implILb0ES3_S5_NS0_18transform_iteratorINS0_17counting_iteratorImlEEZNS1_24adjacent_difference_implIS3_Lb1ELb0EPfSB_N6thrust23THRUST_200600_302600_NS4plusIfEEEE10hipError_tPvRmT2_T3_mT4_P12ihipStream_tbEUlmE_fEESB_NS0_8identityIvEEEESG_SJ_SK_mSL_SN_bEUlT_E_NS1_11comp_targetILNS1_3genE8ELNS1_11target_archE1030ELNS1_3gpuE2ELNS1_3repE0EEENS1_30default_config_static_selectorELNS0_4arch9wavefront6targetE1EEEvT1_: ; @_ZN7rocprim17ROCPRIM_400000_NS6detail17trampoline_kernelINS0_14default_configENS1_25transform_config_selectorIfLb0EEEZNS1_14transform_implILb0ES3_S5_NS0_18transform_iteratorINS0_17counting_iteratorImlEEZNS1_24adjacent_difference_implIS3_Lb1ELb0EPfSB_N6thrust23THRUST_200600_302600_NS4plusIfEEEE10hipError_tPvRmT2_T3_mT4_P12ihipStream_tbEUlmE_fEESB_NS0_8identityIvEEEESG_SJ_SK_mSL_SN_bEUlT_E_NS1_11comp_targetILNS1_3genE8ELNS1_11target_archE1030ELNS1_3gpuE2ELNS1_3repE0EEENS1_30default_config_static_selectorELNS0_4arch9wavefront6targetE1EEEvT1_
; %bb.0:
	.section	.rodata,"a",@progbits
	.p2align	6, 0x0
	.amdhsa_kernel _ZN7rocprim17ROCPRIM_400000_NS6detail17trampoline_kernelINS0_14default_configENS1_25transform_config_selectorIfLb0EEEZNS1_14transform_implILb0ES3_S5_NS0_18transform_iteratorINS0_17counting_iteratorImlEEZNS1_24adjacent_difference_implIS3_Lb1ELb0EPfSB_N6thrust23THRUST_200600_302600_NS4plusIfEEEE10hipError_tPvRmT2_T3_mT4_P12ihipStream_tbEUlmE_fEESB_NS0_8identityIvEEEESG_SJ_SK_mSL_SN_bEUlT_E_NS1_11comp_targetILNS1_3genE8ELNS1_11target_archE1030ELNS1_3gpuE2ELNS1_3repE0EEENS1_30default_config_static_selectorELNS0_4arch9wavefront6targetE1EEEvT1_
		.amdhsa_group_segment_fixed_size 0
		.amdhsa_private_segment_fixed_size 0
		.amdhsa_kernarg_size 56
		.amdhsa_user_sgpr_count 2
		.amdhsa_user_sgpr_dispatch_ptr 0
		.amdhsa_user_sgpr_queue_ptr 0
		.amdhsa_user_sgpr_kernarg_segment_ptr 1
		.amdhsa_user_sgpr_dispatch_id 0
		.amdhsa_user_sgpr_kernarg_preload_length 0
		.amdhsa_user_sgpr_kernarg_preload_offset 0
		.amdhsa_user_sgpr_private_segment_size 0
		.amdhsa_uses_dynamic_stack 0
		.amdhsa_enable_private_segment 0
		.amdhsa_system_sgpr_workgroup_id_x 1
		.amdhsa_system_sgpr_workgroup_id_y 0
		.amdhsa_system_sgpr_workgroup_id_z 0
		.amdhsa_system_sgpr_workgroup_info 0
		.amdhsa_system_vgpr_workitem_id 0
		.amdhsa_next_free_vgpr 1
		.amdhsa_next_free_sgpr 0
		.amdhsa_accum_offset 4
		.amdhsa_reserve_vcc 0
		.amdhsa_float_round_mode_32 0
		.amdhsa_float_round_mode_16_64 0
		.amdhsa_float_denorm_mode_32 3
		.amdhsa_float_denorm_mode_16_64 3
		.amdhsa_dx10_clamp 1
		.amdhsa_ieee_mode 1
		.amdhsa_fp16_overflow 0
		.amdhsa_tg_split 0
		.amdhsa_exception_fp_ieee_invalid_op 0
		.amdhsa_exception_fp_denorm_src 0
		.amdhsa_exception_fp_ieee_div_zero 0
		.amdhsa_exception_fp_ieee_overflow 0
		.amdhsa_exception_fp_ieee_underflow 0
		.amdhsa_exception_fp_ieee_inexact 0
		.amdhsa_exception_int_div_zero 0
	.end_amdhsa_kernel
	.section	.text._ZN7rocprim17ROCPRIM_400000_NS6detail17trampoline_kernelINS0_14default_configENS1_25transform_config_selectorIfLb0EEEZNS1_14transform_implILb0ES3_S5_NS0_18transform_iteratorINS0_17counting_iteratorImlEEZNS1_24adjacent_difference_implIS3_Lb1ELb0EPfSB_N6thrust23THRUST_200600_302600_NS4plusIfEEEE10hipError_tPvRmT2_T3_mT4_P12ihipStream_tbEUlmE_fEESB_NS0_8identityIvEEEESG_SJ_SK_mSL_SN_bEUlT_E_NS1_11comp_targetILNS1_3genE8ELNS1_11target_archE1030ELNS1_3gpuE2ELNS1_3repE0EEENS1_30default_config_static_selectorELNS0_4arch9wavefront6targetE1EEEvT1_,"axG",@progbits,_ZN7rocprim17ROCPRIM_400000_NS6detail17trampoline_kernelINS0_14default_configENS1_25transform_config_selectorIfLb0EEEZNS1_14transform_implILb0ES3_S5_NS0_18transform_iteratorINS0_17counting_iteratorImlEEZNS1_24adjacent_difference_implIS3_Lb1ELb0EPfSB_N6thrust23THRUST_200600_302600_NS4plusIfEEEE10hipError_tPvRmT2_T3_mT4_P12ihipStream_tbEUlmE_fEESB_NS0_8identityIvEEEESG_SJ_SK_mSL_SN_bEUlT_E_NS1_11comp_targetILNS1_3genE8ELNS1_11target_archE1030ELNS1_3gpuE2ELNS1_3repE0EEENS1_30default_config_static_selectorELNS0_4arch9wavefront6targetE1EEEvT1_,comdat
.Lfunc_end194:
	.size	_ZN7rocprim17ROCPRIM_400000_NS6detail17trampoline_kernelINS0_14default_configENS1_25transform_config_selectorIfLb0EEEZNS1_14transform_implILb0ES3_S5_NS0_18transform_iteratorINS0_17counting_iteratorImlEEZNS1_24adjacent_difference_implIS3_Lb1ELb0EPfSB_N6thrust23THRUST_200600_302600_NS4plusIfEEEE10hipError_tPvRmT2_T3_mT4_P12ihipStream_tbEUlmE_fEESB_NS0_8identityIvEEEESG_SJ_SK_mSL_SN_bEUlT_E_NS1_11comp_targetILNS1_3genE8ELNS1_11target_archE1030ELNS1_3gpuE2ELNS1_3repE0EEENS1_30default_config_static_selectorELNS0_4arch9wavefront6targetE1EEEvT1_, .Lfunc_end194-_ZN7rocprim17ROCPRIM_400000_NS6detail17trampoline_kernelINS0_14default_configENS1_25transform_config_selectorIfLb0EEEZNS1_14transform_implILb0ES3_S5_NS0_18transform_iteratorINS0_17counting_iteratorImlEEZNS1_24adjacent_difference_implIS3_Lb1ELb0EPfSB_N6thrust23THRUST_200600_302600_NS4plusIfEEEE10hipError_tPvRmT2_T3_mT4_P12ihipStream_tbEUlmE_fEESB_NS0_8identityIvEEEESG_SJ_SK_mSL_SN_bEUlT_E_NS1_11comp_targetILNS1_3genE8ELNS1_11target_archE1030ELNS1_3gpuE2ELNS1_3repE0EEENS1_30default_config_static_selectorELNS0_4arch9wavefront6targetE1EEEvT1_
                                        ; -- End function
	.section	.AMDGPU.csdata,"",@progbits
; Kernel info:
; codeLenInByte = 0
; NumSgprs: 6
; NumVgprs: 0
; NumAgprs: 0
; TotalNumVgprs: 0
; ScratchSize: 0
; MemoryBound: 0
; FloatMode: 240
; IeeeMode: 1
; LDSByteSize: 0 bytes/workgroup (compile time only)
; SGPRBlocks: 0
; VGPRBlocks: 0
; NumSGPRsForWavesPerEU: 6
; NumVGPRsForWavesPerEU: 1
; AccumOffset: 4
; Occupancy: 8
; WaveLimiterHint : 0
; COMPUTE_PGM_RSRC2:SCRATCH_EN: 0
; COMPUTE_PGM_RSRC2:USER_SGPR: 2
; COMPUTE_PGM_RSRC2:TRAP_HANDLER: 0
; COMPUTE_PGM_RSRC2:TGID_X_EN: 1
; COMPUTE_PGM_RSRC2:TGID_Y_EN: 0
; COMPUTE_PGM_RSRC2:TGID_Z_EN: 0
; COMPUTE_PGM_RSRC2:TIDIG_COMP_CNT: 0
; COMPUTE_PGM_RSRC3_GFX90A:ACCUM_OFFSET: 0
; COMPUTE_PGM_RSRC3_GFX90A:TG_SPLIT: 0
	.section	.text._ZN7rocprim17ROCPRIM_400000_NS6detail17trampoline_kernelINS0_14default_configENS1_35adjacent_difference_config_selectorILb1EfEEZNS1_24adjacent_difference_implIS3_Lb1ELb0EPfS7_N6thrust23THRUST_200600_302600_NS4plusIfEEEE10hipError_tPvRmT2_T3_mT4_P12ihipStream_tbEUlT_E_NS1_11comp_targetILNS1_3genE0ELNS1_11target_archE4294967295ELNS1_3gpuE0ELNS1_3repE0EEENS1_30default_config_static_selectorELNS0_4arch9wavefront6targetE1EEEvT1_,"axG",@progbits,_ZN7rocprim17ROCPRIM_400000_NS6detail17trampoline_kernelINS0_14default_configENS1_35adjacent_difference_config_selectorILb1EfEEZNS1_24adjacent_difference_implIS3_Lb1ELb0EPfS7_N6thrust23THRUST_200600_302600_NS4plusIfEEEE10hipError_tPvRmT2_T3_mT4_P12ihipStream_tbEUlT_E_NS1_11comp_targetILNS1_3genE0ELNS1_11target_archE4294967295ELNS1_3gpuE0ELNS1_3repE0EEENS1_30default_config_static_selectorELNS0_4arch9wavefront6targetE1EEEvT1_,comdat
	.protected	_ZN7rocprim17ROCPRIM_400000_NS6detail17trampoline_kernelINS0_14default_configENS1_35adjacent_difference_config_selectorILb1EfEEZNS1_24adjacent_difference_implIS3_Lb1ELb0EPfS7_N6thrust23THRUST_200600_302600_NS4plusIfEEEE10hipError_tPvRmT2_T3_mT4_P12ihipStream_tbEUlT_E_NS1_11comp_targetILNS1_3genE0ELNS1_11target_archE4294967295ELNS1_3gpuE0ELNS1_3repE0EEENS1_30default_config_static_selectorELNS0_4arch9wavefront6targetE1EEEvT1_ ; -- Begin function _ZN7rocprim17ROCPRIM_400000_NS6detail17trampoline_kernelINS0_14default_configENS1_35adjacent_difference_config_selectorILb1EfEEZNS1_24adjacent_difference_implIS3_Lb1ELb0EPfS7_N6thrust23THRUST_200600_302600_NS4plusIfEEEE10hipError_tPvRmT2_T3_mT4_P12ihipStream_tbEUlT_E_NS1_11comp_targetILNS1_3genE0ELNS1_11target_archE4294967295ELNS1_3gpuE0ELNS1_3repE0EEENS1_30default_config_static_selectorELNS0_4arch9wavefront6targetE1EEEvT1_
	.globl	_ZN7rocprim17ROCPRIM_400000_NS6detail17trampoline_kernelINS0_14default_configENS1_35adjacent_difference_config_selectorILb1EfEEZNS1_24adjacent_difference_implIS3_Lb1ELb0EPfS7_N6thrust23THRUST_200600_302600_NS4plusIfEEEE10hipError_tPvRmT2_T3_mT4_P12ihipStream_tbEUlT_E_NS1_11comp_targetILNS1_3genE0ELNS1_11target_archE4294967295ELNS1_3gpuE0ELNS1_3repE0EEENS1_30default_config_static_selectorELNS0_4arch9wavefront6targetE1EEEvT1_
	.p2align	8
	.type	_ZN7rocprim17ROCPRIM_400000_NS6detail17trampoline_kernelINS0_14default_configENS1_35adjacent_difference_config_selectorILb1EfEEZNS1_24adjacent_difference_implIS3_Lb1ELb0EPfS7_N6thrust23THRUST_200600_302600_NS4plusIfEEEE10hipError_tPvRmT2_T3_mT4_P12ihipStream_tbEUlT_E_NS1_11comp_targetILNS1_3genE0ELNS1_11target_archE4294967295ELNS1_3gpuE0ELNS1_3repE0EEENS1_30default_config_static_selectorELNS0_4arch9wavefront6targetE1EEEvT1_,@function
_ZN7rocprim17ROCPRIM_400000_NS6detail17trampoline_kernelINS0_14default_configENS1_35adjacent_difference_config_selectorILb1EfEEZNS1_24adjacent_difference_implIS3_Lb1ELb0EPfS7_N6thrust23THRUST_200600_302600_NS4plusIfEEEE10hipError_tPvRmT2_T3_mT4_P12ihipStream_tbEUlT_E_NS1_11comp_targetILNS1_3genE0ELNS1_11target_archE4294967295ELNS1_3gpuE0ELNS1_3repE0EEENS1_30default_config_static_selectorELNS0_4arch9wavefront6targetE1EEEvT1_: ; @_ZN7rocprim17ROCPRIM_400000_NS6detail17trampoline_kernelINS0_14default_configENS1_35adjacent_difference_config_selectorILb1EfEEZNS1_24adjacent_difference_implIS3_Lb1ELb0EPfS7_N6thrust23THRUST_200600_302600_NS4plusIfEEEE10hipError_tPvRmT2_T3_mT4_P12ihipStream_tbEUlT_E_NS1_11comp_targetILNS1_3genE0ELNS1_11target_archE4294967295ELNS1_3gpuE0ELNS1_3repE0EEENS1_30default_config_static_selectorELNS0_4arch9wavefront6targetE1EEEvT1_
; %bb.0:
	.section	.rodata,"a",@progbits
	.p2align	6, 0x0
	.amdhsa_kernel _ZN7rocprim17ROCPRIM_400000_NS6detail17trampoline_kernelINS0_14default_configENS1_35adjacent_difference_config_selectorILb1EfEEZNS1_24adjacent_difference_implIS3_Lb1ELb0EPfS7_N6thrust23THRUST_200600_302600_NS4plusIfEEEE10hipError_tPvRmT2_T3_mT4_P12ihipStream_tbEUlT_E_NS1_11comp_targetILNS1_3genE0ELNS1_11target_archE4294967295ELNS1_3gpuE0ELNS1_3repE0EEENS1_30default_config_static_selectorELNS0_4arch9wavefront6targetE1EEEvT1_
		.amdhsa_group_segment_fixed_size 0
		.amdhsa_private_segment_fixed_size 0
		.amdhsa_kernarg_size 56
		.amdhsa_user_sgpr_count 2
		.amdhsa_user_sgpr_dispatch_ptr 0
		.amdhsa_user_sgpr_queue_ptr 0
		.amdhsa_user_sgpr_kernarg_segment_ptr 1
		.amdhsa_user_sgpr_dispatch_id 0
		.amdhsa_user_sgpr_kernarg_preload_length 0
		.amdhsa_user_sgpr_kernarg_preload_offset 0
		.amdhsa_user_sgpr_private_segment_size 0
		.amdhsa_uses_dynamic_stack 0
		.amdhsa_enable_private_segment 0
		.amdhsa_system_sgpr_workgroup_id_x 1
		.amdhsa_system_sgpr_workgroup_id_y 0
		.amdhsa_system_sgpr_workgroup_id_z 0
		.amdhsa_system_sgpr_workgroup_info 0
		.amdhsa_system_vgpr_workitem_id 0
		.amdhsa_next_free_vgpr 1
		.amdhsa_next_free_sgpr 0
		.amdhsa_accum_offset 4
		.amdhsa_reserve_vcc 0
		.amdhsa_float_round_mode_32 0
		.amdhsa_float_round_mode_16_64 0
		.amdhsa_float_denorm_mode_32 3
		.amdhsa_float_denorm_mode_16_64 3
		.amdhsa_dx10_clamp 1
		.amdhsa_ieee_mode 1
		.amdhsa_fp16_overflow 0
		.amdhsa_tg_split 0
		.amdhsa_exception_fp_ieee_invalid_op 0
		.amdhsa_exception_fp_denorm_src 0
		.amdhsa_exception_fp_ieee_div_zero 0
		.amdhsa_exception_fp_ieee_overflow 0
		.amdhsa_exception_fp_ieee_underflow 0
		.amdhsa_exception_fp_ieee_inexact 0
		.amdhsa_exception_int_div_zero 0
	.end_amdhsa_kernel
	.section	.text._ZN7rocprim17ROCPRIM_400000_NS6detail17trampoline_kernelINS0_14default_configENS1_35adjacent_difference_config_selectorILb1EfEEZNS1_24adjacent_difference_implIS3_Lb1ELb0EPfS7_N6thrust23THRUST_200600_302600_NS4plusIfEEEE10hipError_tPvRmT2_T3_mT4_P12ihipStream_tbEUlT_E_NS1_11comp_targetILNS1_3genE0ELNS1_11target_archE4294967295ELNS1_3gpuE0ELNS1_3repE0EEENS1_30default_config_static_selectorELNS0_4arch9wavefront6targetE1EEEvT1_,"axG",@progbits,_ZN7rocprim17ROCPRIM_400000_NS6detail17trampoline_kernelINS0_14default_configENS1_35adjacent_difference_config_selectorILb1EfEEZNS1_24adjacent_difference_implIS3_Lb1ELb0EPfS7_N6thrust23THRUST_200600_302600_NS4plusIfEEEE10hipError_tPvRmT2_T3_mT4_P12ihipStream_tbEUlT_E_NS1_11comp_targetILNS1_3genE0ELNS1_11target_archE4294967295ELNS1_3gpuE0ELNS1_3repE0EEENS1_30default_config_static_selectorELNS0_4arch9wavefront6targetE1EEEvT1_,comdat
.Lfunc_end195:
	.size	_ZN7rocprim17ROCPRIM_400000_NS6detail17trampoline_kernelINS0_14default_configENS1_35adjacent_difference_config_selectorILb1EfEEZNS1_24adjacent_difference_implIS3_Lb1ELb0EPfS7_N6thrust23THRUST_200600_302600_NS4plusIfEEEE10hipError_tPvRmT2_T3_mT4_P12ihipStream_tbEUlT_E_NS1_11comp_targetILNS1_3genE0ELNS1_11target_archE4294967295ELNS1_3gpuE0ELNS1_3repE0EEENS1_30default_config_static_selectorELNS0_4arch9wavefront6targetE1EEEvT1_, .Lfunc_end195-_ZN7rocprim17ROCPRIM_400000_NS6detail17trampoline_kernelINS0_14default_configENS1_35adjacent_difference_config_selectorILb1EfEEZNS1_24adjacent_difference_implIS3_Lb1ELb0EPfS7_N6thrust23THRUST_200600_302600_NS4plusIfEEEE10hipError_tPvRmT2_T3_mT4_P12ihipStream_tbEUlT_E_NS1_11comp_targetILNS1_3genE0ELNS1_11target_archE4294967295ELNS1_3gpuE0ELNS1_3repE0EEENS1_30default_config_static_selectorELNS0_4arch9wavefront6targetE1EEEvT1_
                                        ; -- End function
	.section	.AMDGPU.csdata,"",@progbits
; Kernel info:
; codeLenInByte = 0
; NumSgprs: 6
; NumVgprs: 0
; NumAgprs: 0
; TotalNumVgprs: 0
; ScratchSize: 0
; MemoryBound: 0
; FloatMode: 240
; IeeeMode: 1
; LDSByteSize: 0 bytes/workgroup (compile time only)
; SGPRBlocks: 0
; VGPRBlocks: 0
; NumSGPRsForWavesPerEU: 6
; NumVGPRsForWavesPerEU: 1
; AccumOffset: 4
; Occupancy: 8
; WaveLimiterHint : 0
; COMPUTE_PGM_RSRC2:SCRATCH_EN: 0
; COMPUTE_PGM_RSRC2:USER_SGPR: 2
; COMPUTE_PGM_RSRC2:TRAP_HANDLER: 0
; COMPUTE_PGM_RSRC2:TGID_X_EN: 1
; COMPUTE_PGM_RSRC2:TGID_Y_EN: 0
; COMPUTE_PGM_RSRC2:TGID_Z_EN: 0
; COMPUTE_PGM_RSRC2:TIDIG_COMP_CNT: 0
; COMPUTE_PGM_RSRC3_GFX90A:ACCUM_OFFSET: 0
; COMPUTE_PGM_RSRC3_GFX90A:TG_SPLIT: 0
	.section	.text._ZN7rocprim17ROCPRIM_400000_NS6detail17trampoline_kernelINS0_14default_configENS1_35adjacent_difference_config_selectorILb1EfEEZNS1_24adjacent_difference_implIS3_Lb1ELb0EPfS7_N6thrust23THRUST_200600_302600_NS4plusIfEEEE10hipError_tPvRmT2_T3_mT4_P12ihipStream_tbEUlT_E_NS1_11comp_targetILNS1_3genE10ELNS1_11target_archE1201ELNS1_3gpuE5ELNS1_3repE0EEENS1_30default_config_static_selectorELNS0_4arch9wavefront6targetE1EEEvT1_,"axG",@progbits,_ZN7rocprim17ROCPRIM_400000_NS6detail17trampoline_kernelINS0_14default_configENS1_35adjacent_difference_config_selectorILb1EfEEZNS1_24adjacent_difference_implIS3_Lb1ELb0EPfS7_N6thrust23THRUST_200600_302600_NS4plusIfEEEE10hipError_tPvRmT2_T3_mT4_P12ihipStream_tbEUlT_E_NS1_11comp_targetILNS1_3genE10ELNS1_11target_archE1201ELNS1_3gpuE5ELNS1_3repE0EEENS1_30default_config_static_selectorELNS0_4arch9wavefront6targetE1EEEvT1_,comdat
	.protected	_ZN7rocprim17ROCPRIM_400000_NS6detail17trampoline_kernelINS0_14default_configENS1_35adjacent_difference_config_selectorILb1EfEEZNS1_24adjacent_difference_implIS3_Lb1ELb0EPfS7_N6thrust23THRUST_200600_302600_NS4plusIfEEEE10hipError_tPvRmT2_T3_mT4_P12ihipStream_tbEUlT_E_NS1_11comp_targetILNS1_3genE10ELNS1_11target_archE1201ELNS1_3gpuE5ELNS1_3repE0EEENS1_30default_config_static_selectorELNS0_4arch9wavefront6targetE1EEEvT1_ ; -- Begin function _ZN7rocprim17ROCPRIM_400000_NS6detail17trampoline_kernelINS0_14default_configENS1_35adjacent_difference_config_selectorILb1EfEEZNS1_24adjacent_difference_implIS3_Lb1ELb0EPfS7_N6thrust23THRUST_200600_302600_NS4plusIfEEEE10hipError_tPvRmT2_T3_mT4_P12ihipStream_tbEUlT_E_NS1_11comp_targetILNS1_3genE10ELNS1_11target_archE1201ELNS1_3gpuE5ELNS1_3repE0EEENS1_30default_config_static_selectorELNS0_4arch9wavefront6targetE1EEEvT1_
	.globl	_ZN7rocprim17ROCPRIM_400000_NS6detail17trampoline_kernelINS0_14default_configENS1_35adjacent_difference_config_selectorILb1EfEEZNS1_24adjacent_difference_implIS3_Lb1ELb0EPfS7_N6thrust23THRUST_200600_302600_NS4plusIfEEEE10hipError_tPvRmT2_T3_mT4_P12ihipStream_tbEUlT_E_NS1_11comp_targetILNS1_3genE10ELNS1_11target_archE1201ELNS1_3gpuE5ELNS1_3repE0EEENS1_30default_config_static_selectorELNS0_4arch9wavefront6targetE1EEEvT1_
	.p2align	8
	.type	_ZN7rocprim17ROCPRIM_400000_NS6detail17trampoline_kernelINS0_14default_configENS1_35adjacent_difference_config_selectorILb1EfEEZNS1_24adjacent_difference_implIS3_Lb1ELb0EPfS7_N6thrust23THRUST_200600_302600_NS4plusIfEEEE10hipError_tPvRmT2_T3_mT4_P12ihipStream_tbEUlT_E_NS1_11comp_targetILNS1_3genE10ELNS1_11target_archE1201ELNS1_3gpuE5ELNS1_3repE0EEENS1_30default_config_static_selectorELNS0_4arch9wavefront6targetE1EEEvT1_,@function
_ZN7rocprim17ROCPRIM_400000_NS6detail17trampoline_kernelINS0_14default_configENS1_35adjacent_difference_config_selectorILb1EfEEZNS1_24adjacent_difference_implIS3_Lb1ELb0EPfS7_N6thrust23THRUST_200600_302600_NS4plusIfEEEE10hipError_tPvRmT2_T3_mT4_P12ihipStream_tbEUlT_E_NS1_11comp_targetILNS1_3genE10ELNS1_11target_archE1201ELNS1_3gpuE5ELNS1_3repE0EEENS1_30default_config_static_selectorELNS0_4arch9wavefront6targetE1EEEvT1_: ; @_ZN7rocprim17ROCPRIM_400000_NS6detail17trampoline_kernelINS0_14default_configENS1_35adjacent_difference_config_selectorILb1EfEEZNS1_24adjacent_difference_implIS3_Lb1ELb0EPfS7_N6thrust23THRUST_200600_302600_NS4plusIfEEEE10hipError_tPvRmT2_T3_mT4_P12ihipStream_tbEUlT_E_NS1_11comp_targetILNS1_3genE10ELNS1_11target_archE1201ELNS1_3gpuE5ELNS1_3repE0EEENS1_30default_config_static_selectorELNS0_4arch9wavefront6targetE1EEEvT1_
; %bb.0:
	.section	.rodata,"a",@progbits
	.p2align	6, 0x0
	.amdhsa_kernel _ZN7rocprim17ROCPRIM_400000_NS6detail17trampoline_kernelINS0_14default_configENS1_35adjacent_difference_config_selectorILb1EfEEZNS1_24adjacent_difference_implIS3_Lb1ELb0EPfS7_N6thrust23THRUST_200600_302600_NS4plusIfEEEE10hipError_tPvRmT2_T3_mT4_P12ihipStream_tbEUlT_E_NS1_11comp_targetILNS1_3genE10ELNS1_11target_archE1201ELNS1_3gpuE5ELNS1_3repE0EEENS1_30default_config_static_selectorELNS0_4arch9wavefront6targetE1EEEvT1_
		.amdhsa_group_segment_fixed_size 0
		.amdhsa_private_segment_fixed_size 0
		.amdhsa_kernarg_size 56
		.amdhsa_user_sgpr_count 2
		.amdhsa_user_sgpr_dispatch_ptr 0
		.amdhsa_user_sgpr_queue_ptr 0
		.amdhsa_user_sgpr_kernarg_segment_ptr 1
		.amdhsa_user_sgpr_dispatch_id 0
		.amdhsa_user_sgpr_kernarg_preload_length 0
		.amdhsa_user_sgpr_kernarg_preload_offset 0
		.amdhsa_user_sgpr_private_segment_size 0
		.amdhsa_uses_dynamic_stack 0
		.amdhsa_enable_private_segment 0
		.amdhsa_system_sgpr_workgroup_id_x 1
		.amdhsa_system_sgpr_workgroup_id_y 0
		.amdhsa_system_sgpr_workgroup_id_z 0
		.amdhsa_system_sgpr_workgroup_info 0
		.amdhsa_system_vgpr_workitem_id 0
		.amdhsa_next_free_vgpr 1
		.amdhsa_next_free_sgpr 0
		.amdhsa_accum_offset 4
		.amdhsa_reserve_vcc 0
		.amdhsa_float_round_mode_32 0
		.amdhsa_float_round_mode_16_64 0
		.amdhsa_float_denorm_mode_32 3
		.amdhsa_float_denorm_mode_16_64 3
		.amdhsa_dx10_clamp 1
		.amdhsa_ieee_mode 1
		.amdhsa_fp16_overflow 0
		.amdhsa_tg_split 0
		.amdhsa_exception_fp_ieee_invalid_op 0
		.amdhsa_exception_fp_denorm_src 0
		.amdhsa_exception_fp_ieee_div_zero 0
		.amdhsa_exception_fp_ieee_overflow 0
		.amdhsa_exception_fp_ieee_underflow 0
		.amdhsa_exception_fp_ieee_inexact 0
		.amdhsa_exception_int_div_zero 0
	.end_amdhsa_kernel
	.section	.text._ZN7rocprim17ROCPRIM_400000_NS6detail17trampoline_kernelINS0_14default_configENS1_35adjacent_difference_config_selectorILb1EfEEZNS1_24adjacent_difference_implIS3_Lb1ELb0EPfS7_N6thrust23THRUST_200600_302600_NS4plusIfEEEE10hipError_tPvRmT2_T3_mT4_P12ihipStream_tbEUlT_E_NS1_11comp_targetILNS1_3genE10ELNS1_11target_archE1201ELNS1_3gpuE5ELNS1_3repE0EEENS1_30default_config_static_selectorELNS0_4arch9wavefront6targetE1EEEvT1_,"axG",@progbits,_ZN7rocprim17ROCPRIM_400000_NS6detail17trampoline_kernelINS0_14default_configENS1_35adjacent_difference_config_selectorILb1EfEEZNS1_24adjacent_difference_implIS3_Lb1ELb0EPfS7_N6thrust23THRUST_200600_302600_NS4plusIfEEEE10hipError_tPvRmT2_T3_mT4_P12ihipStream_tbEUlT_E_NS1_11comp_targetILNS1_3genE10ELNS1_11target_archE1201ELNS1_3gpuE5ELNS1_3repE0EEENS1_30default_config_static_selectorELNS0_4arch9wavefront6targetE1EEEvT1_,comdat
.Lfunc_end196:
	.size	_ZN7rocprim17ROCPRIM_400000_NS6detail17trampoline_kernelINS0_14default_configENS1_35adjacent_difference_config_selectorILb1EfEEZNS1_24adjacent_difference_implIS3_Lb1ELb0EPfS7_N6thrust23THRUST_200600_302600_NS4plusIfEEEE10hipError_tPvRmT2_T3_mT4_P12ihipStream_tbEUlT_E_NS1_11comp_targetILNS1_3genE10ELNS1_11target_archE1201ELNS1_3gpuE5ELNS1_3repE0EEENS1_30default_config_static_selectorELNS0_4arch9wavefront6targetE1EEEvT1_, .Lfunc_end196-_ZN7rocprim17ROCPRIM_400000_NS6detail17trampoline_kernelINS0_14default_configENS1_35adjacent_difference_config_selectorILb1EfEEZNS1_24adjacent_difference_implIS3_Lb1ELb0EPfS7_N6thrust23THRUST_200600_302600_NS4plusIfEEEE10hipError_tPvRmT2_T3_mT4_P12ihipStream_tbEUlT_E_NS1_11comp_targetILNS1_3genE10ELNS1_11target_archE1201ELNS1_3gpuE5ELNS1_3repE0EEENS1_30default_config_static_selectorELNS0_4arch9wavefront6targetE1EEEvT1_
                                        ; -- End function
	.section	.AMDGPU.csdata,"",@progbits
; Kernel info:
; codeLenInByte = 0
; NumSgprs: 6
; NumVgprs: 0
; NumAgprs: 0
; TotalNumVgprs: 0
; ScratchSize: 0
; MemoryBound: 0
; FloatMode: 240
; IeeeMode: 1
; LDSByteSize: 0 bytes/workgroup (compile time only)
; SGPRBlocks: 0
; VGPRBlocks: 0
; NumSGPRsForWavesPerEU: 6
; NumVGPRsForWavesPerEU: 1
; AccumOffset: 4
; Occupancy: 8
; WaveLimiterHint : 0
; COMPUTE_PGM_RSRC2:SCRATCH_EN: 0
; COMPUTE_PGM_RSRC2:USER_SGPR: 2
; COMPUTE_PGM_RSRC2:TRAP_HANDLER: 0
; COMPUTE_PGM_RSRC2:TGID_X_EN: 1
; COMPUTE_PGM_RSRC2:TGID_Y_EN: 0
; COMPUTE_PGM_RSRC2:TGID_Z_EN: 0
; COMPUTE_PGM_RSRC2:TIDIG_COMP_CNT: 0
; COMPUTE_PGM_RSRC3_GFX90A:ACCUM_OFFSET: 0
; COMPUTE_PGM_RSRC3_GFX90A:TG_SPLIT: 0
	.section	.text._ZN7rocprim17ROCPRIM_400000_NS6detail17trampoline_kernelINS0_14default_configENS1_35adjacent_difference_config_selectorILb1EfEEZNS1_24adjacent_difference_implIS3_Lb1ELb0EPfS7_N6thrust23THRUST_200600_302600_NS4plusIfEEEE10hipError_tPvRmT2_T3_mT4_P12ihipStream_tbEUlT_E_NS1_11comp_targetILNS1_3genE5ELNS1_11target_archE942ELNS1_3gpuE9ELNS1_3repE0EEENS1_30default_config_static_selectorELNS0_4arch9wavefront6targetE1EEEvT1_,"axG",@progbits,_ZN7rocprim17ROCPRIM_400000_NS6detail17trampoline_kernelINS0_14default_configENS1_35adjacent_difference_config_selectorILb1EfEEZNS1_24adjacent_difference_implIS3_Lb1ELb0EPfS7_N6thrust23THRUST_200600_302600_NS4plusIfEEEE10hipError_tPvRmT2_T3_mT4_P12ihipStream_tbEUlT_E_NS1_11comp_targetILNS1_3genE5ELNS1_11target_archE942ELNS1_3gpuE9ELNS1_3repE0EEENS1_30default_config_static_selectorELNS0_4arch9wavefront6targetE1EEEvT1_,comdat
	.protected	_ZN7rocprim17ROCPRIM_400000_NS6detail17trampoline_kernelINS0_14default_configENS1_35adjacent_difference_config_selectorILb1EfEEZNS1_24adjacent_difference_implIS3_Lb1ELb0EPfS7_N6thrust23THRUST_200600_302600_NS4plusIfEEEE10hipError_tPvRmT2_T3_mT4_P12ihipStream_tbEUlT_E_NS1_11comp_targetILNS1_3genE5ELNS1_11target_archE942ELNS1_3gpuE9ELNS1_3repE0EEENS1_30default_config_static_selectorELNS0_4arch9wavefront6targetE1EEEvT1_ ; -- Begin function _ZN7rocprim17ROCPRIM_400000_NS6detail17trampoline_kernelINS0_14default_configENS1_35adjacent_difference_config_selectorILb1EfEEZNS1_24adjacent_difference_implIS3_Lb1ELb0EPfS7_N6thrust23THRUST_200600_302600_NS4plusIfEEEE10hipError_tPvRmT2_T3_mT4_P12ihipStream_tbEUlT_E_NS1_11comp_targetILNS1_3genE5ELNS1_11target_archE942ELNS1_3gpuE9ELNS1_3repE0EEENS1_30default_config_static_selectorELNS0_4arch9wavefront6targetE1EEEvT1_
	.globl	_ZN7rocprim17ROCPRIM_400000_NS6detail17trampoline_kernelINS0_14default_configENS1_35adjacent_difference_config_selectorILb1EfEEZNS1_24adjacent_difference_implIS3_Lb1ELb0EPfS7_N6thrust23THRUST_200600_302600_NS4plusIfEEEE10hipError_tPvRmT2_T3_mT4_P12ihipStream_tbEUlT_E_NS1_11comp_targetILNS1_3genE5ELNS1_11target_archE942ELNS1_3gpuE9ELNS1_3repE0EEENS1_30default_config_static_selectorELNS0_4arch9wavefront6targetE1EEEvT1_
	.p2align	8
	.type	_ZN7rocprim17ROCPRIM_400000_NS6detail17trampoline_kernelINS0_14default_configENS1_35adjacent_difference_config_selectorILb1EfEEZNS1_24adjacent_difference_implIS3_Lb1ELb0EPfS7_N6thrust23THRUST_200600_302600_NS4plusIfEEEE10hipError_tPvRmT2_T3_mT4_P12ihipStream_tbEUlT_E_NS1_11comp_targetILNS1_3genE5ELNS1_11target_archE942ELNS1_3gpuE9ELNS1_3repE0EEENS1_30default_config_static_selectorELNS0_4arch9wavefront6targetE1EEEvT1_,@function
_ZN7rocprim17ROCPRIM_400000_NS6detail17trampoline_kernelINS0_14default_configENS1_35adjacent_difference_config_selectorILb1EfEEZNS1_24adjacent_difference_implIS3_Lb1ELb0EPfS7_N6thrust23THRUST_200600_302600_NS4plusIfEEEE10hipError_tPvRmT2_T3_mT4_P12ihipStream_tbEUlT_E_NS1_11comp_targetILNS1_3genE5ELNS1_11target_archE942ELNS1_3gpuE9ELNS1_3repE0EEENS1_30default_config_static_selectorELNS0_4arch9wavefront6targetE1EEEvT1_: ; @_ZN7rocprim17ROCPRIM_400000_NS6detail17trampoline_kernelINS0_14default_configENS1_35adjacent_difference_config_selectorILb1EfEEZNS1_24adjacent_difference_implIS3_Lb1ELb0EPfS7_N6thrust23THRUST_200600_302600_NS4plusIfEEEE10hipError_tPvRmT2_T3_mT4_P12ihipStream_tbEUlT_E_NS1_11comp_targetILNS1_3genE5ELNS1_11target_archE942ELNS1_3gpuE9ELNS1_3repE0EEENS1_30default_config_static_selectorELNS0_4arch9wavefront6targetE1EEEvT1_
; %bb.0:
	s_load_dwordx8 s[4:11], s[0:1], 0x0
	s_load_dwordx4 s[12:15], s[0:1], 0x28
	s_mov_b32 s0, 0x55500000
	v_mov_b32_e32 v1, 0x55555000
	s_movk_i32 s17, 0x300
	s_waitcnt lgkmcnt(0)
	s_lshl_b64 s[18:19], s[6:7], 2
	s_add_u32 s26, s4, s18
	s_addc_u32 s27, s5, s19
	s_add_u32 s0, 0x55555, s0
	s_addc_u32 s0, 0, 0x555
	;; [unrolled: 2-line block ×3, first 2 shown]
	v_add_co_u32_e32 v1, vcc, s0, v1
	s_cmp_lg_u64 vcc, 0
	s_addc_u32 s0, s1, 0x555555
	v_readfirstlane_b32 s5, v1
	s_mul_i32 s4, s10, s0
	s_mul_hi_u32 s6, s10, s5
	s_mul_hi_u32 s1, s10, s0
	s_add_u32 s4, s6, s4
	s_addc_u32 s1, 0, s1
	s_mul_hi_u32 s7, s11, s5
	s_mul_i32 s5, s11, s5
	s_add_u32 s4, s4, s5
	s_mul_hi_u32 s6, s11, s0
	s_addc_u32 s1, s1, s7
	s_addc_u32 s4, s6, 0
	s_mul_i32 s0, s11, s0
	s_add_u32 s0, s1, s0
	s_addc_u32 s1, 0, s4
	s_add_u32 s4, s0, 1
	s_addc_u32 s5, s1, 0
	s_add_u32 s6, s0, 2
	s_mul_i32 s20, s1, 0x300
	s_mul_hi_u32 s21, s0, 0x300
	s_addc_u32 s7, s1, 0
	s_add_i32 s21, s21, s20
	s_mul_i32 s20, s0, 0x300
	v_mov_b32_e32 v1, s20
	v_sub_co_u32_e32 v1, vcc, s10, v1
	s_cmp_lg_u64 vcc, 0
	s_subb_u32 s20, s11, s21
	v_subrev_co_u32_e32 v2, vcc, s17, v1
	s_cmp_lg_u64 vcc, 0
	s_subb_u32 s17, s20, 0
	v_readfirstlane_b32 s21, v2
	s_cmpk_gt_u32 s21, 0x2ff
	s_cselect_b32 s21, -1, 0
	s_cmp_eq_u32 s17, 0
	s_cselect_b32 s17, s21, -1
	s_cmp_lg_u32 s17, 0
	s_cselect_b32 s4, s6, s4
	v_readfirstlane_b32 s6, v1
	s_cselect_b32 s5, s7, s5
	s_cmpk_gt_u32 s6, 0x2ff
	s_cselect_b32 s6, -1, 0
	s_cmp_eq_u32 s20, 0
	s_cselect_b32 s6, s6, -1
	s_cmp_lg_u32 s6, 0
	s_cselect_b32 s5, s5, s1
	s_cselect_b32 s4, s4, s0
	s_mul_i32 s0, s5, 0x300
	s_mul_hi_u32 s1, s4, 0x300
	s_add_i32 s1, s1, s0
	s_mul_i32 s0, s4, 0x300
	s_sub_u32 s0, s10, s0
	s_subb_u32 s1, s11, s1
	s_cmp_lg_u64 s[0:1], 0
	s_cselect_b64 s[0:1], -1, 0
	v_cndmask_b32_e64 v1, 0, 1, s[0:1]
	s_mul_i32 s16, s2, 0x300
	v_readfirstlane_b32 s0, v1
	s_add_u32 s4, s4, s0
	s_addc_u32 s5, s5, 0
	s_add_u32 s6, s14, s2
	s_addc_u32 s7, s15, 0
	s_add_u32 s20, s4, -1
	s_addc_u32 s21, s5, -1
	v_mov_b64_e32 v[2:3], s[20:21]
	v_cmp_ge_u64_e64 s[0:1], s[6:7], v[2:3]
	s_mov_b32 s3, 0
	s_mov_b64 s[22:23], -1
	s_and_b64 vcc, exec, s[0:1]
	s_mul_i32 s11, s20, 0xfffffd00
	s_cbranch_vccz .LBB197_8
; %bb.1:
	s_mov_b32 s17, s3
	s_add_i32 s28, s11, s10
	s_lshl_b64 s[22:23], s[16:17], 2
	s_add_u32 s22, s26, s22
	s_addc_u32 s23, s27, s23
	v_cmp_gt_u32_e32 vcc, s28, v0
                                        ; implicit-def: $vgpr2_vgpr3_vgpr4
	s_and_saveexec_b64 s[24:25], vcc
	s_cbranch_execz .LBB197_3
; %bb.2:
	v_lshlrev_b32_e32 v1, 2, v0
	global_load_dword v2, v1, s[22:23]
.LBB197_3:
	s_or_b64 exec, exec, s[24:25]
	v_or_b32_e32 v1, 0x100, v0
	v_cmp_gt_u32_e32 vcc, s28, v1
	s_and_saveexec_b64 s[24:25], vcc
	s_cbranch_execz .LBB197_5
; %bb.4:
	v_lshlrev_b32_e32 v1, 2, v0
	global_load_dword v3, v1, s[22:23] offset:1024
.LBB197_5:
	s_or_b64 exec, exec, s[24:25]
	v_or_b32_e32 v1, 0x200, v0
	v_cmp_gt_u32_e32 vcc, s28, v1
	s_and_saveexec_b64 s[24:25], vcc
	s_cbranch_execz .LBB197_7
; %bb.6:
	v_lshlrev_b32_e32 v1, 2, v0
	global_load_dword v4, v1, s[22:23] offset:2048
.LBB197_7:
	s_or_b64 exec, exec, s[24:25]
	v_lshlrev_b32_e32 v1, 2, v0
	s_mov_b64 s[22:23], 0
	s_waitcnt vmcnt(0)
	ds_write2st64_b32 v1, v2, v3 offset1:4
	ds_write_b32 v1, v4 offset:2048
	s_waitcnt lgkmcnt(0)
	s_barrier
.LBB197_8:
	s_and_b64 vcc, exec, s[22:23]
	v_lshlrev_b32_e32 v2, 2, v0
	s_cbranch_vccz .LBB197_10
; %bb.9:
	s_mov_b32 s17, 0
	s_lshl_b64 s[22:23], s[16:17], 2
	s_add_u32 s22, s26, s22
	s_addc_u32 s23, s27, s23
	global_load_dword v1, v2, s[22:23]
	global_load_dword v3, v2, s[22:23] offset:1024
	global_load_dword v4, v2, s[22:23] offset:2048
	s_waitcnt vmcnt(1)
	ds_write2st64_b32 v2, v1, v3 offset1:4
	s_waitcnt vmcnt(0)
	ds_write_b32 v2, v4 offset:2048
	s_waitcnt lgkmcnt(0)
	s_barrier
.LBB197_10:
	v_mul_u32_u24_e32 v1, 3, v0
	v_lshlrev_b32_e32 v1, 2, v1
	ds_read2_b32 v[4:5], v1 offset1:1
	ds_read_b32 v7, v1 offset:8
	s_cmp_eq_u64 s[6:7], 0
	s_waitcnt lgkmcnt(0)
	s_barrier
	s_cbranch_scc1 .LBB197_15
; %bb.11:
	s_lshl_b64 s[14:15], s[14:15], 2
	s_add_u32 s12, s12, s14
	s_addc_u32 s13, s13, s15
	s_lshl_b64 s[2:3], s[2:3], 2
	s_add_u32 s2, s12, s2
	s_addc_u32 s3, s13, s3
	s_add_u32 s2, s2, -4
	s_addc_u32 s3, s3, -1
	s_load_dword s12, s[2:3], 0x0
	s_cmp_eq_u64 s[6:7], s[20:21]
	s_cbranch_scc1 .LBB197_16
; %bb.12:
	v_cmp_ne_u32_e32 vcc, 0, v0
	s_waitcnt lgkmcnt(0)
	v_mov_b32_e32 v1, s12
	ds_write_b32 v2, v7
	s_waitcnt lgkmcnt(0)
	s_barrier
	s_and_saveexec_b64 s[2:3], vcc
	s_cbranch_execz .LBB197_14
; %bb.13:
	v_add_u32_e32 v1, -4, v2
	ds_read_b32 v1, v1
.LBB197_14:
	s_or_b64 exec, exec, s[2:3]
	v_mov_b32_e32 v6, v4
	v_pk_add_f32 v[8:9], v[4:5], v[6:7] op_sel:[1,0]
	s_waitcnt lgkmcnt(0)
	v_add_f32_e32 v1, v4, v1
	s_branch .LBB197_20
.LBB197_15:
                                        ; implicit-def: $vgpr9
                                        ; implicit-def: $vgpr1
	s_branch .LBB197_21
.LBB197_16:
                                        ; implicit-def: $vgpr9
                                        ; implicit-def: $vgpr1
	s_cbranch_execz .LBB197_20
; %bb.17:
	v_mul_u32_u24_e32 v1, 3, v0
	v_cmp_ne_u32_e32 vcc, 0, v0
	s_waitcnt lgkmcnt(0)
	v_mov_b32_e32 v3, s12
	ds_write_b32 v2, v7
	s_waitcnt lgkmcnt(0)
	s_barrier
	s_and_saveexec_b64 s[2:3], vcc
	s_cbranch_execz .LBB197_19
; %bb.18:
	v_add_u32_e32 v3, -4, v2
	ds_read_b32 v3, v3
.LBB197_19:
	s_or_b64 exec, exec, s[2:3]
	s_mul_i32 s2, s6, 0xfffffd00
	s_add_i32 s2, s2, s10
	v_add_u32_e32 v6, 2, v1
	v_add_f32_e32 v8, v5, v7
	v_cmp_gt_u32_e32 vcc, s2, v6
	v_add_u32_e32 v6, 1, v1
	v_mov_b32_e32 v11, v4
	v_cndmask_b32_e32 v9, v7, v8, vcc
	v_pk_add_f32 v[10:11], v[10:11], v[4:5]
	v_cmp_gt_u32_e32 vcc, s2, v6
	s_waitcnt lgkmcnt(0)
	v_add_f32_e32 v3, v4, v3
	v_cndmask_b32_e32 v8, v5, v11, vcc
	v_cmp_gt_u32_e32 vcc, s2, v1
	s_nop 1
	v_cndmask_b32_e32 v1, v4, v3, vcc
.LBB197_20:
	s_cbranch_execnz .LBB197_29
.LBB197_21:
	s_cmp_eq_u64 s[4:5], 1
	v_cmp_ne_u32_e32 vcc, 0, v0
	s_cbranch_scc1 .LBB197_25
; %bb.22:
	v_mov_b32_e32 v6, v5
	v_pk_add_f32 v[8:9], v[4:5], v[6:7]
	v_mov_b32_e32 v1, v4
	ds_write_b32 v2, v7
	s_waitcnt lgkmcnt(0)
	s_barrier
	s_and_saveexec_b64 s[2:3], vcc
	s_cbranch_execz .LBB197_24
; %bb.23:
	v_add_u32_e32 v1, -4, v2
	ds_read_b32 v1, v1
	s_waitcnt lgkmcnt(0)
	v_add_f32_e32 v1, v4, v1
.LBB197_24:
	s_or_b64 exec, exec, s[2:3]
	s_cbranch_execz .LBB197_26
	s_branch .LBB197_29
.LBB197_25:
                                        ; implicit-def: $vgpr9
                                        ; implicit-def: $vgpr1
.LBB197_26:
	v_mul_u32_u24_e32 v6, 3, v0
	v_mad_u32_u24 v3, v0, 3, 1
	v_mad_u32_u24 v1, v0, 3, 2
	v_cmp_gt_u32_e64 s[2:3], s10, v3
	v_mov_b32_e32 v3, v4
	v_cmp_ne_u32_e64 s[4:5], 0, v0
	v_cmp_gt_u32_e64 s[6:7], s10, v6
	v_cmp_gt_u32_e32 vcc, s10, v1
	v_add_f32_e32 v1, v5, v7
	v_pk_add_f32 v[10:11], v[2:3], v[4:5]
	s_and_b64 s[6:7], s[4:5], s[6:7]
	ds_write_b32 v2, v7
	s_waitcnt lgkmcnt(0)
	s_barrier
	s_and_saveexec_b64 s[4:5], s[6:7]
	s_cbranch_execz .LBB197_28
; %bb.27:
	v_add_u32_e32 v3, -4, v2
	ds_read_b32 v3, v3
	s_waitcnt lgkmcnt(0)
	v_add_f32_e32 v4, v4, v3
.LBB197_28:
	s_or_b64 exec, exec, s[4:5]
	v_cndmask_b32_e32 v9, v7, v1, vcc
	v_cndmask_b32_e64 v8, v5, v11, s[2:3]
	v_mov_b32_e32 v1, v4
.LBB197_29:
	s_add_u32 s5, s8, s18
	s_addc_u32 s4, s9, s19
	s_and_b64 vcc, exec, s[0:1]
	v_mul_u32_u24_e32 v10, 12, v0
	v_lshlrev_b32_e32 v11, 3, v0
	s_waitcnt lgkmcnt(0)
	s_barrier
	s_cbranch_vccz .LBB197_35
; %bb.30:
	v_sub_u32_e32 v3, v10, v11
	s_mov_b32 s17, 0
	ds_write2_b32 v10, v1, v8 offset1:1
	ds_write_b32 v10, v9 offset:8
	s_waitcnt lgkmcnt(0)
	s_barrier
	ds_read2st64_b32 v[4:5], v3 offset0:4 offset1:8
	s_add_i32 s11, s11, s10
	s_lshl_b64 s[0:1], s[16:17], 2
	s_add_u32 s0, s5, s0
	s_addc_u32 s1, s4, s1
	v_mov_b32_e32 v3, 0
	v_lshl_add_u64 v[6:7], s[0:1], 0, v[2:3]
	v_cmp_gt_u32_e32 vcc, s11, v0
	s_and_saveexec_b64 s[0:1], vcc
	s_cbranch_execz .LBB197_32
; %bb.31:
	v_sub_u32_e32 v3, 0, v11
	v_add_u32_e32 v3, v10, v3
	ds_read_b32 v3, v3
	s_waitcnt lgkmcnt(0)
	global_store_dword v[6:7], v3, off
.LBB197_32:
	s_or_b64 exec, exec, s[0:1]
	v_or_b32_e32 v3, 0x100, v0
	v_cmp_gt_u32_e32 vcc, s11, v3
	s_and_saveexec_b64 s[0:1], vcc
	s_cbranch_execz .LBB197_34
; %bb.33:
	s_waitcnt lgkmcnt(0)
	global_store_dword v[6:7], v4, off offset:1024
.LBB197_34:
	s_or_b64 exec, exec, s[0:1]
	v_or_b32_e32 v0, 0x200, v0
	v_cmp_gt_u32_e64 s[0:1], s11, v0
	s_branch .LBB197_37
.LBB197_35:
	s_mov_b64 s[0:1], 0
                                        ; implicit-def: $vgpr5
                                        ; implicit-def: $vgpr6_vgpr7
	s_cbranch_execz .LBB197_37
; %bb.36:
	v_sub_u32_e32 v3, v10, v11
	s_mov_b32 s17, 0
	ds_write2_b32 v10, v1, v8 offset1:1
	ds_write_b32 v10, v9 offset:8
	s_waitcnt lgkmcnt(0)
	s_barrier
	ds_read2st64_b32 v[0:1], v3 offset1:4
	ds_read_b32 v5, v3 offset:2048
	s_lshl_b64 s[2:3], s[16:17], 2
	s_add_u32 s2, s5, s2
	s_addc_u32 s3, s4, s3
	v_mov_b32_e32 v3, 0
	v_lshl_add_u64 v[6:7], s[2:3], 0, v[2:3]
	s_or_b64 s[0:1], s[0:1], exec
	s_waitcnt lgkmcnt(1)
	global_store_dword v2, v0, s[2:3]
	global_store_dword v2, v1, s[2:3] offset:1024
.LBB197_37:
	s_and_saveexec_b64 s[2:3], s[0:1]
	s_cbranch_execnz .LBB197_39
; %bb.38:
	s_endpgm
.LBB197_39:
	s_waitcnt lgkmcnt(0)
	global_store_dword v[6:7], v5, off offset:2048
	s_endpgm
	.section	.rodata,"a",@progbits
	.p2align	6, 0x0
	.amdhsa_kernel _ZN7rocprim17ROCPRIM_400000_NS6detail17trampoline_kernelINS0_14default_configENS1_35adjacent_difference_config_selectorILb1EfEEZNS1_24adjacent_difference_implIS3_Lb1ELb0EPfS7_N6thrust23THRUST_200600_302600_NS4plusIfEEEE10hipError_tPvRmT2_T3_mT4_P12ihipStream_tbEUlT_E_NS1_11comp_targetILNS1_3genE5ELNS1_11target_archE942ELNS1_3gpuE9ELNS1_3repE0EEENS1_30default_config_static_selectorELNS0_4arch9wavefront6targetE1EEEvT1_
		.amdhsa_group_segment_fixed_size 3072
		.amdhsa_private_segment_fixed_size 0
		.amdhsa_kernarg_size 56
		.amdhsa_user_sgpr_count 2
		.amdhsa_user_sgpr_dispatch_ptr 0
		.amdhsa_user_sgpr_queue_ptr 0
		.amdhsa_user_sgpr_kernarg_segment_ptr 1
		.amdhsa_user_sgpr_dispatch_id 0
		.amdhsa_user_sgpr_kernarg_preload_length 0
		.amdhsa_user_sgpr_kernarg_preload_offset 0
		.amdhsa_user_sgpr_private_segment_size 0
		.amdhsa_uses_dynamic_stack 0
		.amdhsa_enable_private_segment 0
		.amdhsa_system_sgpr_workgroup_id_x 1
		.amdhsa_system_sgpr_workgroup_id_y 0
		.amdhsa_system_sgpr_workgroup_id_z 0
		.amdhsa_system_sgpr_workgroup_info 0
		.amdhsa_system_vgpr_workitem_id 0
		.amdhsa_next_free_vgpr 12
		.amdhsa_next_free_sgpr 29
		.amdhsa_accum_offset 12
		.amdhsa_reserve_vcc 1
		.amdhsa_float_round_mode_32 0
		.amdhsa_float_round_mode_16_64 0
		.amdhsa_float_denorm_mode_32 3
		.amdhsa_float_denorm_mode_16_64 3
		.amdhsa_dx10_clamp 1
		.amdhsa_ieee_mode 1
		.amdhsa_fp16_overflow 0
		.amdhsa_tg_split 0
		.amdhsa_exception_fp_ieee_invalid_op 0
		.amdhsa_exception_fp_denorm_src 0
		.amdhsa_exception_fp_ieee_div_zero 0
		.amdhsa_exception_fp_ieee_overflow 0
		.amdhsa_exception_fp_ieee_underflow 0
		.amdhsa_exception_fp_ieee_inexact 0
		.amdhsa_exception_int_div_zero 0
	.end_amdhsa_kernel
	.section	.text._ZN7rocprim17ROCPRIM_400000_NS6detail17trampoline_kernelINS0_14default_configENS1_35adjacent_difference_config_selectorILb1EfEEZNS1_24adjacent_difference_implIS3_Lb1ELb0EPfS7_N6thrust23THRUST_200600_302600_NS4plusIfEEEE10hipError_tPvRmT2_T3_mT4_P12ihipStream_tbEUlT_E_NS1_11comp_targetILNS1_3genE5ELNS1_11target_archE942ELNS1_3gpuE9ELNS1_3repE0EEENS1_30default_config_static_selectorELNS0_4arch9wavefront6targetE1EEEvT1_,"axG",@progbits,_ZN7rocprim17ROCPRIM_400000_NS6detail17trampoline_kernelINS0_14default_configENS1_35adjacent_difference_config_selectorILb1EfEEZNS1_24adjacent_difference_implIS3_Lb1ELb0EPfS7_N6thrust23THRUST_200600_302600_NS4plusIfEEEE10hipError_tPvRmT2_T3_mT4_P12ihipStream_tbEUlT_E_NS1_11comp_targetILNS1_3genE5ELNS1_11target_archE942ELNS1_3gpuE9ELNS1_3repE0EEENS1_30default_config_static_selectorELNS0_4arch9wavefront6targetE1EEEvT1_,comdat
.Lfunc_end197:
	.size	_ZN7rocprim17ROCPRIM_400000_NS6detail17trampoline_kernelINS0_14default_configENS1_35adjacent_difference_config_selectorILb1EfEEZNS1_24adjacent_difference_implIS3_Lb1ELb0EPfS7_N6thrust23THRUST_200600_302600_NS4plusIfEEEE10hipError_tPvRmT2_T3_mT4_P12ihipStream_tbEUlT_E_NS1_11comp_targetILNS1_3genE5ELNS1_11target_archE942ELNS1_3gpuE9ELNS1_3repE0EEENS1_30default_config_static_selectorELNS0_4arch9wavefront6targetE1EEEvT1_, .Lfunc_end197-_ZN7rocprim17ROCPRIM_400000_NS6detail17trampoline_kernelINS0_14default_configENS1_35adjacent_difference_config_selectorILb1EfEEZNS1_24adjacent_difference_implIS3_Lb1ELb0EPfS7_N6thrust23THRUST_200600_302600_NS4plusIfEEEE10hipError_tPvRmT2_T3_mT4_P12ihipStream_tbEUlT_E_NS1_11comp_targetILNS1_3genE5ELNS1_11target_archE942ELNS1_3gpuE9ELNS1_3repE0EEENS1_30default_config_static_selectorELNS0_4arch9wavefront6targetE1EEEvT1_
                                        ; -- End function
	.section	.AMDGPU.csdata,"",@progbits
; Kernel info:
; codeLenInByte = 1504
; NumSgprs: 35
; NumVgprs: 12
; NumAgprs: 0
; TotalNumVgprs: 12
; ScratchSize: 0
; MemoryBound: 0
; FloatMode: 240
; IeeeMode: 1
; LDSByteSize: 3072 bytes/workgroup (compile time only)
; SGPRBlocks: 4
; VGPRBlocks: 1
; NumSGPRsForWavesPerEU: 35
; NumVGPRsForWavesPerEU: 12
; AccumOffset: 12
; Occupancy: 8
; WaveLimiterHint : 1
; COMPUTE_PGM_RSRC2:SCRATCH_EN: 0
; COMPUTE_PGM_RSRC2:USER_SGPR: 2
; COMPUTE_PGM_RSRC2:TRAP_HANDLER: 0
; COMPUTE_PGM_RSRC2:TGID_X_EN: 1
; COMPUTE_PGM_RSRC2:TGID_Y_EN: 0
; COMPUTE_PGM_RSRC2:TGID_Z_EN: 0
; COMPUTE_PGM_RSRC2:TIDIG_COMP_CNT: 0
; COMPUTE_PGM_RSRC3_GFX90A:ACCUM_OFFSET: 2
; COMPUTE_PGM_RSRC3_GFX90A:TG_SPLIT: 0
	.section	.text._ZN7rocprim17ROCPRIM_400000_NS6detail17trampoline_kernelINS0_14default_configENS1_35adjacent_difference_config_selectorILb1EfEEZNS1_24adjacent_difference_implIS3_Lb1ELb0EPfS7_N6thrust23THRUST_200600_302600_NS4plusIfEEEE10hipError_tPvRmT2_T3_mT4_P12ihipStream_tbEUlT_E_NS1_11comp_targetILNS1_3genE4ELNS1_11target_archE910ELNS1_3gpuE8ELNS1_3repE0EEENS1_30default_config_static_selectorELNS0_4arch9wavefront6targetE1EEEvT1_,"axG",@progbits,_ZN7rocprim17ROCPRIM_400000_NS6detail17trampoline_kernelINS0_14default_configENS1_35adjacent_difference_config_selectorILb1EfEEZNS1_24adjacent_difference_implIS3_Lb1ELb0EPfS7_N6thrust23THRUST_200600_302600_NS4plusIfEEEE10hipError_tPvRmT2_T3_mT4_P12ihipStream_tbEUlT_E_NS1_11comp_targetILNS1_3genE4ELNS1_11target_archE910ELNS1_3gpuE8ELNS1_3repE0EEENS1_30default_config_static_selectorELNS0_4arch9wavefront6targetE1EEEvT1_,comdat
	.protected	_ZN7rocprim17ROCPRIM_400000_NS6detail17trampoline_kernelINS0_14default_configENS1_35adjacent_difference_config_selectorILb1EfEEZNS1_24adjacent_difference_implIS3_Lb1ELb0EPfS7_N6thrust23THRUST_200600_302600_NS4plusIfEEEE10hipError_tPvRmT2_T3_mT4_P12ihipStream_tbEUlT_E_NS1_11comp_targetILNS1_3genE4ELNS1_11target_archE910ELNS1_3gpuE8ELNS1_3repE0EEENS1_30default_config_static_selectorELNS0_4arch9wavefront6targetE1EEEvT1_ ; -- Begin function _ZN7rocprim17ROCPRIM_400000_NS6detail17trampoline_kernelINS0_14default_configENS1_35adjacent_difference_config_selectorILb1EfEEZNS1_24adjacent_difference_implIS3_Lb1ELb0EPfS7_N6thrust23THRUST_200600_302600_NS4plusIfEEEE10hipError_tPvRmT2_T3_mT4_P12ihipStream_tbEUlT_E_NS1_11comp_targetILNS1_3genE4ELNS1_11target_archE910ELNS1_3gpuE8ELNS1_3repE0EEENS1_30default_config_static_selectorELNS0_4arch9wavefront6targetE1EEEvT1_
	.globl	_ZN7rocprim17ROCPRIM_400000_NS6detail17trampoline_kernelINS0_14default_configENS1_35adjacent_difference_config_selectorILb1EfEEZNS1_24adjacent_difference_implIS3_Lb1ELb0EPfS7_N6thrust23THRUST_200600_302600_NS4plusIfEEEE10hipError_tPvRmT2_T3_mT4_P12ihipStream_tbEUlT_E_NS1_11comp_targetILNS1_3genE4ELNS1_11target_archE910ELNS1_3gpuE8ELNS1_3repE0EEENS1_30default_config_static_selectorELNS0_4arch9wavefront6targetE1EEEvT1_
	.p2align	8
	.type	_ZN7rocprim17ROCPRIM_400000_NS6detail17trampoline_kernelINS0_14default_configENS1_35adjacent_difference_config_selectorILb1EfEEZNS1_24adjacent_difference_implIS3_Lb1ELb0EPfS7_N6thrust23THRUST_200600_302600_NS4plusIfEEEE10hipError_tPvRmT2_T3_mT4_P12ihipStream_tbEUlT_E_NS1_11comp_targetILNS1_3genE4ELNS1_11target_archE910ELNS1_3gpuE8ELNS1_3repE0EEENS1_30default_config_static_selectorELNS0_4arch9wavefront6targetE1EEEvT1_,@function
_ZN7rocprim17ROCPRIM_400000_NS6detail17trampoline_kernelINS0_14default_configENS1_35adjacent_difference_config_selectorILb1EfEEZNS1_24adjacent_difference_implIS3_Lb1ELb0EPfS7_N6thrust23THRUST_200600_302600_NS4plusIfEEEE10hipError_tPvRmT2_T3_mT4_P12ihipStream_tbEUlT_E_NS1_11comp_targetILNS1_3genE4ELNS1_11target_archE910ELNS1_3gpuE8ELNS1_3repE0EEENS1_30default_config_static_selectorELNS0_4arch9wavefront6targetE1EEEvT1_: ; @_ZN7rocprim17ROCPRIM_400000_NS6detail17trampoline_kernelINS0_14default_configENS1_35adjacent_difference_config_selectorILb1EfEEZNS1_24adjacent_difference_implIS3_Lb1ELb0EPfS7_N6thrust23THRUST_200600_302600_NS4plusIfEEEE10hipError_tPvRmT2_T3_mT4_P12ihipStream_tbEUlT_E_NS1_11comp_targetILNS1_3genE4ELNS1_11target_archE910ELNS1_3gpuE8ELNS1_3repE0EEENS1_30default_config_static_selectorELNS0_4arch9wavefront6targetE1EEEvT1_
; %bb.0:
	.section	.rodata,"a",@progbits
	.p2align	6, 0x0
	.amdhsa_kernel _ZN7rocprim17ROCPRIM_400000_NS6detail17trampoline_kernelINS0_14default_configENS1_35adjacent_difference_config_selectorILb1EfEEZNS1_24adjacent_difference_implIS3_Lb1ELb0EPfS7_N6thrust23THRUST_200600_302600_NS4plusIfEEEE10hipError_tPvRmT2_T3_mT4_P12ihipStream_tbEUlT_E_NS1_11comp_targetILNS1_3genE4ELNS1_11target_archE910ELNS1_3gpuE8ELNS1_3repE0EEENS1_30default_config_static_selectorELNS0_4arch9wavefront6targetE1EEEvT1_
		.amdhsa_group_segment_fixed_size 0
		.amdhsa_private_segment_fixed_size 0
		.amdhsa_kernarg_size 56
		.amdhsa_user_sgpr_count 2
		.amdhsa_user_sgpr_dispatch_ptr 0
		.amdhsa_user_sgpr_queue_ptr 0
		.amdhsa_user_sgpr_kernarg_segment_ptr 1
		.amdhsa_user_sgpr_dispatch_id 0
		.amdhsa_user_sgpr_kernarg_preload_length 0
		.amdhsa_user_sgpr_kernarg_preload_offset 0
		.amdhsa_user_sgpr_private_segment_size 0
		.amdhsa_uses_dynamic_stack 0
		.amdhsa_enable_private_segment 0
		.amdhsa_system_sgpr_workgroup_id_x 1
		.amdhsa_system_sgpr_workgroup_id_y 0
		.amdhsa_system_sgpr_workgroup_id_z 0
		.amdhsa_system_sgpr_workgroup_info 0
		.amdhsa_system_vgpr_workitem_id 0
		.amdhsa_next_free_vgpr 1
		.amdhsa_next_free_sgpr 0
		.amdhsa_accum_offset 4
		.amdhsa_reserve_vcc 0
		.amdhsa_float_round_mode_32 0
		.amdhsa_float_round_mode_16_64 0
		.amdhsa_float_denorm_mode_32 3
		.amdhsa_float_denorm_mode_16_64 3
		.amdhsa_dx10_clamp 1
		.amdhsa_ieee_mode 1
		.amdhsa_fp16_overflow 0
		.amdhsa_tg_split 0
		.amdhsa_exception_fp_ieee_invalid_op 0
		.amdhsa_exception_fp_denorm_src 0
		.amdhsa_exception_fp_ieee_div_zero 0
		.amdhsa_exception_fp_ieee_overflow 0
		.amdhsa_exception_fp_ieee_underflow 0
		.amdhsa_exception_fp_ieee_inexact 0
		.amdhsa_exception_int_div_zero 0
	.end_amdhsa_kernel
	.section	.text._ZN7rocprim17ROCPRIM_400000_NS6detail17trampoline_kernelINS0_14default_configENS1_35adjacent_difference_config_selectorILb1EfEEZNS1_24adjacent_difference_implIS3_Lb1ELb0EPfS7_N6thrust23THRUST_200600_302600_NS4plusIfEEEE10hipError_tPvRmT2_T3_mT4_P12ihipStream_tbEUlT_E_NS1_11comp_targetILNS1_3genE4ELNS1_11target_archE910ELNS1_3gpuE8ELNS1_3repE0EEENS1_30default_config_static_selectorELNS0_4arch9wavefront6targetE1EEEvT1_,"axG",@progbits,_ZN7rocprim17ROCPRIM_400000_NS6detail17trampoline_kernelINS0_14default_configENS1_35adjacent_difference_config_selectorILb1EfEEZNS1_24adjacent_difference_implIS3_Lb1ELb0EPfS7_N6thrust23THRUST_200600_302600_NS4plusIfEEEE10hipError_tPvRmT2_T3_mT4_P12ihipStream_tbEUlT_E_NS1_11comp_targetILNS1_3genE4ELNS1_11target_archE910ELNS1_3gpuE8ELNS1_3repE0EEENS1_30default_config_static_selectorELNS0_4arch9wavefront6targetE1EEEvT1_,comdat
.Lfunc_end198:
	.size	_ZN7rocprim17ROCPRIM_400000_NS6detail17trampoline_kernelINS0_14default_configENS1_35adjacent_difference_config_selectorILb1EfEEZNS1_24adjacent_difference_implIS3_Lb1ELb0EPfS7_N6thrust23THRUST_200600_302600_NS4plusIfEEEE10hipError_tPvRmT2_T3_mT4_P12ihipStream_tbEUlT_E_NS1_11comp_targetILNS1_3genE4ELNS1_11target_archE910ELNS1_3gpuE8ELNS1_3repE0EEENS1_30default_config_static_selectorELNS0_4arch9wavefront6targetE1EEEvT1_, .Lfunc_end198-_ZN7rocprim17ROCPRIM_400000_NS6detail17trampoline_kernelINS0_14default_configENS1_35adjacent_difference_config_selectorILb1EfEEZNS1_24adjacent_difference_implIS3_Lb1ELb0EPfS7_N6thrust23THRUST_200600_302600_NS4plusIfEEEE10hipError_tPvRmT2_T3_mT4_P12ihipStream_tbEUlT_E_NS1_11comp_targetILNS1_3genE4ELNS1_11target_archE910ELNS1_3gpuE8ELNS1_3repE0EEENS1_30default_config_static_selectorELNS0_4arch9wavefront6targetE1EEEvT1_
                                        ; -- End function
	.section	.AMDGPU.csdata,"",@progbits
; Kernel info:
; codeLenInByte = 0
; NumSgprs: 6
; NumVgprs: 0
; NumAgprs: 0
; TotalNumVgprs: 0
; ScratchSize: 0
; MemoryBound: 0
; FloatMode: 240
; IeeeMode: 1
; LDSByteSize: 0 bytes/workgroup (compile time only)
; SGPRBlocks: 0
; VGPRBlocks: 0
; NumSGPRsForWavesPerEU: 6
; NumVGPRsForWavesPerEU: 1
; AccumOffset: 4
; Occupancy: 8
; WaveLimiterHint : 0
; COMPUTE_PGM_RSRC2:SCRATCH_EN: 0
; COMPUTE_PGM_RSRC2:USER_SGPR: 2
; COMPUTE_PGM_RSRC2:TRAP_HANDLER: 0
; COMPUTE_PGM_RSRC2:TGID_X_EN: 1
; COMPUTE_PGM_RSRC2:TGID_Y_EN: 0
; COMPUTE_PGM_RSRC2:TGID_Z_EN: 0
; COMPUTE_PGM_RSRC2:TIDIG_COMP_CNT: 0
; COMPUTE_PGM_RSRC3_GFX90A:ACCUM_OFFSET: 0
; COMPUTE_PGM_RSRC3_GFX90A:TG_SPLIT: 0
	.section	.text._ZN7rocprim17ROCPRIM_400000_NS6detail17trampoline_kernelINS0_14default_configENS1_35adjacent_difference_config_selectorILb1EfEEZNS1_24adjacent_difference_implIS3_Lb1ELb0EPfS7_N6thrust23THRUST_200600_302600_NS4plusIfEEEE10hipError_tPvRmT2_T3_mT4_P12ihipStream_tbEUlT_E_NS1_11comp_targetILNS1_3genE3ELNS1_11target_archE908ELNS1_3gpuE7ELNS1_3repE0EEENS1_30default_config_static_selectorELNS0_4arch9wavefront6targetE1EEEvT1_,"axG",@progbits,_ZN7rocprim17ROCPRIM_400000_NS6detail17trampoline_kernelINS0_14default_configENS1_35adjacent_difference_config_selectorILb1EfEEZNS1_24adjacent_difference_implIS3_Lb1ELb0EPfS7_N6thrust23THRUST_200600_302600_NS4plusIfEEEE10hipError_tPvRmT2_T3_mT4_P12ihipStream_tbEUlT_E_NS1_11comp_targetILNS1_3genE3ELNS1_11target_archE908ELNS1_3gpuE7ELNS1_3repE0EEENS1_30default_config_static_selectorELNS0_4arch9wavefront6targetE1EEEvT1_,comdat
	.protected	_ZN7rocprim17ROCPRIM_400000_NS6detail17trampoline_kernelINS0_14default_configENS1_35adjacent_difference_config_selectorILb1EfEEZNS1_24adjacent_difference_implIS3_Lb1ELb0EPfS7_N6thrust23THRUST_200600_302600_NS4plusIfEEEE10hipError_tPvRmT2_T3_mT4_P12ihipStream_tbEUlT_E_NS1_11comp_targetILNS1_3genE3ELNS1_11target_archE908ELNS1_3gpuE7ELNS1_3repE0EEENS1_30default_config_static_selectorELNS0_4arch9wavefront6targetE1EEEvT1_ ; -- Begin function _ZN7rocprim17ROCPRIM_400000_NS6detail17trampoline_kernelINS0_14default_configENS1_35adjacent_difference_config_selectorILb1EfEEZNS1_24adjacent_difference_implIS3_Lb1ELb0EPfS7_N6thrust23THRUST_200600_302600_NS4plusIfEEEE10hipError_tPvRmT2_T3_mT4_P12ihipStream_tbEUlT_E_NS1_11comp_targetILNS1_3genE3ELNS1_11target_archE908ELNS1_3gpuE7ELNS1_3repE0EEENS1_30default_config_static_selectorELNS0_4arch9wavefront6targetE1EEEvT1_
	.globl	_ZN7rocprim17ROCPRIM_400000_NS6detail17trampoline_kernelINS0_14default_configENS1_35adjacent_difference_config_selectorILb1EfEEZNS1_24adjacent_difference_implIS3_Lb1ELb0EPfS7_N6thrust23THRUST_200600_302600_NS4plusIfEEEE10hipError_tPvRmT2_T3_mT4_P12ihipStream_tbEUlT_E_NS1_11comp_targetILNS1_3genE3ELNS1_11target_archE908ELNS1_3gpuE7ELNS1_3repE0EEENS1_30default_config_static_selectorELNS0_4arch9wavefront6targetE1EEEvT1_
	.p2align	8
	.type	_ZN7rocprim17ROCPRIM_400000_NS6detail17trampoline_kernelINS0_14default_configENS1_35adjacent_difference_config_selectorILb1EfEEZNS1_24adjacent_difference_implIS3_Lb1ELb0EPfS7_N6thrust23THRUST_200600_302600_NS4plusIfEEEE10hipError_tPvRmT2_T3_mT4_P12ihipStream_tbEUlT_E_NS1_11comp_targetILNS1_3genE3ELNS1_11target_archE908ELNS1_3gpuE7ELNS1_3repE0EEENS1_30default_config_static_selectorELNS0_4arch9wavefront6targetE1EEEvT1_,@function
_ZN7rocprim17ROCPRIM_400000_NS6detail17trampoline_kernelINS0_14default_configENS1_35adjacent_difference_config_selectorILb1EfEEZNS1_24adjacent_difference_implIS3_Lb1ELb0EPfS7_N6thrust23THRUST_200600_302600_NS4plusIfEEEE10hipError_tPvRmT2_T3_mT4_P12ihipStream_tbEUlT_E_NS1_11comp_targetILNS1_3genE3ELNS1_11target_archE908ELNS1_3gpuE7ELNS1_3repE0EEENS1_30default_config_static_selectorELNS0_4arch9wavefront6targetE1EEEvT1_: ; @_ZN7rocprim17ROCPRIM_400000_NS6detail17trampoline_kernelINS0_14default_configENS1_35adjacent_difference_config_selectorILb1EfEEZNS1_24adjacent_difference_implIS3_Lb1ELb0EPfS7_N6thrust23THRUST_200600_302600_NS4plusIfEEEE10hipError_tPvRmT2_T3_mT4_P12ihipStream_tbEUlT_E_NS1_11comp_targetILNS1_3genE3ELNS1_11target_archE908ELNS1_3gpuE7ELNS1_3repE0EEENS1_30default_config_static_selectorELNS0_4arch9wavefront6targetE1EEEvT1_
; %bb.0:
	.section	.rodata,"a",@progbits
	.p2align	6, 0x0
	.amdhsa_kernel _ZN7rocprim17ROCPRIM_400000_NS6detail17trampoline_kernelINS0_14default_configENS1_35adjacent_difference_config_selectorILb1EfEEZNS1_24adjacent_difference_implIS3_Lb1ELb0EPfS7_N6thrust23THRUST_200600_302600_NS4plusIfEEEE10hipError_tPvRmT2_T3_mT4_P12ihipStream_tbEUlT_E_NS1_11comp_targetILNS1_3genE3ELNS1_11target_archE908ELNS1_3gpuE7ELNS1_3repE0EEENS1_30default_config_static_selectorELNS0_4arch9wavefront6targetE1EEEvT1_
		.amdhsa_group_segment_fixed_size 0
		.amdhsa_private_segment_fixed_size 0
		.amdhsa_kernarg_size 56
		.amdhsa_user_sgpr_count 2
		.amdhsa_user_sgpr_dispatch_ptr 0
		.amdhsa_user_sgpr_queue_ptr 0
		.amdhsa_user_sgpr_kernarg_segment_ptr 1
		.amdhsa_user_sgpr_dispatch_id 0
		.amdhsa_user_sgpr_kernarg_preload_length 0
		.amdhsa_user_sgpr_kernarg_preload_offset 0
		.amdhsa_user_sgpr_private_segment_size 0
		.amdhsa_uses_dynamic_stack 0
		.amdhsa_enable_private_segment 0
		.amdhsa_system_sgpr_workgroup_id_x 1
		.amdhsa_system_sgpr_workgroup_id_y 0
		.amdhsa_system_sgpr_workgroup_id_z 0
		.amdhsa_system_sgpr_workgroup_info 0
		.amdhsa_system_vgpr_workitem_id 0
		.amdhsa_next_free_vgpr 1
		.amdhsa_next_free_sgpr 0
		.amdhsa_accum_offset 4
		.amdhsa_reserve_vcc 0
		.amdhsa_float_round_mode_32 0
		.amdhsa_float_round_mode_16_64 0
		.amdhsa_float_denorm_mode_32 3
		.amdhsa_float_denorm_mode_16_64 3
		.amdhsa_dx10_clamp 1
		.amdhsa_ieee_mode 1
		.amdhsa_fp16_overflow 0
		.amdhsa_tg_split 0
		.amdhsa_exception_fp_ieee_invalid_op 0
		.amdhsa_exception_fp_denorm_src 0
		.amdhsa_exception_fp_ieee_div_zero 0
		.amdhsa_exception_fp_ieee_overflow 0
		.amdhsa_exception_fp_ieee_underflow 0
		.amdhsa_exception_fp_ieee_inexact 0
		.amdhsa_exception_int_div_zero 0
	.end_amdhsa_kernel
	.section	.text._ZN7rocprim17ROCPRIM_400000_NS6detail17trampoline_kernelINS0_14default_configENS1_35adjacent_difference_config_selectorILb1EfEEZNS1_24adjacent_difference_implIS3_Lb1ELb0EPfS7_N6thrust23THRUST_200600_302600_NS4plusIfEEEE10hipError_tPvRmT2_T3_mT4_P12ihipStream_tbEUlT_E_NS1_11comp_targetILNS1_3genE3ELNS1_11target_archE908ELNS1_3gpuE7ELNS1_3repE0EEENS1_30default_config_static_selectorELNS0_4arch9wavefront6targetE1EEEvT1_,"axG",@progbits,_ZN7rocprim17ROCPRIM_400000_NS6detail17trampoline_kernelINS0_14default_configENS1_35adjacent_difference_config_selectorILb1EfEEZNS1_24adjacent_difference_implIS3_Lb1ELb0EPfS7_N6thrust23THRUST_200600_302600_NS4plusIfEEEE10hipError_tPvRmT2_T3_mT4_P12ihipStream_tbEUlT_E_NS1_11comp_targetILNS1_3genE3ELNS1_11target_archE908ELNS1_3gpuE7ELNS1_3repE0EEENS1_30default_config_static_selectorELNS0_4arch9wavefront6targetE1EEEvT1_,comdat
.Lfunc_end199:
	.size	_ZN7rocprim17ROCPRIM_400000_NS6detail17trampoline_kernelINS0_14default_configENS1_35adjacent_difference_config_selectorILb1EfEEZNS1_24adjacent_difference_implIS3_Lb1ELb0EPfS7_N6thrust23THRUST_200600_302600_NS4plusIfEEEE10hipError_tPvRmT2_T3_mT4_P12ihipStream_tbEUlT_E_NS1_11comp_targetILNS1_3genE3ELNS1_11target_archE908ELNS1_3gpuE7ELNS1_3repE0EEENS1_30default_config_static_selectorELNS0_4arch9wavefront6targetE1EEEvT1_, .Lfunc_end199-_ZN7rocprim17ROCPRIM_400000_NS6detail17trampoline_kernelINS0_14default_configENS1_35adjacent_difference_config_selectorILb1EfEEZNS1_24adjacent_difference_implIS3_Lb1ELb0EPfS7_N6thrust23THRUST_200600_302600_NS4plusIfEEEE10hipError_tPvRmT2_T3_mT4_P12ihipStream_tbEUlT_E_NS1_11comp_targetILNS1_3genE3ELNS1_11target_archE908ELNS1_3gpuE7ELNS1_3repE0EEENS1_30default_config_static_selectorELNS0_4arch9wavefront6targetE1EEEvT1_
                                        ; -- End function
	.section	.AMDGPU.csdata,"",@progbits
; Kernel info:
; codeLenInByte = 0
; NumSgprs: 6
; NumVgprs: 0
; NumAgprs: 0
; TotalNumVgprs: 0
; ScratchSize: 0
; MemoryBound: 0
; FloatMode: 240
; IeeeMode: 1
; LDSByteSize: 0 bytes/workgroup (compile time only)
; SGPRBlocks: 0
; VGPRBlocks: 0
; NumSGPRsForWavesPerEU: 6
; NumVGPRsForWavesPerEU: 1
; AccumOffset: 4
; Occupancy: 8
; WaveLimiterHint : 0
; COMPUTE_PGM_RSRC2:SCRATCH_EN: 0
; COMPUTE_PGM_RSRC2:USER_SGPR: 2
; COMPUTE_PGM_RSRC2:TRAP_HANDLER: 0
; COMPUTE_PGM_RSRC2:TGID_X_EN: 1
; COMPUTE_PGM_RSRC2:TGID_Y_EN: 0
; COMPUTE_PGM_RSRC2:TGID_Z_EN: 0
; COMPUTE_PGM_RSRC2:TIDIG_COMP_CNT: 0
; COMPUTE_PGM_RSRC3_GFX90A:ACCUM_OFFSET: 0
; COMPUTE_PGM_RSRC3_GFX90A:TG_SPLIT: 0
	.section	.text._ZN7rocprim17ROCPRIM_400000_NS6detail17trampoline_kernelINS0_14default_configENS1_35adjacent_difference_config_selectorILb1EfEEZNS1_24adjacent_difference_implIS3_Lb1ELb0EPfS7_N6thrust23THRUST_200600_302600_NS4plusIfEEEE10hipError_tPvRmT2_T3_mT4_P12ihipStream_tbEUlT_E_NS1_11comp_targetILNS1_3genE2ELNS1_11target_archE906ELNS1_3gpuE6ELNS1_3repE0EEENS1_30default_config_static_selectorELNS0_4arch9wavefront6targetE1EEEvT1_,"axG",@progbits,_ZN7rocprim17ROCPRIM_400000_NS6detail17trampoline_kernelINS0_14default_configENS1_35adjacent_difference_config_selectorILb1EfEEZNS1_24adjacent_difference_implIS3_Lb1ELb0EPfS7_N6thrust23THRUST_200600_302600_NS4plusIfEEEE10hipError_tPvRmT2_T3_mT4_P12ihipStream_tbEUlT_E_NS1_11comp_targetILNS1_3genE2ELNS1_11target_archE906ELNS1_3gpuE6ELNS1_3repE0EEENS1_30default_config_static_selectorELNS0_4arch9wavefront6targetE1EEEvT1_,comdat
	.protected	_ZN7rocprim17ROCPRIM_400000_NS6detail17trampoline_kernelINS0_14default_configENS1_35adjacent_difference_config_selectorILb1EfEEZNS1_24adjacent_difference_implIS3_Lb1ELb0EPfS7_N6thrust23THRUST_200600_302600_NS4plusIfEEEE10hipError_tPvRmT2_T3_mT4_P12ihipStream_tbEUlT_E_NS1_11comp_targetILNS1_3genE2ELNS1_11target_archE906ELNS1_3gpuE6ELNS1_3repE0EEENS1_30default_config_static_selectorELNS0_4arch9wavefront6targetE1EEEvT1_ ; -- Begin function _ZN7rocprim17ROCPRIM_400000_NS6detail17trampoline_kernelINS0_14default_configENS1_35adjacent_difference_config_selectorILb1EfEEZNS1_24adjacent_difference_implIS3_Lb1ELb0EPfS7_N6thrust23THRUST_200600_302600_NS4plusIfEEEE10hipError_tPvRmT2_T3_mT4_P12ihipStream_tbEUlT_E_NS1_11comp_targetILNS1_3genE2ELNS1_11target_archE906ELNS1_3gpuE6ELNS1_3repE0EEENS1_30default_config_static_selectorELNS0_4arch9wavefront6targetE1EEEvT1_
	.globl	_ZN7rocprim17ROCPRIM_400000_NS6detail17trampoline_kernelINS0_14default_configENS1_35adjacent_difference_config_selectorILb1EfEEZNS1_24adjacent_difference_implIS3_Lb1ELb0EPfS7_N6thrust23THRUST_200600_302600_NS4plusIfEEEE10hipError_tPvRmT2_T3_mT4_P12ihipStream_tbEUlT_E_NS1_11comp_targetILNS1_3genE2ELNS1_11target_archE906ELNS1_3gpuE6ELNS1_3repE0EEENS1_30default_config_static_selectorELNS0_4arch9wavefront6targetE1EEEvT1_
	.p2align	8
	.type	_ZN7rocprim17ROCPRIM_400000_NS6detail17trampoline_kernelINS0_14default_configENS1_35adjacent_difference_config_selectorILb1EfEEZNS1_24adjacent_difference_implIS3_Lb1ELb0EPfS7_N6thrust23THRUST_200600_302600_NS4plusIfEEEE10hipError_tPvRmT2_T3_mT4_P12ihipStream_tbEUlT_E_NS1_11comp_targetILNS1_3genE2ELNS1_11target_archE906ELNS1_3gpuE6ELNS1_3repE0EEENS1_30default_config_static_selectorELNS0_4arch9wavefront6targetE1EEEvT1_,@function
_ZN7rocprim17ROCPRIM_400000_NS6detail17trampoline_kernelINS0_14default_configENS1_35adjacent_difference_config_selectorILb1EfEEZNS1_24adjacent_difference_implIS3_Lb1ELb0EPfS7_N6thrust23THRUST_200600_302600_NS4plusIfEEEE10hipError_tPvRmT2_T3_mT4_P12ihipStream_tbEUlT_E_NS1_11comp_targetILNS1_3genE2ELNS1_11target_archE906ELNS1_3gpuE6ELNS1_3repE0EEENS1_30default_config_static_selectorELNS0_4arch9wavefront6targetE1EEEvT1_: ; @_ZN7rocprim17ROCPRIM_400000_NS6detail17trampoline_kernelINS0_14default_configENS1_35adjacent_difference_config_selectorILb1EfEEZNS1_24adjacent_difference_implIS3_Lb1ELb0EPfS7_N6thrust23THRUST_200600_302600_NS4plusIfEEEE10hipError_tPvRmT2_T3_mT4_P12ihipStream_tbEUlT_E_NS1_11comp_targetILNS1_3genE2ELNS1_11target_archE906ELNS1_3gpuE6ELNS1_3repE0EEENS1_30default_config_static_selectorELNS0_4arch9wavefront6targetE1EEEvT1_
; %bb.0:
	.section	.rodata,"a",@progbits
	.p2align	6, 0x0
	.amdhsa_kernel _ZN7rocprim17ROCPRIM_400000_NS6detail17trampoline_kernelINS0_14default_configENS1_35adjacent_difference_config_selectorILb1EfEEZNS1_24adjacent_difference_implIS3_Lb1ELb0EPfS7_N6thrust23THRUST_200600_302600_NS4plusIfEEEE10hipError_tPvRmT2_T3_mT4_P12ihipStream_tbEUlT_E_NS1_11comp_targetILNS1_3genE2ELNS1_11target_archE906ELNS1_3gpuE6ELNS1_3repE0EEENS1_30default_config_static_selectorELNS0_4arch9wavefront6targetE1EEEvT1_
		.amdhsa_group_segment_fixed_size 0
		.amdhsa_private_segment_fixed_size 0
		.amdhsa_kernarg_size 56
		.amdhsa_user_sgpr_count 2
		.amdhsa_user_sgpr_dispatch_ptr 0
		.amdhsa_user_sgpr_queue_ptr 0
		.amdhsa_user_sgpr_kernarg_segment_ptr 1
		.amdhsa_user_sgpr_dispatch_id 0
		.amdhsa_user_sgpr_kernarg_preload_length 0
		.amdhsa_user_sgpr_kernarg_preload_offset 0
		.amdhsa_user_sgpr_private_segment_size 0
		.amdhsa_uses_dynamic_stack 0
		.amdhsa_enable_private_segment 0
		.amdhsa_system_sgpr_workgroup_id_x 1
		.amdhsa_system_sgpr_workgroup_id_y 0
		.amdhsa_system_sgpr_workgroup_id_z 0
		.amdhsa_system_sgpr_workgroup_info 0
		.amdhsa_system_vgpr_workitem_id 0
		.amdhsa_next_free_vgpr 1
		.amdhsa_next_free_sgpr 0
		.amdhsa_accum_offset 4
		.amdhsa_reserve_vcc 0
		.amdhsa_float_round_mode_32 0
		.amdhsa_float_round_mode_16_64 0
		.amdhsa_float_denorm_mode_32 3
		.amdhsa_float_denorm_mode_16_64 3
		.amdhsa_dx10_clamp 1
		.amdhsa_ieee_mode 1
		.amdhsa_fp16_overflow 0
		.amdhsa_tg_split 0
		.amdhsa_exception_fp_ieee_invalid_op 0
		.amdhsa_exception_fp_denorm_src 0
		.amdhsa_exception_fp_ieee_div_zero 0
		.amdhsa_exception_fp_ieee_overflow 0
		.amdhsa_exception_fp_ieee_underflow 0
		.amdhsa_exception_fp_ieee_inexact 0
		.amdhsa_exception_int_div_zero 0
	.end_amdhsa_kernel
	.section	.text._ZN7rocprim17ROCPRIM_400000_NS6detail17trampoline_kernelINS0_14default_configENS1_35adjacent_difference_config_selectorILb1EfEEZNS1_24adjacent_difference_implIS3_Lb1ELb0EPfS7_N6thrust23THRUST_200600_302600_NS4plusIfEEEE10hipError_tPvRmT2_T3_mT4_P12ihipStream_tbEUlT_E_NS1_11comp_targetILNS1_3genE2ELNS1_11target_archE906ELNS1_3gpuE6ELNS1_3repE0EEENS1_30default_config_static_selectorELNS0_4arch9wavefront6targetE1EEEvT1_,"axG",@progbits,_ZN7rocprim17ROCPRIM_400000_NS6detail17trampoline_kernelINS0_14default_configENS1_35adjacent_difference_config_selectorILb1EfEEZNS1_24adjacent_difference_implIS3_Lb1ELb0EPfS7_N6thrust23THRUST_200600_302600_NS4plusIfEEEE10hipError_tPvRmT2_T3_mT4_P12ihipStream_tbEUlT_E_NS1_11comp_targetILNS1_3genE2ELNS1_11target_archE906ELNS1_3gpuE6ELNS1_3repE0EEENS1_30default_config_static_selectorELNS0_4arch9wavefront6targetE1EEEvT1_,comdat
.Lfunc_end200:
	.size	_ZN7rocprim17ROCPRIM_400000_NS6detail17trampoline_kernelINS0_14default_configENS1_35adjacent_difference_config_selectorILb1EfEEZNS1_24adjacent_difference_implIS3_Lb1ELb0EPfS7_N6thrust23THRUST_200600_302600_NS4plusIfEEEE10hipError_tPvRmT2_T3_mT4_P12ihipStream_tbEUlT_E_NS1_11comp_targetILNS1_3genE2ELNS1_11target_archE906ELNS1_3gpuE6ELNS1_3repE0EEENS1_30default_config_static_selectorELNS0_4arch9wavefront6targetE1EEEvT1_, .Lfunc_end200-_ZN7rocprim17ROCPRIM_400000_NS6detail17trampoline_kernelINS0_14default_configENS1_35adjacent_difference_config_selectorILb1EfEEZNS1_24adjacent_difference_implIS3_Lb1ELb0EPfS7_N6thrust23THRUST_200600_302600_NS4plusIfEEEE10hipError_tPvRmT2_T3_mT4_P12ihipStream_tbEUlT_E_NS1_11comp_targetILNS1_3genE2ELNS1_11target_archE906ELNS1_3gpuE6ELNS1_3repE0EEENS1_30default_config_static_selectorELNS0_4arch9wavefront6targetE1EEEvT1_
                                        ; -- End function
	.section	.AMDGPU.csdata,"",@progbits
; Kernel info:
; codeLenInByte = 0
; NumSgprs: 6
; NumVgprs: 0
; NumAgprs: 0
; TotalNumVgprs: 0
; ScratchSize: 0
; MemoryBound: 0
; FloatMode: 240
; IeeeMode: 1
; LDSByteSize: 0 bytes/workgroup (compile time only)
; SGPRBlocks: 0
; VGPRBlocks: 0
; NumSGPRsForWavesPerEU: 6
; NumVGPRsForWavesPerEU: 1
; AccumOffset: 4
; Occupancy: 8
; WaveLimiterHint : 0
; COMPUTE_PGM_RSRC2:SCRATCH_EN: 0
; COMPUTE_PGM_RSRC2:USER_SGPR: 2
; COMPUTE_PGM_RSRC2:TRAP_HANDLER: 0
; COMPUTE_PGM_RSRC2:TGID_X_EN: 1
; COMPUTE_PGM_RSRC2:TGID_Y_EN: 0
; COMPUTE_PGM_RSRC2:TGID_Z_EN: 0
; COMPUTE_PGM_RSRC2:TIDIG_COMP_CNT: 0
; COMPUTE_PGM_RSRC3_GFX90A:ACCUM_OFFSET: 0
; COMPUTE_PGM_RSRC3_GFX90A:TG_SPLIT: 0
	.section	.text._ZN7rocprim17ROCPRIM_400000_NS6detail17trampoline_kernelINS0_14default_configENS1_35adjacent_difference_config_selectorILb1EfEEZNS1_24adjacent_difference_implIS3_Lb1ELb0EPfS7_N6thrust23THRUST_200600_302600_NS4plusIfEEEE10hipError_tPvRmT2_T3_mT4_P12ihipStream_tbEUlT_E_NS1_11comp_targetILNS1_3genE9ELNS1_11target_archE1100ELNS1_3gpuE3ELNS1_3repE0EEENS1_30default_config_static_selectorELNS0_4arch9wavefront6targetE1EEEvT1_,"axG",@progbits,_ZN7rocprim17ROCPRIM_400000_NS6detail17trampoline_kernelINS0_14default_configENS1_35adjacent_difference_config_selectorILb1EfEEZNS1_24adjacent_difference_implIS3_Lb1ELb0EPfS7_N6thrust23THRUST_200600_302600_NS4plusIfEEEE10hipError_tPvRmT2_T3_mT4_P12ihipStream_tbEUlT_E_NS1_11comp_targetILNS1_3genE9ELNS1_11target_archE1100ELNS1_3gpuE3ELNS1_3repE0EEENS1_30default_config_static_selectorELNS0_4arch9wavefront6targetE1EEEvT1_,comdat
	.protected	_ZN7rocprim17ROCPRIM_400000_NS6detail17trampoline_kernelINS0_14default_configENS1_35adjacent_difference_config_selectorILb1EfEEZNS1_24adjacent_difference_implIS3_Lb1ELb0EPfS7_N6thrust23THRUST_200600_302600_NS4plusIfEEEE10hipError_tPvRmT2_T3_mT4_P12ihipStream_tbEUlT_E_NS1_11comp_targetILNS1_3genE9ELNS1_11target_archE1100ELNS1_3gpuE3ELNS1_3repE0EEENS1_30default_config_static_selectorELNS0_4arch9wavefront6targetE1EEEvT1_ ; -- Begin function _ZN7rocprim17ROCPRIM_400000_NS6detail17trampoline_kernelINS0_14default_configENS1_35adjacent_difference_config_selectorILb1EfEEZNS1_24adjacent_difference_implIS3_Lb1ELb0EPfS7_N6thrust23THRUST_200600_302600_NS4plusIfEEEE10hipError_tPvRmT2_T3_mT4_P12ihipStream_tbEUlT_E_NS1_11comp_targetILNS1_3genE9ELNS1_11target_archE1100ELNS1_3gpuE3ELNS1_3repE0EEENS1_30default_config_static_selectorELNS0_4arch9wavefront6targetE1EEEvT1_
	.globl	_ZN7rocprim17ROCPRIM_400000_NS6detail17trampoline_kernelINS0_14default_configENS1_35adjacent_difference_config_selectorILb1EfEEZNS1_24adjacent_difference_implIS3_Lb1ELb0EPfS7_N6thrust23THRUST_200600_302600_NS4plusIfEEEE10hipError_tPvRmT2_T3_mT4_P12ihipStream_tbEUlT_E_NS1_11comp_targetILNS1_3genE9ELNS1_11target_archE1100ELNS1_3gpuE3ELNS1_3repE0EEENS1_30default_config_static_selectorELNS0_4arch9wavefront6targetE1EEEvT1_
	.p2align	8
	.type	_ZN7rocprim17ROCPRIM_400000_NS6detail17trampoline_kernelINS0_14default_configENS1_35adjacent_difference_config_selectorILb1EfEEZNS1_24adjacent_difference_implIS3_Lb1ELb0EPfS7_N6thrust23THRUST_200600_302600_NS4plusIfEEEE10hipError_tPvRmT2_T3_mT4_P12ihipStream_tbEUlT_E_NS1_11comp_targetILNS1_3genE9ELNS1_11target_archE1100ELNS1_3gpuE3ELNS1_3repE0EEENS1_30default_config_static_selectorELNS0_4arch9wavefront6targetE1EEEvT1_,@function
_ZN7rocprim17ROCPRIM_400000_NS6detail17trampoline_kernelINS0_14default_configENS1_35adjacent_difference_config_selectorILb1EfEEZNS1_24adjacent_difference_implIS3_Lb1ELb0EPfS7_N6thrust23THRUST_200600_302600_NS4plusIfEEEE10hipError_tPvRmT2_T3_mT4_P12ihipStream_tbEUlT_E_NS1_11comp_targetILNS1_3genE9ELNS1_11target_archE1100ELNS1_3gpuE3ELNS1_3repE0EEENS1_30default_config_static_selectorELNS0_4arch9wavefront6targetE1EEEvT1_: ; @_ZN7rocprim17ROCPRIM_400000_NS6detail17trampoline_kernelINS0_14default_configENS1_35adjacent_difference_config_selectorILb1EfEEZNS1_24adjacent_difference_implIS3_Lb1ELb0EPfS7_N6thrust23THRUST_200600_302600_NS4plusIfEEEE10hipError_tPvRmT2_T3_mT4_P12ihipStream_tbEUlT_E_NS1_11comp_targetILNS1_3genE9ELNS1_11target_archE1100ELNS1_3gpuE3ELNS1_3repE0EEENS1_30default_config_static_selectorELNS0_4arch9wavefront6targetE1EEEvT1_
; %bb.0:
	.section	.rodata,"a",@progbits
	.p2align	6, 0x0
	.amdhsa_kernel _ZN7rocprim17ROCPRIM_400000_NS6detail17trampoline_kernelINS0_14default_configENS1_35adjacent_difference_config_selectorILb1EfEEZNS1_24adjacent_difference_implIS3_Lb1ELb0EPfS7_N6thrust23THRUST_200600_302600_NS4plusIfEEEE10hipError_tPvRmT2_T3_mT4_P12ihipStream_tbEUlT_E_NS1_11comp_targetILNS1_3genE9ELNS1_11target_archE1100ELNS1_3gpuE3ELNS1_3repE0EEENS1_30default_config_static_selectorELNS0_4arch9wavefront6targetE1EEEvT1_
		.amdhsa_group_segment_fixed_size 0
		.amdhsa_private_segment_fixed_size 0
		.amdhsa_kernarg_size 56
		.amdhsa_user_sgpr_count 2
		.amdhsa_user_sgpr_dispatch_ptr 0
		.amdhsa_user_sgpr_queue_ptr 0
		.amdhsa_user_sgpr_kernarg_segment_ptr 1
		.amdhsa_user_sgpr_dispatch_id 0
		.amdhsa_user_sgpr_kernarg_preload_length 0
		.amdhsa_user_sgpr_kernarg_preload_offset 0
		.amdhsa_user_sgpr_private_segment_size 0
		.amdhsa_uses_dynamic_stack 0
		.amdhsa_enable_private_segment 0
		.amdhsa_system_sgpr_workgroup_id_x 1
		.amdhsa_system_sgpr_workgroup_id_y 0
		.amdhsa_system_sgpr_workgroup_id_z 0
		.amdhsa_system_sgpr_workgroup_info 0
		.amdhsa_system_vgpr_workitem_id 0
		.amdhsa_next_free_vgpr 1
		.amdhsa_next_free_sgpr 0
		.amdhsa_accum_offset 4
		.amdhsa_reserve_vcc 0
		.amdhsa_float_round_mode_32 0
		.amdhsa_float_round_mode_16_64 0
		.amdhsa_float_denorm_mode_32 3
		.amdhsa_float_denorm_mode_16_64 3
		.amdhsa_dx10_clamp 1
		.amdhsa_ieee_mode 1
		.amdhsa_fp16_overflow 0
		.amdhsa_tg_split 0
		.amdhsa_exception_fp_ieee_invalid_op 0
		.amdhsa_exception_fp_denorm_src 0
		.amdhsa_exception_fp_ieee_div_zero 0
		.amdhsa_exception_fp_ieee_overflow 0
		.amdhsa_exception_fp_ieee_underflow 0
		.amdhsa_exception_fp_ieee_inexact 0
		.amdhsa_exception_int_div_zero 0
	.end_amdhsa_kernel
	.section	.text._ZN7rocprim17ROCPRIM_400000_NS6detail17trampoline_kernelINS0_14default_configENS1_35adjacent_difference_config_selectorILb1EfEEZNS1_24adjacent_difference_implIS3_Lb1ELb0EPfS7_N6thrust23THRUST_200600_302600_NS4plusIfEEEE10hipError_tPvRmT2_T3_mT4_P12ihipStream_tbEUlT_E_NS1_11comp_targetILNS1_3genE9ELNS1_11target_archE1100ELNS1_3gpuE3ELNS1_3repE0EEENS1_30default_config_static_selectorELNS0_4arch9wavefront6targetE1EEEvT1_,"axG",@progbits,_ZN7rocprim17ROCPRIM_400000_NS6detail17trampoline_kernelINS0_14default_configENS1_35adjacent_difference_config_selectorILb1EfEEZNS1_24adjacent_difference_implIS3_Lb1ELb0EPfS7_N6thrust23THRUST_200600_302600_NS4plusIfEEEE10hipError_tPvRmT2_T3_mT4_P12ihipStream_tbEUlT_E_NS1_11comp_targetILNS1_3genE9ELNS1_11target_archE1100ELNS1_3gpuE3ELNS1_3repE0EEENS1_30default_config_static_selectorELNS0_4arch9wavefront6targetE1EEEvT1_,comdat
.Lfunc_end201:
	.size	_ZN7rocprim17ROCPRIM_400000_NS6detail17trampoline_kernelINS0_14default_configENS1_35adjacent_difference_config_selectorILb1EfEEZNS1_24adjacent_difference_implIS3_Lb1ELb0EPfS7_N6thrust23THRUST_200600_302600_NS4plusIfEEEE10hipError_tPvRmT2_T3_mT4_P12ihipStream_tbEUlT_E_NS1_11comp_targetILNS1_3genE9ELNS1_11target_archE1100ELNS1_3gpuE3ELNS1_3repE0EEENS1_30default_config_static_selectorELNS0_4arch9wavefront6targetE1EEEvT1_, .Lfunc_end201-_ZN7rocprim17ROCPRIM_400000_NS6detail17trampoline_kernelINS0_14default_configENS1_35adjacent_difference_config_selectorILb1EfEEZNS1_24adjacent_difference_implIS3_Lb1ELb0EPfS7_N6thrust23THRUST_200600_302600_NS4plusIfEEEE10hipError_tPvRmT2_T3_mT4_P12ihipStream_tbEUlT_E_NS1_11comp_targetILNS1_3genE9ELNS1_11target_archE1100ELNS1_3gpuE3ELNS1_3repE0EEENS1_30default_config_static_selectorELNS0_4arch9wavefront6targetE1EEEvT1_
                                        ; -- End function
	.section	.AMDGPU.csdata,"",@progbits
; Kernel info:
; codeLenInByte = 0
; NumSgprs: 6
; NumVgprs: 0
; NumAgprs: 0
; TotalNumVgprs: 0
; ScratchSize: 0
; MemoryBound: 0
; FloatMode: 240
; IeeeMode: 1
; LDSByteSize: 0 bytes/workgroup (compile time only)
; SGPRBlocks: 0
; VGPRBlocks: 0
; NumSGPRsForWavesPerEU: 6
; NumVGPRsForWavesPerEU: 1
; AccumOffset: 4
; Occupancy: 8
; WaveLimiterHint : 0
; COMPUTE_PGM_RSRC2:SCRATCH_EN: 0
; COMPUTE_PGM_RSRC2:USER_SGPR: 2
; COMPUTE_PGM_RSRC2:TRAP_HANDLER: 0
; COMPUTE_PGM_RSRC2:TGID_X_EN: 1
; COMPUTE_PGM_RSRC2:TGID_Y_EN: 0
; COMPUTE_PGM_RSRC2:TGID_Z_EN: 0
; COMPUTE_PGM_RSRC2:TIDIG_COMP_CNT: 0
; COMPUTE_PGM_RSRC3_GFX90A:ACCUM_OFFSET: 0
; COMPUTE_PGM_RSRC3_GFX90A:TG_SPLIT: 0
	.section	.text._ZN7rocprim17ROCPRIM_400000_NS6detail17trampoline_kernelINS0_14default_configENS1_35adjacent_difference_config_selectorILb1EfEEZNS1_24adjacent_difference_implIS3_Lb1ELb0EPfS7_N6thrust23THRUST_200600_302600_NS4plusIfEEEE10hipError_tPvRmT2_T3_mT4_P12ihipStream_tbEUlT_E_NS1_11comp_targetILNS1_3genE8ELNS1_11target_archE1030ELNS1_3gpuE2ELNS1_3repE0EEENS1_30default_config_static_selectorELNS0_4arch9wavefront6targetE1EEEvT1_,"axG",@progbits,_ZN7rocprim17ROCPRIM_400000_NS6detail17trampoline_kernelINS0_14default_configENS1_35adjacent_difference_config_selectorILb1EfEEZNS1_24adjacent_difference_implIS3_Lb1ELb0EPfS7_N6thrust23THRUST_200600_302600_NS4plusIfEEEE10hipError_tPvRmT2_T3_mT4_P12ihipStream_tbEUlT_E_NS1_11comp_targetILNS1_3genE8ELNS1_11target_archE1030ELNS1_3gpuE2ELNS1_3repE0EEENS1_30default_config_static_selectorELNS0_4arch9wavefront6targetE1EEEvT1_,comdat
	.protected	_ZN7rocprim17ROCPRIM_400000_NS6detail17trampoline_kernelINS0_14default_configENS1_35adjacent_difference_config_selectorILb1EfEEZNS1_24adjacent_difference_implIS3_Lb1ELb0EPfS7_N6thrust23THRUST_200600_302600_NS4plusIfEEEE10hipError_tPvRmT2_T3_mT4_P12ihipStream_tbEUlT_E_NS1_11comp_targetILNS1_3genE8ELNS1_11target_archE1030ELNS1_3gpuE2ELNS1_3repE0EEENS1_30default_config_static_selectorELNS0_4arch9wavefront6targetE1EEEvT1_ ; -- Begin function _ZN7rocprim17ROCPRIM_400000_NS6detail17trampoline_kernelINS0_14default_configENS1_35adjacent_difference_config_selectorILb1EfEEZNS1_24adjacent_difference_implIS3_Lb1ELb0EPfS7_N6thrust23THRUST_200600_302600_NS4plusIfEEEE10hipError_tPvRmT2_T3_mT4_P12ihipStream_tbEUlT_E_NS1_11comp_targetILNS1_3genE8ELNS1_11target_archE1030ELNS1_3gpuE2ELNS1_3repE0EEENS1_30default_config_static_selectorELNS0_4arch9wavefront6targetE1EEEvT1_
	.globl	_ZN7rocprim17ROCPRIM_400000_NS6detail17trampoline_kernelINS0_14default_configENS1_35adjacent_difference_config_selectorILb1EfEEZNS1_24adjacent_difference_implIS3_Lb1ELb0EPfS7_N6thrust23THRUST_200600_302600_NS4plusIfEEEE10hipError_tPvRmT2_T3_mT4_P12ihipStream_tbEUlT_E_NS1_11comp_targetILNS1_3genE8ELNS1_11target_archE1030ELNS1_3gpuE2ELNS1_3repE0EEENS1_30default_config_static_selectorELNS0_4arch9wavefront6targetE1EEEvT1_
	.p2align	8
	.type	_ZN7rocprim17ROCPRIM_400000_NS6detail17trampoline_kernelINS0_14default_configENS1_35adjacent_difference_config_selectorILb1EfEEZNS1_24adjacent_difference_implIS3_Lb1ELb0EPfS7_N6thrust23THRUST_200600_302600_NS4plusIfEEEE10hipError_tPvRmT2_T3_mT4_P12ihipStream_tbEUlT_E_NS1_11comp_targetILNS1_3genE8ELNS1_11target_archE1030ELNS1_3gpuE2ELNS1_3repE0EEENS1_30default_config_static_selectorELNS0_4arch9wavefront6targetE1EEEvT1_,@function
_ZN7rocprim17ROCPRIM_400000_NS6detail17trampoline_kernelINS0_14default_configENS1_35adjacent_difference_config_selectorILb1EfEEZNS1_24adjacent_difference_implIS3_Lb1ELb0EPfS7_N6thrust23THRUST_200600_302600_NS4plusIfEEEE10hipError_tPvRmT2_T3_mT4_P12ihipStream_tbEUlT_E_NS1_11comp_targetILNS1_3genE8ELNS1_11target_archE1030ELNS1_3gpuE2ELNS1_3repE0EEENS1_30default_config_static_selectorELNS0_4arch9wavefront6targetE1EEEvT1_: ; @_ZN7rocprim17ROCPRIM_400000_NS6detail17trampoline_kernelINS0_14default_configENS1_35adjacent_difference_config_selectorILb1EfEEZNS1_24adjacent_difference_implIS3_Lb1ELb0EPfS7_N6thrust23THRUST_200600_302600_NS4plusIfEEEE10hipError_tPvRmT2_T3_mT4_P12ihipStream_tbEUlT_E_NS1_11comp_targetILNS1_3genE8ELNS1_11target_archE1030ELNS1_3gpuE2ELNS1_3repE0EEENS1_30default_config_static_selectorELNS0_4arch9wavefront6targetE1EEEvT1_
; %bb.0:
	.section	.rodata,"a",@progbits
	.p2align	6, 0x0
	.amdhsa_kernel _ZN7rocprim17ROCPRIM_400000_NS6detail17trampoline_kernelINS0_14default_configENS1_35adjacent_difference_config_selectorILb1EfEEZNS1_24adjacent_difference_implIS3_Lb1ELb0EPfS7_N6thrust23THRUST_200600_302600_NS4plusIfEEEE10hipError_tPvRmT2_T3_mT4_P12ihipStream_tbEUlT_E_NS1_11comp_targetILNS1_3genE8ELNS1_11target_archE1030ELNS1_3gpuE2ELNS1_3repE0EEENS1_30default_config_static_selectorELNS0_4arch9wavefront6targetE1EEEvT1_
		.amdhsa_group_segment_fixed_size 0
		.amdhsa_private_segment_fixed_size 0
		.amdhsa_kernarg_size 56
		.amdhsa_user_sgpr_count 2
		.amdhsa_user_sgpr_dispatch_ptr 0
		.amdhsa_user_sgpr_queue_ptr 0
		.amdhsa_user_sgpr_kernarg_segment_ptr 1
		.amdhsa_user_sgpr_dispatch_id 0
		.amdhsa_user_sgpr_kernarg_preload_length 0
		.amdhsa_user_sgpr_kernarg_preload_offset 0
		.amdhsa_user_sgpr_private_segment_size 0
		.amdhsa_uses_dynamic_stack 0
		.amdhsa_enable_private_segment 0
		.amdhsa_system_sgpr_workgroup_id_x 1
		.amdhsa_system_sgpr_workgroup_id_y 0
		.amdhsa_system_sgpr_workgroup_id_z 0
		.amdhsa_system_sgpr_workgroup_info 0
		.amdhsa_system_vgpr_workitem_id 0
		.amdhsa_next_free_vgpr 1
		.amdhsa_next_free_sgpr 0
		.amdhsa_accum_offset 4
		.amdhsa_reserve_vcc 0
		.amdhsa_float_round_mode_32 0
		.amdhsa_float_round_mode_16_64 0
		.amdhsa_float_denorm_mode_32 3
		.amdhsa_float_denorm_mode_16_64 3
		.amdhsa_dx10_clamp 1
		.amdhsa_ieee_mode 1
		.amdhsa_fp16_overflow 0
		.amdhsa_tg_split 0
		.amdhsa_exception_fp_ieee_invalid_op 0
		.amdhsa_exception_fp_denorm_src 0
		.amdhsa_exception_fp_ieee_div_zero 0
		.amdhsa_exception_fp_ieee_overflow 0
		.amdhsa_exception_fp_ieee_underflow 0
		.amdhsa_exception_fp_ieee_inexact 0
		.amdhsa_exception_int_div_zero 0
	.end_amdhsa_kernel
	.section	.text._ZN7rocprim17ROCPRIM_400000_NS6detail17trampoline_kernelINS0_14default_configENS1_35adjacent_difference_config_selectorILb1EfEEZNS1_24adjacent_difference_implIS3_Lb1ELb0EPfS7_N6thrust23THRUST_200600_302600_NS4plusIfEEEE10hipError_tPvRmT2_T3_mT4_P12ihipStream_tbEUlT_E_NS1_11comp_targetILNS1_3genE8ELNS1_11target_archE1030ELNS1_3gpuE2ELNS1_3repE0EEENS1_30default_config_static_selectorELNS0_4arch9wavefront6targetE1EEEvT1_,"axG",@progbits,_ZN7rocprim17ROCPRIM_400000_NS6detail17trampoline_kernelINS0_14default_configENS1_35adjacent_difference_config_selectorILb1EfEEZNS1_24adjacent_difference_implIS3_Lb1ELb0EPfS7_N6thrust23THRUST_200600_302600_NS4plusIfEEEE10hipError_tPvRmT2_T3_mT4_P12ihipStream_tbEUlT_E_NS1_11comp_targetILNS1_3genE8ELNS1_11target_archE1030ELNS1_3gpuE2ELNS1_3repE0EEENS1_30default_config_static_selectorELNS0_4arch9wavefront6targetE1EEEvT1_,comdat
.Lfunc_end202:
	.size	_ZN7rocprim17ROCPRIM_400000_NS6detail17trampoline_kernelINS0_14default_configENS1_35adjacent_difference_config_selectorILb1EfEEZNS1_24adjacent_difference_implIS3_Lb1ELb0EPfS7_N6thrust23THRUST_200600_302600_NS4plusIfEEEE10hipError_tPvRmT2_T3_mT4_P12ihipStream_tbEUlT_E_NS1_11comp_targetILNS1_3genE8ELNS1_11target_archE1030ELNS1_3gpuE2ELNS1_3repE0EEENS1_30default_config_static_selectorELNS0_4arch9wavefront6targetE1EEEvT1_, .Lfunc_end202-_ZN7rocprim17ROCPRIM_400000_NS6detail17trampoline_kernelINS0_14default_configENS1_35adjacent_difference_config_selectorILb1EfEEZNS1_24adjacent_difference_implIS3_Lb1ELb0EPfS7_N6thrust23THRUST_200600_302600_NS4plusIfEEEE10hipError_tPvRmT2_T3_mT4_P12ihipStream_tbEUlT_E_NS1_11comp_targetILNS1_3genE8ELNS1_11target_archE1030ELNS1_3gpuE2ELNS1_3repE0EEENS1_30default_config_static_selectorELNS0_4arch9wavefront6targetE1EEEvT1_
                                        ; -- End function
	.section	.AMDGPU.csdata,"",@progbits
; Kernel info:
; codeLenInByte = 0
; NumSgprs: 6
; NumVgprs: 0
; NumAgprs: 0
; TotalNumVgprs: 0
; ScratchSize: 0
; MemoryBound: 0
; FloatMode: 240
; IeeeMode: 1
; LDSByteSize: 0 bytes/workgroup (compile time only)
; SGPRBlocks: 0
; VGPRBlocks: 0
; NumSGPRsForWavesPerEU: 6
; NumVGPRsForWavesPerEU: 1
; AccumOffset: 4
; Occupancy: 8
; WaveLimiterHint : 0
; COMPUTE_PGM_RSRC2:SCRATCH_EN: 0
; COMPUTE_PGM_RSRC2:USER_SGPR: 2
; COMPUTE_PGM_RSRC2:TRAP_HANDLER: 0
; COMPUTE_PGM_RSRC2:TGID_X_EN: 1
; COMPUTE_PGM_RSRC2:TGID_Y_EN: 0
; COMPUTE_PGM_RSRC2:TGID_Z_EN: 0
; COMPUTE_PGM_RSRC2:TIDIG_COMP_CNT: 0
; COMPUTE_PGM_RSRC3_GFX90A:ACCUM_OFFSET: 0
; COMPUTE_PGM_RSRC3_GFX90A:TG_SPLIT: 0
	.section	.text._ZN6thrust23THRUST_200600_302600_NS11hip_rocprim14__parallel_for6kernelILj256ENS1_10for_each_fINS0_10device_ptrI14custom_numericEENS0_6detail16wrapped_functionINS8_23allocator_traits_detail24construct1_via_allocatorINS0_16device_allocatorIS6_EEEEvEEEEmLj1EEEvT0_T1_SI_,"axG",@progbits,_ZN6thrust23THRUST_200600_302600_NS11hip_rocprim14__parallel_for6kernelILj256ENS1_10for_each_fINS0_10device_ptrI14custom_numericEENS0_6detail16wrapped_functionINS8_23allocator_traits_detail24construct1_via_allocatorINS0_16device_allocatorIS6_EEEEvEEEEmLj1EEEvT0_T1_SI_,comdat
	.protected	_ZN6thrust23THRUST_200600_302600_NS11hip_rocprim14__parallel_for6kernelILj256ENS1_10for_each_fINS0_10device_ptrI14custom_numericEENS0_6detail16wrapped_functionINS8_23allocator_traits_detail24construct1_via_allocatorINS0_16device_allocatorIS6_EEEEvEEEEmLj1EEEvT0_T1_SI_ ; -- Begin function _ZN6thrust23THRUST_200600_302600_NS11hip_rocprim14__parallel_for6kernelILj256ENS1_10for_each_fINS0_10device_ptrI14custom_numericEENS0_6detail16wrapped_functionINS8_23allocator_traits_detail24construct1_via_allocatorINS0_16device_allocatorIS6_EEEEvEEEEmLj1EEEvT0_T1_SI_
	.globl	_ZN6thrust23THRUST_200600_302600_NS11hip_rocprim14__parallel_for6kernelILj256ENS1_10for_each_fINS0_10device_ptrI14custom_numericEENS0_6detail16wrapped_functionINS8_23allocator_traits_detail24construct1_via_allocatorINS0_16device_allocatorIS6_EEEEvEEEEmLj1EEEvT0_T1_SI_
	.p2align	8
	.type	_ZN6thrust23THRUST_200600_302600_NS11hip_rocprim14__parallel_for6kernelILj256ENS1_10for_each_fINS0_10device_ptrI14custom_numericEENS0_6detail16wrapped_functionINS8_23allocator_traits_detail24construct1_via_allocatorINS0_16device_allocatorIS6_EEEEvEEEEmLj1EEEvT0_T1_SI_,@function
_ZN6thrust23THRUST_200600_302600_NS11hip_rocprim14__parallel_for6kernelILj256ENS1_10for_each_fINS0_10device_ptrI14custom_numericEENS0_6detail16wrapped_functionINS8_23allocator_traits_detail24construct1_via_allocatorINS0_16device_allocatorIS6_EEEEvEEEEmLj1EEEvT0_T1_SI_: ; @_ZN6thrust23THRUST_200600_302600_NS11hip_rocprim14__parallel_for6kernelILj256ENS1_10for_each_fINS0_10device_ptrI14custom_numericEENS0_6detail16wrapped_functionINS8_23allocator_traits_detail24construct1_via_allocatorINS0_16device_allocatorIS6_EEEEvEEEEmLj1EEEvT0_T1_SI_
; %bb.0:
	s_load_dwordx4 s[4:7], s[0:1], 0x10
	s_lshl_b32 s2, s2, 8
	v_mov_b64_e32 v[2:3], 0x100
	s_waitcnt lgkmcnt(0)
	s_add_u32 s6, s2, s6
	s_addc_u32 s7, 0, s7
	s_sub_u32 s2, s4, s6
	s_subb_u32 s3, s5, s7
	v_cmp_lt_u64_e32 vcc, s[2:3], v[2:3]
	s_cbranch_vccz .LBB203_2
; %bb.1:
	v_cmp_gt_u32_e32 vcc, s2, v0
	s_and_b64 s[2:3], vcc, exec
	s_cbranch_execz .LBB203_3
	s_branch .LBB203_4
.LBB203_2:
	s_mov_b64 s[2:3], 0
.LBB203_3:
	s_or_b64 s[2:3], s[2:3], exec
.LBB203_4:
	s_and_saveexec_b64 s[4:5], s[2:3]
	s_cbranch_execnz .LBB203_6
; %bb.5:
	s_endpgm
.LBB203_6:
	s_load_dwordx2 s[0:1], s[0:1], 0x0
	s_mul_i32 s7, s7, 20
	s_mul_hi_u32 s2, s6, 20
	s_mul_i32 s6, s6, 20
	s_add_i32 s2, s2, s7
	s_waitcnt lgkmcnt(0)
	s_add_u32 s0, s0, s6
	s_addc_u32 s1, s1, s2
	v_mad_u64_u32 v[4:5], s[0:1], v0, 20, s[0:1]
	v_mov_b32_e32 v0, 0
	v_mov_b32_e32 v1, v0
	;; [unrolled: 1-line block ×4, first 2 shown]
	flat_store_dwordx4 v[4:5], v[0:3]
	flat_store_dword v[4:5], v0 offset:16
	s_endpgm
	.section	.rodata,"a",@progbits
	.p2align	6, 0x0
	.amdhsa_kernel _ZN6thrust23THRUST_200600_302600_NS11hip_rocprim14__parallel_for6kernelILj256ENS1_10for_each_fINS0_10device_ptrI14custom_numericEENS0_6detail16wrapped_functionINS8_23allocator_traits_detail24construct1_via_allocatorINS0_16device_allocatorIS6_EEEEvEEEEmLj1EEEvT0_T1_SI_
		.amdhsa_group_segment_fixed_size 0
		.amdhsa_private_segment_fixed_size 0
		.amdhsa_kernarg_size 32
		.amdhsa_user_sgpr_count 2
		.amdhsa_user_sgpr_dispatch_ptr 0
		.amdhsa_user_sgpr_queue_ptr 0
		.amdhsa_user_sgpr_kernarg_segment_ptr 1
		.amdhsa_user_sgpr_dispatch_id 0
		.amdhsa_user_sgpr_kernarg_preload_length 0
		.amdhsa_user_sgpr_kernarg_preload_offset 0
		.amdhsa_user_sgpr_private_segment_size 0
		.amdhsa_uses_dynamic_stack 0
		.amdhsa_enable_private_segment 0
		.amdhsa_system_sgpr_workgroup_id_x 1
		.amdhsa_system_sgpr_workgroup_id_y 0
		.amdhsa_system_sgpr_workgroup_id_z 0
		.amdhsa_system_sgpr_workgroup_info 0
		.amdhsa_system_vgpr_workitem_id 0
		.amdhsa_next_free_vgpr 6
		.amdhsa_next_free_sgpr 8
		.amdhsa_accum_offset 8
		.amdhsa_reserve_vcc 1
		.amdhsa_float_round_mode_32 0
		.amdhsa_float_round_mode_16_64 0
		.amdhsa_float_denorm_mode_32 3
		.amdhsa_float_denorm_mode_16_64 3
		.amdhsa_dx10_clamp 1
		.amdhsa_ieee_mode 1
		.amdhsa_fp16_overflow 0
		.amdhsa_tg_split 0
		.amdhsa_exception_fp_ieee_invalid_op 0
		.amdhsa_exception_fp_denorm_src 0
		.amdhsa_exception_fp_ieee_div_zero 0
		.amdhsa_exception_fp_ieee_overflow 0
		.amdhsa_exception_fp_ieee_underflow 0
		.amdhsa_exception_fp_ieee_inexact 0
		.amdhsa_exception_int_div_zero 0
	.end_amdhsa_kernel
	.section	.text._ZN6thrust23THRUST_200600_302600_NS11hip_rocprim14__parallel_for6kernelILj256ENS1_10for_each_fINS0_10device_ptrI14custom_numericEENS0_6detail16wrapped_functionINS8_23allocator_traits_detail24construct1_via_allocatorINS0_16device_allocatorIS6_EEEEvEEEEmLj1EEEvT0_T1_SI_,"axG",@progbits,_ZN6thrust23THRUST_200600_302600_NS11hip_rocprim14__parallel_for6kernelILj256ENS1_10for_each_fINS0_10device_ptrI14custom_numericEENS0_6detail16wrapped_functionINS8_23allocator_traits_detail24construct1_via_allocatorINS0_16device_allocatorIS6_EEEEvEEEEmLj1EEEvT0_T1_SI_,comdat
.Lfunc_end203:
	.size	_ZN6thrust23THRUST_200600_302600_NS11hip_rocprim14__parallel_for6kernelILj256ENS1_10for_each_fINS0_10device_ptrI14custom_numericEENS0_6detail16wrapped_functionINS8_23allocator_traits_detail24construct1_via_allocatorINS0_16device_allocatorIS6_EEEEvEEEEmLj1EEEvT0_T1_SI_, .Lfunc_end203-_ZN6thrust23THRUST_200600_302600_NS11hip_rocprim14__parallel_for6kernelILj256ENS1_10for_each_fINS0_10device_ptrI14custom_numericEENS0_6detail16wrapped_functionINS8_23allocator_traits_detail24construct1_via_allocatorINS0_16device_allocatorIS6_EEEEvEEEEmLj1EEEvT0_T1_SI_
                                        ; -- End function
	.section	.AMDGPU.csdata,"",@progbits
; Kernel info:
; codeLenInByte = 164
; NumSgprs: 14
; NumVgprs: 6
; NumAgprs: 0
; TotalNumVgprs: 6
; ScratchSize: 0
; MemoryBound: 0
; FloatMode: 240
; IeeeMode: 1
; LDSByteSize: 0 bytes/workgroup (compile time only)
; SGPRBlocks: 1
; VGPRBlocks: 0
; NumSGPRsForWavesPerEU: 14
; NumVGPRsForWavesPerEU: 6
; AccumOffset: 8
; Occupancy: 8
; WaveLimiterHint : 0
; COMPUTE_PGM_RSRC2:SCRATCH_EN: 0
; COMPUTE_PGM_RSRC2:USER_SGPR: 2
; COMPUTE_PGM_RSRC2:TRAP_HANDLER: 0
; COMPUTE_PGM_RSRC2:TGID_X_EN: 1
; COMPUTE_PGM_RSRC2:TGID_Y_EN: 0
; COMPUTE_PGM_RSRC2:TGID_Z_EN: 0
; COMPUTE_PGM_RSRC2:TIDIG_COMP_CNT: 0
; COMPUTE_PGM_RSRC3_GFX90A:ACCUM_OFFSET: 1
; COMPUTE_PGM_RSRC3_GFX90A:TG_SPLIT: 0
	.section	.text._ZN6thrust23THRUST_200600_302600_NS11hip_rocprim14__parallel_for6kernelILj256ENS1_10for_each_fINS0_10device_ptrI14custom_numericEENS0_6detail16wrapped_functionINS8_23allocator_traits_detail5gozerEvEEEElLj1EEEvT0_T1_SF_,"axG",@progbits,_ZN6thrust23THRUST_200600_302600_NS11hip_rocprim14__parallel_for6kernelILj256ENS1_10for_each_fINS0_10device_ptrI14custom_numericEENS0_6detail16wrapped_functionINS8_23allocator_traits_detail5gozerEvEEEElLj1EEEvT0_T1_SF_,comdat
	.protected	_ZN6thrust23THRUST_200600_302600_NS11hip_rocprim14__parallel_for6kernelILj256ENS1_10for_each_fINS0_10device_ptrI14custom_numericEENS0_6detail16wrapped_functionINS8_23allocator_traits_detail5gozerEvEEEElLj1EEEvT0_T1_SF_ ; -- Begin function _ZN6thrust23THRUST_200600_302600_NS11hip_rocprim14__parallel_for6kernelILj256ENS1_10for_each_fINS0_10device_ptrI14custom_numericEENS0_6detail16wrapped_functionINS8_23allocator_traits_detail5gozerEvEEEElLj1EEEvT0_T1_SF_
	.globl	_ZN6thrust23THRUST_200600_302600_NS11hip_rocprim14__parallel_for6kernelILj256ENS1_10for_each_fINS0_10device_ptrI14custom_numericEENS0_6detail16wrapped_functionINS8_23allocator_traits_detail5gozerEvEEEElLj1EEEvT0_T1_SF_
	.p2align	8
	.type	_ZN6thrust23THRUST_200600_302600_NS11hip_rocprim14__parallel_for6kernelILj256ENS1_10for_each_fINS0_10device_ptrI14custom_numericEENS0_6detail16wrapped_functionINS8_23allocator_traits_detail5gozerEvEEEElLj1EEEvT0_T1_SF_,@function
_ZN6thrust23THRUST_200600_302600_NS11hip_rocprim14__parallel_for6kernelILj256ENS1_10for_each_fINS0_10device_ptrI14custom_numericEENS0_6detail16wrapped_functionINS8_23allocator_traits_detail5gozerEvEEEElLj1EEEvT0_T1_SF_: ; @_ZN6thrust23THRUST_200600_302600_NS11hip_rocprim14__parallel_for6kernelILj256ENS1_10for_each_fINS0_10device_ptrI14custom_numericEENS0_6detail16wrapped_functionINS8_23allocator_traits_detail5gozerEvEEEElLj1EEEvT0_T1_SF_
; %bb.0:
	s_endpgm
	.section	.rodata,"a",@progbits
	.p2align	6, 0x0
	.amdhsa_kernel _ZN6thrust23THRUST_200600_302600_NS11hip_rocprim14__parallel_for6kernelILj256ENS1_10for_each_fINS0_10device_ptrI14custom_numericEENS0_6detail16wrapped_functionINS8_23allocator_traits_detail5gozerEvEEEElLj1EEEvT0_T1_SF_
		.amdhsa_group_segment_fixed_size 0
		.amdhsa_private_segment_fixed_size 0
		.amdhsa_kernarg_size 32
		.amdhsa_user_sgpr_count 2
		.amdhsa_user_sgpr_dispatch_ptr 0
		.amdhsa_user_sgpr_queue_ptr 0
		.amdhsa_user_sgpr_kernarg_segment_ptr 1
		.amdhsa_user_sgpr_dispatch_id 0
		.amdhsa_user_sgpr_kernarg_preload_length 0
		.amdhsa_user_sgpr_kernarg_preload_offset 0
		.amdhsa_user_sgpr_private_segment_size 0
		.amdhsa_uses_dynamic_stack 0
		.amdhsa_enable_private_segment 0
		.amdhsa_system_sgpr_workgroup_id_x 1
		.amdhsa_system_sgpr_workgroup_id_y 0
		.amdhsa_system_sgpr_workgroup_id_z 0
		.amdhsa_system_sgpr_workgroup_info 0
		.amdhsa_system_vgpr_workitem_id 0
		.amdhsa_next_free_vgpr 1
		.amdhsa_next_free_sgpr 0
		.amdhsa_accum_offset 4
		.amdhsa_reserve_vcc 0
		.amdhsa_float_round_mode_32 0
		.amdhsa_float_round_mode_16_64 0
		.amdhsa_float_denorm_mode_32 3
		.amdhsa_float_denorm_mode_16_64 3
		.amdhsa_dx10_clamp 1
		.amdhsa_ieee_mode 1
		.amdhsa_fp16_overflow 0
		.amdhsa_tg_split 0
		.amdhsa_exception_fp_ieee_invalid_op 0
		.amdhsa_exception_fp_denorm_src 0
		.amdhsa_exception_fp_ieee_div_zero 0
		.amdhsa_exception_fp_ieee_overflow 0
		.amdhsa_exception_fp_ieee_underflow 0
		.amdhsa_exception_fp_ieee_inexact 0
		.amdhsa_exception_int_div_zero 0
	.end_amdhsa_kernel
	.section	.text._ZN6thrust23THRUST_200600_302600_NS11hip_rocprim14__parallel_for6kernelILj256ENS1_10for_each_fINS0_10device_ptrI14custom_numericEENS0_6detail16wrapped_functionINS8_23allocator_traits_detail5gozerEvEEEElLj1EEEvT0_T1_SF_,"axG",@progbits,_ZN6thrust23THRUST_200600_302600_NS11hip_rocprim14__parallel_for6kernelILj256ENS1_10for_each_fINS0_10device_ptrI14custom_numericEENS0_6detail16wrapped_functionINS8_23allocator_traits_detail5gozerEvEEEElLj1EEEvT0_T1_SF_,comdat
.Lfunc_end204:
	.size	_ZN6thrust23THRUST_200600_302600_NS11hip_rocprim14__parallel_for6kernelILj256ENS1_10for_each_fINS0_10device_ptrI14custom_numericEENS0_6detail16wrapped_functionINS8_23allocator_traits_detail5gozerEvEEEElLj1EEEvT0_T1_SF_, .Lfunc_end204-_ZN6thrust23THRUST_200600_302600_NS11hip_rocprim14__parallel_for6kernelILj256ENS1_10for_each_fINS0_10device_ptrI14custom_numericEENS0_6detail16wrapped_functionINS8_23allocator_traits_detail5gozerEvEEEElLj1EEEvT0_T1_SF_
                                        ; -- End function
	.section	.AMDGPU.csdata,"",@progbits
; Kernel info:
; codeLenInByte = 4
; NumSgprs: 6
; NumVgprs: 0
; NumAgprs: 0
; TotalNumVgprs: 0
; ScratchSize: 0
; MemoryBound: 0
; FloatMode: 240
; IeeeMode: 1
; LDSByteSize: 0 bytes/workgroup (compile time only)
; SGPRBlocks: 0
; VGPRBlocks: 0
; NumSGPRsForWavesPerEU: 6
; NumVGPRsForWavesPerEU: 1
; AccumOffset: 4
; Occupancy: 8
; WaveLimiterHint : 0
; COMPUTE_PGM_RSRC2:SCRATCH_EN: 0
; COMPUTE_PGM_RSRC2:USER_SGPR: 2
; COMPUTE_PGM_RSRC2:TRAP_HANDLER: 0
; COMPUTE_PGM_RSRC2:TGID_X_EN: 1
; COMPUTE_PGM_RSRC2:TGID_Y_EN: 0
; COMPUTE_PGM_RSRC2:TGID_Z_EN: 0
; COMPUTE_PGM_RSRC2:TIDIG_COMP_CNT: 0
; COMPUTE_PGM_RSRC3_GFX90A:ACCUM_OFFSET: 0
; COMPUTE_PGM_RSRC3_GFX90A:TG_SPLIT: 0
	.section	.text._ZN6thrust23THRUST_200600_302600_NS11hip_rocprim14__parallel_for6kernelILj256ENS1_10for_each_fINS0_7pointerI14custom_numericNS1_3tagENS0_11use_defaultES8_EENS0_6detail16wrapped_functionINSA_23allocator_traits_detail24construct1_via_allocatorINSA_18no_throw_allocatorINSA_19temporary_allocatorIS6_S7_EEEEEEvEEEEmLj1EEEvT0_T1_SM_,"axG",@progbits,_ZN6thrust23THRUST_200600_302600_NS11hip_rocprim14__parallel_for6kernelILj256ENS1_10for_each_fINS0_7pointerI14custom_numericNS1_3tagENS0_11use_defaultES8_EENS0_6detail16wrapped_functionINSA_23allocator_traits_detail24construct1_via_allocatorINSA_18no_throw_allocatorINSA_19temporary_allocatorIS6_S7_EEEEEEvEEEEmLj1EEEvT0_T1_SM_,comdat
	.protected	_ZN6thrust23THRUST_200600_302600_NS11hip_rocprim14__parallel_for6kernelILj256ENS1_10for_each_fINS0_7pointerI14custom_numericNS1_3tagENS0_11use_defaultES8_EENS0_6detail16wrapped_functionINSA_23allocator_traits_detail24construct1_via_allocatorINSA_18no_throw_allocatorINSA_19temporary_allocatorIS6_S7_EEEEEEvEEEEmLj1EEEvT0_T1_SM_ ; -- Begin function _ZN6thrust23THRUST_200600_302600_NS11hip_rocprim14__parallel_for6kernelILj256ENS1_10for_each_fINS0_7pointerI14custom_numericNS1_3tagENS0_11use_defaultES8_EENS0_6detail16wrapped_functionINSA_23allocator_traits_detail24construct1_via_allocatorINSA_18no_throw_allocatorINSA_19temporary_allocatorIS6_S7_EEEEEEvEEEEmLj1EEEvT0_T1_SM_
	.globl	_ZN6thrust23THRUST_200600_302600_NS11hip_rocprim14__parallel_for6kernelILj256ENS1_10for_each_fINS0_7pointerI14custom_numericNS1_3tagENS0_11use_defaultES8_EENS0_6detail16wrapped_functionINSA_23allocator_traits_detail24construct1_via_allocatorINSA_18no_throw_allocatorINSA_19temporary_allocatorIS6_S7_EEEEEEvEEEEmLj1EEEvT0_T1_SM_
	.p2align	8
	.type	_ZN6thrust23THRUST_200600_302600_NS11hip_rocprim14__parallel_for6kernelILj256ENS1_10for_each_fINS0_7pointerI14custom_numericNS1_3tagENS0_11use_defaultES8_EENS0_6detail16wrapped_functionINSA_23allocator_traits_detail24construct1_via_allocatorINSA_18no_throw_allocatorINSA_19temporary_allocatorIS6_S7_EEEEEEvEEEEmLj1EEEvT0_T1_SM_,@function
_ZN6thrust23THRUST_200600_302600_NS11hip_rocprim14__parallel_for6kernelILj256ENS1_10for_each_fINS0_7pointerI14custom_numericNS1_3tagENS0_11use_defaultES8_EENS0_6detail16wrapped_functionINSA_23allocator_traits_detail24construct1_via_allocatorINSA_18no_throw_allocatorINSA_19temporary_allocatorIS6_S7_EEEEEEvEEEEmLj1EEEvT0_T1_SM_: ; @_ZN6thrust23THRUST_200600_302600_NS11hip_rocprim14__parallel_for6kernelILj256ENS1_10for_each_fINS0_7pointerI14custom_numericNS1_3tagENS0_11use_defaultES8_EENS0_6detail16wrapped_functionINSA_23allocator_traits_detail24construct1_via_allocatorINSA_18no_throw_allocatorINSA_19temporary_allocatorIS6_S7_EEEEEEvEEEEmLj1EEEvT0_T1_SM_
; %bb.0:
	s_load_dwordx4 s[4:7], s[0:1], 0x10
	s_lshl_b32 s2, s2, 8
	v_mov_b64_e32 v[2:3], 0x100
	s_waitcnt lgkmcnt(0)
	s_add_u32 s6, s2, s6
	s_addc_u32 s7, 0, s7
	s_sub_u32 s2, s4, s6
	s_subb_u32 s3, s5, s7
	v_cmp_lt_u64_e32 vcc, s[2:3], v[2:3]
	s_cbranch_vccz .LBB205_2
; %bb.1:
	v_cmp_gt_u32_e32 vcc, s2, v0
	s_and_b64 s[2:3], vcc, exec
	s_cbranch_execz .LBB205_3
	s_branch .LBB205_4
.LBB205_2:
	s_mov_b64 s[2:3], 0
.LBB205_3:
	s_or_b64 s[2:3], s[2:3], exec
.LBB205_4:
	s_and_saveexec_b64 s[4:5], s[2:3]
	s_cbranch_execnz .LBB205_6
; %bb.5:
	s_endpgm
.LBB205_6:
	s_load_dwordx2 s[0:1], s[0:1], 0x0
	s_mul_i32 s7, s7, 20
	s_mul_hi_u32 s2, s6, 20
	s_mul_i32 s6, s6, 20
	s_add_i32 s2, s2, s7
	s_waitcnt lgkmcnt(0)
	s_add_u32 s0, s0, s6
	s_addc_u32 s1, s1, s2
	v_mad_u64_u32 v[4:5], s[0:1], v0, 20, s[0:1]
	v_mov_b32_e32 v0, 0
	v_mov_b32_e32 v1, v0
	;; [unrolled: 1-line block ×4, first 2 shown]
	flat_store_dwordx4 v[4:5], v[0:3]
	flat_store_dword v[4:5], v0 offset:16
	s_endpgm
	.section	.rodata,"a",@progbits
	.p2align	6, 0x0
	.amdhsa_kernel _ZN6thrust23THRUST_200600_302600_NS11hip_rocprim14__parallel_for6kernelILj256ENS1_10for_each_fINS0_7pointerI14custom_numericNS1_3tagENS0_11use_defaultES8_EENS0_6detail16wrapped_functionINSA_23allocator_traits_detail24construct1_via_allocatorINSA_18no_throw_allocatorINSA_19temporary_allocatorIS6_S7_EEEEEEvEEEEmLj1EEEvT0_T1_SM_
		.amdhsa_group_segment_fixed_size 0
		.amdhsa_private_segment_fixed_size 0
		.amdhsa_kernarg_size 32
		.amdhsa_user_sgpr_count 2
		.amdhsa_user_sgpr_dispatch_ptr 0
		.amdhsa_user_sgpr_queue_ptr 0
		.amdhsa_user_sgpr_kernarg_segment_ptr 1
		.amdhsa_user_sgpr_dispatch_id 0
		.amdhsa_user_sgpr_kernarg_preload_length 0
		.amdhsa_user_sgpr_kernarg_preload_offset 0
		.amdhsa_user_sgpr_private_segment_size 0
		.amdhsa_uses_dynamic_stack 0
		.amdhsa_enable_private_segment 0
		.amdhsa_system_sgpr_workgroup_id_x 1
		.amdhsa_system_sgpr_workgroup_id_y 0
		.amdhsa_system_sgpr_workgroup_id_z 0
		.amdhsa_system_sgpr_workgroup_info 0
		.amdhsa_system_vgpr_workitem_id 0
		.amdhsa_next_free_vgpr 6
		.amdhsa_next_free_sgpr 8
		.amdhsa_accum_offset 8
		.amdhsa_reserve_vcc 1
		.amdhsa_float_round_mode_32 0
		.amdhsa_float_round_mode_16_64 0
		.amdhsa_float_denorm_mode_32 3
		.amdhsa_float_denorm_mode_16_64 3
		.amdhsa_dx10_clamp 1
		.amdhsa_ieee_mode 1
		.amdhsa_fp16_overflow 0
		.amdhsa_tg_split 0
		.amdhsa_exception_fp_ieee_invalid_op 0
		.amdhsa_exception_fp_denorm_src 0
		.amdhsa_exception_fp_ieee_div_zero 0
		.amdhsa_exception_fp_ieee_overflow 0
		.amdhsa_exception_fp_ieee_underflow 0
		.amdhsa_exception_fp_ieee_inexact 0
		.amdhsa_exception_int_div_zero 0
	.end_amdhsa_kernel
	.section	.text._ZN6thrust23THRUST_200600_302600_NS11hip_rocprim14__parallel_for6kernelILj256ENS1_10for_each_fINS0_7pointerI14custom_numericNS1_3tagENS0_11use_defaultES8_EENS0_6detail16wrapped_functionINSA_23allocator_traits_detail24construct1_via_allocatorINSA_18no_throw_allocatorINSA_19temporary_allocatorIS6_S7_EEEEEEvEEEEmLj1EEEvT0_T1_SM_,"axG",@progbits,_ZN6thrust23THRUST_200600_302600_NS11hip_rocprim14__parallel_for6kernelILj256ENS1_10for_each_fINS0_7pointerI14custom_numericNS1_3tagENS0_11use_defaultES8_EENS0_6detail16wrapped_functionINSA_23allocator_traits_detail24construct1_via_allocatorINSA_18no_throw_allocatorINSA_19temporary_allocatorIS6_S7_EEEEEEvEEEEmLj1EEEvT0_T1_SM_,comdat
.Lfunc_end205:
	.size	_ZN6thrust23THRUST_200600_302600_NS11hip_rocprim14__parallel_for6kernelILj256ENS1_10for_each_fINS0_7pointerI14custom_numericNS1_3tagENS0_11use_defaultES8_EENS0_6detail16wrapped_functionINSA_23allocator_traits_detail24construct1_via_allocatorINSA_18no_throw_allocatorINSA_19temporary_allocatorIS6_S7_EEEEEEvEEEEmLj1EEEvT0_T1_SM_, .Lfunc_end205-_ZN6thrust23THRUST_200600_302600_NS11hip_rocprim14__parallel_for6kernelILj256ENS1_10for_each_fINS0_7pointerI14custom_numericNS1_3tagENS0_11use_defaultES8_EENS0_6detail16wrapped_functionINSA_23allocator_traits_detail24construct1_via_allocatorINSA_18no_throw_allocatorINSA_19temporary_allocatorIS6_S7_EEEEEEvEEEEmLj1EEEvT0_T1_SM_
                                        ; -- End function
	.section	.AMDGPU.csdata,"",@progbits
; Kernel info:
; codeLenInByte = 164
; NumSgprs: 14
; NumVgprs: 6
; NumAgprs: 0
; TotalNumVgprs: 6
; ScratchSize: 0
; MemoryBound: 0
; FloatMode: 240
; IeeeMode: 1
; LDSByteSize: 0 bytes/workgroup (compile time only)
; SGPRBlocks: 1
; VGPRBlocks: 0
; NumSGPRsForWavesPerEU: 14
; NumVGPRsForWavesPerEU: 6
; AccumOffset: 8
; Occupancy: 8
; WaveLimiterHint : 0
; COMPUTE_PGM_RSRC2:SCRATCH_EN: 0
; COMPUTE_PGM_RSRC2:USER_SGPR: 2
; COMPUTE_PGM_RSRC2:TRAP_HANDLER: 0
; COMPUTE_PGM_RSRC2:TGID_X_EN: 1
; COMPUTE_PGM_RSRC2:TGID_Y_EN: 0
; COMPUTE_PGM_RSRC2:TGID_Z_EN: 0
; COMPUTE_PGM_RSRC2:TIDIG_COMP_CNT: 0
; COMPUTE_PGM_RSRC3_GFX90A:ACCUM_OFFSET: 1
; COMPUTE_PGM_RSRC3_GFX90A:TG_SPLIT: 0
	.section	.text._ZN6thrust23THRUST_200600_302600_NS11hip_rocprim14__parallel_for6kernelILj256ENS1_10for_each_fINS0_7pointerI14custom_numericNS1_3tagENS0_11use_defaultES8_EENS0_6detail16wrapped_functionINSA_23allocator_traits_detail5gozerEvEEEElLj1EEEvT0_T1_SH_,"axG",@progbits,_ZN6thrust23THRUST_200600_302600_NS11hip_rocprim14__parallel_for6kernelILj256ENS1_10for_each_fINS0_7pointerI14custom_numericNS1_3tagENS0_11use_defaultES8_EENS0_6detail16wrapped_functionINSA_23allocator_traits_detail5gozerEvEEEElLj1EEEvT0_T1_SH_,comdat
	.protected	_ZN6thrust23THRUST_200600_302600_NS11hip_rocprim14__parallel_for6kernelILj256ENS1_10for_each_fINS0_7pointerI14custom_numericNS1_3tagENS0_11use_defaultES8_EENS0_6detail16wrapped_functionINSA_23allocator_traits_detail5gozerEvEEEElLj1EEEvT0_T1_SH_ ; -- Begin function _ZN6thrust23THRUST_200600_302600_NS11hip_rocprim14__parallel_for6kernelILj256ENS1_10for_each_fINS0_7pointerI14custom_numericNS1_3tagENS0_11use_defaultES8_EENS0_6detail16wrapped_functionINSA_23allocator_traits_detail5gozerEvEEEElLj1EEEvT0_T1_SH_
	.globl	_ZN6thrust23THRUST_200600_302600_NS11hip_rocprim14__parallel_for6kernelILj256ENS1_10for_each_fINS0_7pointerI14custom_numericNS1_3tagENS0_11use_defaultES8_EENS0_6detail16wrapped_functionINSA_23allocator_traits_detail5gozerEvEEEElLj1EEEvT0_T1_SH_
	.p2align	8
	.type	_ZN6thrust23THRUST_200600_302600_NS11hip_rocprim14__parallel_for6kernelILj256ENS1_10for_each_fINS0_7pointerI14custom_numericNS1_3tagENS0_11use_defaultES8_EENS0_6detail16wrapped_functionINSA_23allocator_traits_detail5gozerEvEEEElLj1EEEvT0_T1_SH_,@function
_ZN6thrust23THRUST_200600_302600_NS11hip_rocprim14__parallel_for6kernelILj256ENS1_10for_each_fINS0_7pointerI14custom_numericNS1_3tagENS0_11use_defaultES8_EENS0_6detail16wrapped_functionINSA_23allocator_traits_detail5gozerEvEEEElLj1EEEvT0_T1_SH_: ; @_ZN6thrust23THRUST_200600_302600_NS11hip_rocprim14__parallel_for6kernelILj256ENS1_10for_each_fINS0_7pointerI14custom_numericNS1_3tagENS0_11use_defaultES8_EENS0_6detail16wrapped_functionINSA_23allocator_traits_detail5gozerEvEEEElLj1EEEvT0_T1_SH_
; %bb.0:
	s_endpgm
	.section	.rodata,"a",@progbits
	.p2align	6, 0x0
	.amdhsa_kernel _ZN6thrust23THRUST_200600_302600_NS11hip_rocprim14__parallel_for6kernelILj256ENS1_10for_each_fINS0_7pointerI14custom_numericNS1_3tagENS0_11use_defaultES8_EENS0_6detail16wrapped_functionINSA_23allocator_traits_detail5gozerEvEEEElLj1EEEvT0_T1_SH_
		.amdhsa_group_segment_fixed_size 0
		.amdhsa_private_segment_fixed_size 0
		.amdhsa_kernarg_size 32
		.amdhsa_user_sgpr_count 2
		.amdhsa_user_sgpr_dispatch_ptr 0
		.amdhsa_user_sgpr_queue_ptr 0
		.amdhsa_user_sgpr_kernarg_segment_ptr 1
		.amdhsa_user_sgpr_dispatch_id 0
		.amdhsa_user_sgpr_kernarg_preload_length 0
		.amdhsa_user_sgpr_kernarg_preload_offset 0
		.amdhsa_user_sgpr_private_segment_size 0
		.amdhsa_uses_dynamic_stack 0
		.amdhsa_enable_private_segment 0
		.amdhsa_system_sgpr_workgroup_id_x 1
		.amdhsa_system_sgpr_workgroup_id_y 0
		.amdhsa_system_sgpr_workgroup_id_z 0
		.amdhsa_system_sgpr_workgroup_info 0
		.amdhsa_system_vgpr_workitem_id 0
		.amdhsa_next_free_vgpr 1
		.amdhsa_next_free_sgpr 0
		.amdhsa_accum_offset 4
		.amdhsa_reserve_vcc 0
		.amdhsa_float_round_mode_32 0
		.amdhsa_float_round_mode_16_64 0
		.amdhsa_float_denorm_mode_32 3
		.amdhsa_float_denorm_mode_16_64 3
		.amdhsa_dx10_clamp 1
		.amdhsa_ieee_mode 1
		.amdhsa_fp16_overflow 0
		.amdhsa_tg_split 0
		.amdhsa_exception_fp_ieee_invalid_op 0
		.amdhsa_exception_fp_denorm_src 0
		.amdhsa_exception_fp_ieee_div_zero 0
		.amdhsa_exception_fp_ieee_overflow 0
		.amdhsa_exception_fp_ieee_underflow 0
		.amdhsa_exception_fp_ieee_inexact 0
		.amdhsa_exception_int_div_zero 0
	.end_amdhsa_kernel
	.section	.text._ZN6thrust23THRUST_200600_302600_NS11hip_rocprim14__parallel_for6kernelILj256ENS1_10for_each_fINS0_7pointerI14custom_numericNS1_3tagENS0_11use_defaultES8_EENS0_6detail16wrapped_functionINSA_23allocator_traits_detail5gozerEvEEEElLj1EEEvT0_T1_SH_,"axG",@progbits,_ZN6thrust23THRUST_200600_302600_NS11hip_rocprim14__parallel_for6kernelILj256ENS1_10for_each_fINS0_7pointerI14custom_numericNS1_3tagENS0_11use_defaultES8_EENS0_6detail16wrapped_functionINSA_23allocator_traits_detail5gozerEvEEEElLj1EEEvT0_T1_SH_,comdat
.Lfunc_end206:
	.size	_ZN6thrust23THRUST_200600_302600_NS11hip_rocprim14__parallel_for6kernelILj256ENS1_10for_each_fINS0_7pointerI14custom_numericNS1_3tagENS0_11use_defaultES8_EENS0_6detail16wrapped_functionINSA_23allocator_traits_detail5gozerEvEEEElLj1EEEvT0_T1_SH_, .Lfunc_end206-_ZN6thrust23THRUST_200600_302600_NS11hip_rocprim14__parallel_for6kernelILj256ENS1_10for_each_fINS0_7pointerI14custom_numericNS1_3tagENS0_11use_defaultES8_EENS0_6detail16wrapped_functionINSA_23allocator_traits_detail5gozerEvEEEElLj1EEEvT0_T1_SH_
                                        ; -- End function
	.section	.AMDGPU.csdata,"",@progbits
; Kernel info:
; codeLenInByte = 4
; NumSgprs: 6
; NumVgprs: 0
; NumAgprs: 0
; TotalNumVgprs: 0
; ScratchSize: 0
; MemoryBound: 0
; FloatMode: 240
; IeeeMode: 1
; LDSByteSize: 0 bytes/workgroup (compile time only)
; SGPRBlocks: 0
; VGPRBlocks: 0
; NumSGPRsForWavesPerEU: 6
; NumVGPRsForWavesPerEU: 1
; AccumOffset: 4
; Occupancy: 8
; WaveLimiterHint : 0
; COMPUTE_PGM_RSRC2:SCRATCH_EN: 0
; COMPUTE_PGM_RSRC2:USER_SGPR: 2
; COMPUTE_PGM_RSRC2:TRAP_HANDLER: 0
; COMPUTE_PGM_RSRC2:TGID_X_EN: 1
; COMPUTE_PGM_RSRC2:TGID_Y_EN: 0
; COMPUTE_PGM_RSRC2:TGID_Z_EN: 0
; COMPUTE_PGM_RSRC2:TIDIG_COMP_CNT: 0
; COMPUTE_PGM_RSRC3_GFX90A:ACCUM_OFFSET: 0
; COMPUTE_PGM_RSRC3_GFX90A:TG_SPLIT: 0
	.section	.text._ZN6thrust23THRUST_200600_302600_NS11hip_rocprim14__parallel_for6kernelILj256ENS1_11__transform17unary_transform_fINS0_7pointerI14custom_numericNS1_3tagENS0_11use_defaultES9_EENS0_10device_ptrIS7_EENS4_14no_stencil_tagENS0_8identityIS7_EENS4_21always_true_predicateEEElLj1EEEvT0_T1_SJ_,"axG",@progbits,_ZN6thrust23THRUST_200600_302600_NS11hip_rocprim14__parallel_for6kernelILj256ENS1_11__transform17unary_transform_fINS0_7pointerI14custom_numericNS1_3tagENS0_11use_defaultES9_EENS0_10device_ptrIS7_EENS4_14no_stencil_tagENS0_8identityIS7_EENS4_21always_true_predicateEEElLj1EEEvT0_T1_SJ_,comdat
	.protected	_ZN6thrust23THRUST_200600_302600_NS11hip_rocprim14__parallel_for6kernelILj256ENS1_11__transform17unary_transform_fINS0_7pointerI14custom_numericNS1_3tagENS0_11use_defaultES9_EENS0_10device_ptrIS7_EENS4_14no_stencil_tagENS0_8identityIS7_EENS4_21always_true_predicateEEElLj1EEEvT0_T1_SJ_ ; -- Begin function _ZN6thrust23THRUST_200600_302600_NS11hip_rocprim14__parallel_for6kernelILj256ENS1_11__transform17unary_transform_fINS0_7pointerI14custom_numericNS1_3tagENS0_11use_defaultES9_EENS0_10device_ptrIS7_EENS4_14no_stencil_tagENS0_8identityIS7_EENS4_21always_true_predicateEEElLj1EEEvT0_T1_SJ_
	.globl	_ZN6thrust23THRUST_200600_302600_NS11hip_rocprim14__parallel_for6kernelILj256ENS1_11__transform17unary_transform_fINS0_7pointerI14custom_numericNS1_3tagENS0_11use_defaultES9_EENS0_10device_ptrIS7_EENS4_14no_stencil_tagENS0_8identityIS7_EENS4_21always_true_predicateEEElLj1EEEvT0_T1_SJ_
	.p2align	8
	.type	_ZN6thrust23THRUST_200600_302600_NS11hip_rocprim14__parallel_for6kernelILj256ENS1_11__transform17unary_transform_fINS0_7pointerI14custom_numericNS1_3tagENS0_11use_defaultES9_EENS0_10device_ptrIS7_EENS4_14no_stencil_tagENS0_8identityIS7_EENS4_21always_true_predicateEEElLj1EEEvT0_T1_SJ_,@function
_ZN6thrust23THRUST_200600_302600_NS11hip_rocprim14__parallel_for6kernelILj256ENS1_11__transform17unary_transform_fINS0_7pointerI14custom_numericNS1_3tagENS0_11use_defaultES9_EENS0_10device_ptrIS7_EENS4_14no_stencil_tagENS0_8identityIS7_EENS4_21always_true_predicateEEElLj1EEEvT0_T1_SJ_: ; @_ZN6thrust23THRUST_200600_302600_NS11hip_rocprim14__parallel_for6kernelILj256ENS1_11__transform17unary_transform_fINS0_7pointerI14custom_numericNS1_3tagENS0_11use_defaultES9_EENS0_10device_ptrIS7_EENS4_14no_stencil_tagENS0_8identityIS7_EENS4_21always_true_predicateEEElLj1EEEvT0_T1_SJ_
; %bb.0:
	s_load_dwordx4 s[4:7], s[0:1], 0x18
	s_lshl_b32 s2, s2, 8
	v_mov_b64_e32 v[2:3], 0x100
	s_waitcnt lgkmcnt(0)
	s_add_u32 s2, s2, s6
	s_addc_u32 s3, 0, s7
	s_sub_u32 s4, s4, s2
	s_subb_u32 s5, s5, s3
	v_cmp_lt_i64_e32 vcc, s[4:5], v[2:3]
	s_and_b64 s[6:7], vcc, exec
	s_cselect_b32 s6, s4, 0x100
	s_cmpk_eq_i32 s6, 0x100
	s_cselect_b64 s[4:5], -1, 0
	v_cmp_gt_u32_e32 vcc, s6, v0
	s_or_b64 s[4:5], s[4:5], vcc
	s_and_saveexec_b64 s[6:7], s[4:5]
	s_cbranch_execz .LBB207_2
; %bb.1:
	s_load_dwordx4 s[4:7], s[0:1], 0x0
	v_mov_b32_e32 v1, 0
	v_lshl_add_u64 v[2:3], s[2:3], 0, v[0:1]
	v_mul_lo_u32 v3, v3, 20
	s_waitcnt lgkmcnt(0)
	v_mov_b32_e32 v0, s4
	v_mov_b32_e32 v1, s5
	v_mad_u64_u32 v[0:1], s[0:1], v2, 20, v[0:1]
	v_add_u32_e32 v1, v3, v1
	flat_load_dword v0, v[0:1]
	v_mov_b32_e32 v4, s6
	v_mov_b32_e32 v5, s7
	v_mad_u64_u32 v[4:5], s[0:1], v2, 20, v[4:5]
	v_add_u32_e32 v5, v3, v5
	s_waitcnt vmcnt(0) lgkmcnt(0)
	v_mov_b32_e32 v1, v0
	v_mov_b32_e32 v2, v0
	;; [unrolled: 1-line block ×3, first 2 shown]
	flat_store_dwordx4 v[4:5], v[0:3]
	flat_store_dword v[4:5], v0 offset:16
.LBB207_2:
	s_endpgm
	.section	.rodata,"a",@progbits
	.p2align	6, 0x0
	.amdhsa_kernel _ZN6thrust23THRUST_200600_302600_NS11hip_rocprim14__parallel_for6kernelILj256ENS1_11__transform17unary_transform_fINS0_7pointerI14custom_numericNS1_3tagENS0_11use_defaultES9_EENS0_10device_ptrIS7_EENS4_14no_stencil_tagENS0_8identityIS7_EENS4_21always_true_predicateEEElLj1EEEvT0_T1_SJ_
		.amdhsa_group_segment_fixed_size 0
		.amdhsa_private_segment_fixed_size 0
		.amdhsa_kernarg_size 40
		.amdhsa_user_sgpr_count 2
		.amdhsa_user_sgpr_dispatch_ptr 0
		.amdhsa_user_sgpr_queue_ptr 0
		.amdhsa_user_sgpr_kernarg_segment_ptr 1
		.amdhsa_user_sgpr_dispatch_id 0
		.amdhsa_user_sgpr_kernarg_preload_length 0
		.amdhsa_user_sgpr_kernarg_preload_offset 0
		.amdhsa_user_sgpr_private_segment_size 0
		.amdhsa_uses_dynamic_stack 0
		.amdhsa_enable_private_segment 0
		.amdhsa_system_sgpr_workgroup_id_x 1
		.amdhsa_system_sgpr_workgroup_id_y 0
		.amdhsa_system_sgpr_workgroup_id_z 0
		.amdhsa_system_sgpr_workgroup_info 0
		.amdhsa_system_vgpr_workitem_id 0
		.amdhsa_next_free_vgpr 6
		.amdhsa_next_free_sgpr 8
		.amdhsa_accum_offset 8
		.amdhsa_reserve_vcc 1
		.amdhsa_float_round_mode_32 0
		.amdhsa_float_round_mode_16_64 0
		.amdhsa_float_denorm_mode_32 3
		.amdhsa_float_denorm_mode_16_64 3
		.amdhsa_dx10_clamp 1
		.amdhsa_ieee_mode 1
		.amdhsa_fp16_overflow 0
		.amdhsa_tg_split 0
		.amdhsa_exception_fp_ieee_invalid_op 0
		.amdhsa_exception_fp_denorm_src 0
		.amdhsa_exception_fp_ieee_div_zero 0
		.amdhsa_exception_fp_ieee_overflow 0
		.amdhsa_exception_fp_ieee_underflow 0
		.amdhsa_exception_fp_ieee_inexact 0
		.amdhsa_exception_int_div_zero 0
	.end_amdhsa_kernel
	.section	.text._ZN6thrust23THRUST_200600_302600_NS11hip_rocprim14__parallel_for6kernelILj256ENS1_11__transform17unary_transform_fINS0_7pointerI14custom_numericNS1_3tagENS0_11use_defaultES9_EENS0_10device_ptrIS7_EENS4_14no_stencil_tagENS0_8identityIS7_EENS4_21always_true_predicateEEElLj1EEEvT0_T1_SJ_,"axG",@progbits,_ZN6thrust23THRUST_200600_302600_NS11hip_rocprim14__parallel_for6kernelILj256ENS1_11__transform17unary_transform_fINS0_7pointerI14custom_numericNS1_3tagENS0_11use_defaultES9_EENS0_10device_ptrIS7_EENS4_14no_stencil_tagENS0_8identityIS7_EENS4_21always_true_predicateEEElLj1EEEvT0_T1_SJ_,comdat
.Lfunc_end207:
	.size	_ZN6thrust23THRUST_200600_302600_NS11hip_rocprim14__parallel_for6kernelILj256ENS1_11__transform17unary_transform_fINS0_7pointerI14custom_numericNS1_3tagENS0_11use_defaultES9_EENS0_10device_ptrIS7_EENS4_14no_stencil_tagENS0_8identityIS7_EENS4_21always_true_predicateEEElLj1EEEvT0_T1_SJ_, .Lfunc_end207-_ZN6thrust23THRUST_200600_302600_NS11hip_rocprim14__parallel_for6kernelILj256ENS1_11__transform17unary_transform_fINS0_7pointerI14custom_numericNS1_3tagENS0_11use_defaultES9_EENS0_10device_ptrIS7_EENS4_14no_stencil_tagENS0_8identityIS7_EENS4_21always_true_predicateEEElLj1EEEvT0_T1_SJ_
                                        ; -- End function
	.section	.AMDGPU.csdata,"",@progbits
; Kernel info:
; codeLenInByte = 196
; NumSgprs: 14
; NumVgprs: 6
; NumAgprs: 0
; TotalNumVgprs: 6
; ScratchSize: 0
; MemoryBound: 0
; FloatMode: 240
; IeeeMode: 1
; LDSByteSize: 0 bytes/workgroup (compile time only)
; SGPRBlocks: 1
; VGPRBlocks: 0
; NumSGPRsForWavesPerEU: 14
; NumVGPRsForWavesPerEU: 6
; AccumOffset: 8
; Occupancy: 8
; WaveLimiterHint : 0
; COMPUTE_PGM_RSRC2:SCRATCH_EN: 0
; COMPUTE_PGM_RSRC2:USER_SGPR: 2
; COMPUTE_PGM_RSRC2:TRAP_HANDLER: 0
; COMPUTE_PGM_RSRC2:TGID_X_EN: 1
; COMPUTE_PGM_RSRC2:TGID_Y_EN: 0
; COMPUTE_PGM_RSRC2:TGID_Z_EN: 0
; COMPUTE_PGM_RSRC2:TIDIG_COMP_CNT: 0
; COMPUTE_PGM_RSRC3_GFX90A:ACCUM_OFFSET: 1
; COMPUTE_PGM_RSRC3_GFX90A:TG_SPLIT: 0
	.section	.text._ZN6thrust23THRUST_200600_302600_NS11hip_rocprim14__parallel_for6kernelILj256ENS1_20__uninitialized_copy7functorINS0_7pointerI14custom_numericNS1_3tagENS0_11use_defaultES9_EESA_EEmLj1EEEvT0_T1_SD_,"axG",@progbits,_ZN6thrust23THRUST_200600_302600_NS11hip_rocprim14__parallel_for6kernelILj256ENS1_20__uninitialized_copy7functorINS0_7pointerI14custom_numericNS1_3tagENS0_11use_defaultES9_EESA_EEmLj1EEEvT0_T1_SD_,comdat
	.protected	_ZN6thrust23THRUST_200600_302600_NS11hip_rocprim14__parallel_for6kernelILj256ENS1_20__uninitialized_copy7functorINS0_7pointerI14custom_numericNS1_3tagENS0_11use_defaultES9_EESA_EEmLj1EEEvT0_T1_SD_ ; -- Begin function _ZN6thrust23THRUST_200600_302600_NS11hip_rocprim14__parallel_for6kernelILj256ENS1_20__uninitialized_copy7functorINS0_7pointerI14custom_numericNS1_3tagENS0_11use_defaultES9_EESA_EEmLj1EEEvT0_T1_SD_
	.globl	_ZN6thrust23THRUST_200600_302600_NS11hip_rocprim14__parallel_for6kernelILj256ENS1_20__uninitialized_copy7functorINS0_7pointerI14custom_numericNS1_3tagENS0_11use_defaultES9_EESA_EEmLj1EEEvT0_T1_SD_
	.p2align	8
	.type	_ZN6thrust23THRUST_200600_302600_NS11hip_rocprim14__parallel_for6kernelILj256ENS1_20__uninitialized_copy7functorINS0_7pointerI14custom_numericNS1_3tagENS0_11use_defaultES9_EESA_EEmLj1EEEvT0_T1_SD_,@function
_ZN6thrust23THRUST_200600_302600_NS11hip_rocprim14__parallel_for6kernelILj256ENS1_20__uninitialized_copy7functorINS0_7pointerI14custom_numericNS1_3tagENS0_11use_defaultES9_EESA_EEmLj1EEEvT0_T1_SD_: ; @_ZN6thrust23THRUST_200600_302600_NS11hip_rocprim14__parallel_for6kernelILj256ENS1_20__uninitialized_copy7functorINS0_7pointerI14custom_numericNS1_3tagENS0_11use_defaultES9_EESA_EEmLj1EEEvT0_T1_SD_
; %bb.0:
	s_load_dwordx8 s[4:11], s[0:1], 0x0
	s_lshl_b32 s0, s2, 8
	v_mov_b64_e32 v[2:3], 0x100
	s_waitcnt lgkmcnt(0)
	s_add_u32 s0, s0, s10
	s_addc_u32 s1, 0, s11
	s_sub_u32 s2, s8, s0
	s_subb_u32 s3, s9, s1
	v_cmp_lt_u64_e32 vcc, s[2:3], v[2:3]
	s_cbranch_vccz .LBB208_2
; %bb.1:
	v_cmp_gt_u32_e32 vcc, s2, v0
	s_and_b64 s[2:3], vcc, exec
	s_cbranch_execz .LBB208_3
	s_branch .LBB208_4
.LBB208_2:
	s_mov_b64 s[2:3], 0
.LBB208_3:
	s_or_b64 s[2:3], s[2:3], exec
.LBB208_4:
	s_and_saveexec_b64 s[8:9], s[2:3]
	s_cbranch_execnz .LBB208_6
; %bb.5:
	s_endpgm
.LBB208_6:
	v_mov_b32_e32 v1, 0
	v_mov_b32_e32 v2, s4
	;; [unrolled: 1-line block ×3, first 2 shown]
	v_lshl_add_u64 v[4:5], s[0:1], 0, v[0:1]
	v_mad_u64_u32 v[0:1], s[0:1], v4, 20, v[2:3]
	v_mul_lo_u32 v6, v5, 20
	v_add_u32_e32 v1, v6, v1
	flat_load_dword v0, v[0:1]
	v_mov_b32_e32 v2, s6
	v_mov_b32_e32 v3, s7
	v_mad_u64_u32 v[4:5], s[0:1], v4, 20, v[2:3]
	v_add_u32_e32 v5, v6, v5
	s_waitcnt vmcnt(0) lgkmcnt(0)
	v_mov_b32_e32 v1, v0
	v_mov_b32_e32 v2, v0
	;; [unrolled: 1-line block ×3, first 2 shown]
	flat_store_dwordx4 v[4:5], v[0:3]
	flat_store_dword v[4:5], v0 offset:16
	s_endpgm
	.section	.rodata,"a",@progbits
	.p2align	6, 0x0
	.amdhsa_kernel _ZN6thrust23THRUST_200600_302600_NS11hip_rocprim14__parallel_for6kernelILj256ENS1_20__uninitialized_copy7functorINS0_7pointerI14custom_numericNS1_3tagENS0_11use_defaultES9_EESA_EEmLj1EEEvT0_T1_SD_
		.amdhsa_group_segment_fixed_size 0
		.amdhsa_private_segment_fixed_size 0
		.amdhsa_kernarg_size 32
		.amdhsa_user_sgpr_count 2
		.amdhsa_user_sgpr_dispatch_ptr 0
		.amdhsa_user_sgpr_queue_ptr 0
		.amdhsa_user_sgpr_kernarg_segment_ptr 1
		.amdhsa_user_sgpr_dispatch_id 0
		.amdhsa_user_sgpr_kernarg_preload_length 0
		.amdhsa_user_sgpr_kernarg_preload_offset 0
		.amdhsa_user_sgpr_private_segment_size 0
		.amdhsa_uses_dynamic_stack 0
		.amdhsa_enable_private_segment 0
		.amdhsa_system_sgpr_workgroup_id_x 1
		.amdhsa_system_sgpr_workgroup_id_y 0
		.amdhsa_system_sgpr_workgroup_id_z 0
		.amdhsa_system_sgpr_workgroup_info 0
		.amdhsa_system_vgpr_workitem_id 0
		.amdhsa_next_free_vgpr 7
		.amdhsa_next_free_sgpr 12
		.amdhsa_accum_offset 8
		.amdhsa_reserve_vcc 1
		.amdhsa_float_round_mode_32 0
		.amdhsa_float_round_mode_16_64 0
		.amdhsa_float_denorm_mode_32 3
		.amdhsa_float_denorm_mode_16_64 3
		.amdhsa_dx10_clamp 1
		.amdhsa_ieee_mode 1
		.amdhsa_fp16_overflow 0
		.amdhsa_tg_split 0
		.amdhsa_exception_fp_ieee_invalid_op 0
		.amdhsa_exception_fp_denorm_src 0
		.amdhsa_exception_fp_ieee_div_zero 0
		.amdhsa_exception_fp_ieee_overflow 0
		.amdhsa_exception_fp_ieee_underflow 0
		.amdhsa_exception_fp_ieee_inexact 0
		.amdhsa_exception_int_div_zero 0
	.end_amdhsa_kernel
	.section	.text._ZN6thrust23THRUST_200600_302600_NS11hip_rocprim14__parallel_for6kernelILj256ENS1_20__uninitialized_copy7functorINS0_7pointerI14custom_numericNS1_3tagENS0_11use_defaultES9_EESA_EEmLj1EEEvT0_T1_SD_,"axG",@progbits,_ZN6thrust23THRUST_200600_302600_NS11hip_rocprim14__parallel_for6kernelILj256ENS1_20__uninitialized_copy7functorINS0_7pointerI14custom_numericNS1_3tagENS0_11use_defaultES9_EESA_EEmLj1EEEvT0_T1_SD_,comdat
.Lfunc_end208:
	.size	_ZN6thrust23THRUST_200600_302600_NS11hip_rocprim14__parallel_for6kernelILj256ENS1_20__uninitialized_copy7functorINS0_7pointerI14custom_numericNS1_3tagENS0_11use_defaultES9_EESA_EEmLj1EEEvT0_T1_SD_, .Lfunc_end208-_ZN6thrust23THRUST_200600_302600_NS11hip_rocprim14__parallel_for6kernelILj256ENS1_20__uninitialized_copy7functorINS0_7pointerI14custom_numericNS1_3tagENS0_11use_defaultES9_EESA_EEmLj1EEEvT0_T1_SD_
                                        ; -- End function
	.section	.AMDGPU.csdata,"",@progbits
; Kernel info:
; codeLenInByte = 188
; NumSgprs: 18
; NumVgprs: 7
; NumAgprs: 0
; TotalNumVgprs: 7
; ScratchSize: 0
; MemoryBound: 0
; FloatMode: 240
; IeeeMode: 1
; LDSByteSize: 0 bytes/workgroup (compile time only)
; SGPRBlocks: 2
; VGPRBlocks: 0
; NumSGPRsForWavesPerEU: 18
; NumVGPRsForWavesPerEU: 7
; AccumOffset: 8
; Occupancy: 8
; WaveLimiterHint : 0
; COMPUTE_PGM_RSRC2:SCRATCH_EN: 0
; COMPUTE_PGM_RSRC2:USER_SGPR: 2
; COMPUTE_PGM_RSRC2:TRAP_HANDLER: 0
; COMPUTE_PGM_RSRC2:TGID_X_EN: 1
; COMPUTE_PGM_RSRC2:TGID_Y_EN: 0
; COMPUTE_PGM_RSRC2:TGID_Z_EN: 0
; COMPUTE_PGM_RSRC2:TIDIG_COMP_CNT: 0
; COMPUTE_PGM_RSRC3_GFX90A:ACCUM_OFFSET: 1
; COMPUTE_PGM_RSRC3_GFX90A:TG_SPLIT: 0
	.section	.text._ZN7rocprim17ROCPRIM_400000_NS6detail17trampoline_kernelINS0_14default_configENS1_35adjacent_difference_config_selectorILb0E14custom_numericEEZNS1_24adjacent_difference_implIS3_Lb0ELb0EPS5_S8_N6thrust23THRUST_200600_302600_NS5minusIS5_EEEE10hipError_tPvRmT2_T3_mT4_P12ihipStream_tbEUlT_E_NS1_11comp_targetILNS1_3genE0ELNS1_11target_archE4294967295ELNS1_3gpuE0ELNS1_3repE0EEENS1_30default_config_static_selectorELNS0_4arch9wavefront6targetE1EEEvT1_,"axG",@progbits,_ZN7rocprim17ROCPRIM_400000_NS6detail17trampoline_kernelINS0_14default_configENS1_35adjacent_difference_config_selectorILb0E14custom_numericEEZNS1_24adjacent_difference_implIS3_Lb0ELb0EPS5_S8_N6thrust23THRUST_200600_302600_NS5minusIS5_EEEE10hipError_tPvRmT2_T3_mT4_P12ihipStream_tbEUlT_E_NS1_11comp_targetILNS1_3genE0ELNS1_11target_archE4294967295ELNS1_3gpuE0ELNS1_3repE0EEENS1_30default_config_static_selectorELNS0_4arch9wavefront6targetE1EEEvT1_,comdat
	.protected	_ZN7rocprim17ROCPRIM_400000_NS6detail17trampoline_kernelINS0_14default_configENS1_35adjacent_difference_config_selectorILb0E14custom_numericEEZNS1_24adjacent_difference_implIS3_Lb0ELb0EPS5_S8_N6thrust23THRUST_200600_302600_NS5minusIS5_EEEE10hipError_tPvRmT2_T3_mT4_P12ihipStream_tbEUlT_E_NS1_11comp_targetILNS1_3genE0ELNS1_11target_archE4294967295ELNS1_3gpuE0ELNS1_3repE0EEENS1_30default_config_static_selectorELNS0_4arch9wavefront6targetE1EEEvT1_ ; -- Begin function _ZN7rocprim17ROCPRIM_400000_NS6detail17trampoline_kernelINS0_14default_configENS1_35adjacent_difference_config_selectorILb0E14custom_numericEEZNS1_24adjacent_difference_implIS3_Lb0ELb0EPS5_S8_N6thrust23THRUST_200600_302600_NS5minusIS5_EEEE10hipError_tPvRmT2_T3_mT4_P12ihipStream_tbEUlT_E_NS1_11comp_targetILNS1_3genE0ELNS1_11target_archE4294967295ELNS1_3gpuE0ELNS1_3repE0EEENS1_30default_config_static_selectorELNS0_4arch9wavefront6targetE1EEEvT1_
	.globl	_ZN7rocprim17ROCPRIM_400000_NS6detail17trampoline_kernelINS0_14default_configENS1_35adjacent_difference_config_selectorILb0E14custom_numericEEZNS1_24adjacent_difference_implIS3_Lb0ELb0EPS5_S8_N6thrust23THRUST_200600_302600_NS5minusIS5_EEEE10hipError_tPvRmT2_T3_mT4_P12ihipStream_tbEUlT_E_NS1_11comp_targetILNS1_3genE0ELNS1_11target_archE4294967295ELNS1_3gpuE0ELNS1_3repE0EEENS1_30default_config_static_selectorELNS0_4arch9wavefront6targetE1EEEvT1_
	.p2align	8
	.type	_ZN7rocprim17ROCPRIM_400000_NS6detail17trampoline_kernelINS0_14default_configENS1_35adjacent_difference_config_selectorILb0E14custom_numericEEZNS1_24adjacent_difference_implIS3_Lb0ELb0EPS5_S8_N6thrust23THRUST_200600_302600_NS5minusIS5_EEEE10hipError_tPvRmT2_T3_mT4_P12ihipStream_tbEUlT_E_NS1_11comp_targetILNS1_3genE0ELNS1_11target_archE4294967295ELNS1_3gpuE0ELNS1_3repE0EEENS1_30default_config_static_selectorELNS0_4arch9wavefront6targetE1EEEvT1_,@function
_ZN7rocprim17ROCPRIM_400000_NS6detail17trampoline_kernelINS0_14default_configENS1_35adjacent_difference_config_selectorILb0E14custom_numericEEZNS1_24adjacent_difference_implIS3_Lb0ELb0EPS5_S8_N6thrust23THRUST_200600_302600_NS5minusIS5_EEEE10hipError_tPvRmT2_T3_mT4_P12ihipStream_tbEUlT_E_NS1_11comp_targetILNS1_3genE0ELNS1_11target_archE4294967295ELNS1_3gpuE0ELNS1_3repE0EEENS1_30default_config_static_selectorELNS0_4arch9wavefront6targetE1EEEvT1_: ; @_ZN7rocprim17ROCPRIM_400000_NS6detail17trampoline_kernelINS0_14default_configENS1_35adjacent_difference_config_selectorILb0E14custom_numericEEZNS1_24adjacent_difference_implIS3_Lb0ELb0EPS5_S8_N6thrust23THRUST_200600_302600_NS5minusIS5_EEEE10hipError_tPvRmT2_T3_mT4_P12ihipStream_tbEUlT_E_NS1_11comp_targetILNS1_3genE0ELNS1_11target_archE4294967295ELNS1_3gpuE0ELNS1_3repE0EEENS1_30default_config_static_selectorELNS0_4arch9wavefront6targetE1EEEvT1_
; %bb.0:
	.section	.rodata,"a",@progbits
	.p2align	6, 0x0
	.amdhsa_kernel _ZN7rocprim17ROCPRIM_400000_NS6detail17trampoline_kernelINS0_14default_configENS1_35adjacent_difference_config_selectorILb0E14custom_numericEEZNS1_24adjacent_difference_implIS3_Lb0ELb0EPS5_S8_N6thrust23THRUST_200600_302600_NS5minusIS5_EEEE10hipError_tPvRmT2_T3_mT4_P12ihipStream_tbEUlT_E_NS1_11comp_targetILNS1_3genE0ELNS1_11target_archE4294967295ELNS1_3gpuE0ELNS1_3repE0EEENS1_30default_config_static_selectorELNS0_4arch9wavefront6targetE1EEEvT1_
		.amdhsa_group_segment_fixed_size 0
		.amdhsa_private_segment_fixed_size 0
		.amdhsa_kernarg_size 56
		.amdhsa_user_sgpr_count 2
		.amdhsa_user_sgpr_dispatch_ptr 0
		.amdhsa_user_sgpr_queue_ptr 0
		.amdhsa_user_sgpr_kernarg_segment_ptr 1
		.amdhsa_user_sgpr_dispatch_id 0
		.amdhsa_user_sgpr_kernarg_preload_length 0
		.amdhsa_user_sgpr_kernarg_preload_offset 0
		.amdhsa_user_sgpr_private_segment_size 0
		.amdhsa_uses_dynamic_stack 0
		.amdhsa_enable_private_segment 0
		.amdhsa_system_sgpr_workgroup_id_x 1
		.amdhsa_system_sgpr_workgroup_id_y 0
		.amdhsa_system_sgpr_workgroup_id_z 0
		.amdhsa_system_sgpr_workgroup_info 0
		.amdhsa_system_vgpr_workitem_id 0
		.amdhsa_next_free_vgpr 1
		.amdhsa_next_free_sgpr 0
		.amdhsa_accum_offset 4
		.amdhsa_reserve_vcc 0
		.amdhsa_float_round_mode_32 0
		.amdhsa_float_round_mode_16_64 0
		.amdhsa_float_denorm_mode_32 3
		.amdhsa_float_denorm_mode_16_64 3
		.amdhsa_dx10_clamp 1
		.amdhsa_ieee_mode 1
		.amdhsa_fp16_overflow 0
		.amdhsa_tg_split 0
		.amdhsa_exception_fp_ieee_invalid_op 0
		.amdhsa_exception_fp_denorm_src 0
		.amdhsa_exception_fp_ieee_div_zero 0
		.amdhsa_exception_fp_ieee_overflow 0
		.amdhsa_exception_fp_ieee_underflow 0
		.amdhsa_exception_fp_ieee_inexact 0
		.amdhsa_exception_int_div_zero 0
	.end_amdhsa_kernel
	.section	.text._ZN7rocprim17ROCPRIM_400000_NS6detail17trampoline_kernelINS0_14default_configENS1_35adjacent_difference_config_selectorILb0E14custom_numericEEZNS1_24adjacent_difference_implIS3_Lb0ELb0EPS5_S8_N6thrust23THRUST_200600_302600_NS5minusIS5_EEEE10hipError_tPvRmT2_T3_mT4_P12ihipStream_tbEUlT_E_NS1_11comp_targetILNS1_3genE0ELNS1_11target_archE4294967295ELNS1_3gpuE0ELNS1_3repE0EEENS1_30default_config_static_selectorELNS0_4arch9wavefront6targetE1EEEvT1_,"axG",@progbits,_ZN7rocprim17ROCPRIM_400000_NS6detail17trampoline_kernelINS0_14default_configENS1_35adjacent_difference_config_selectorILb0E14custom_numericEEZNS1_24adjacent_difference_implIS3_Lb0ELb0EPS5_S8_N6thrust23THRUST_200600_302600_NS5minusIS5_EEEE10hipError_tPvRmT2_T3_mT4_P12ihipStream_tbEUlT_E_NS1_11comp_targetILNS1_3genE0ELNS1_11target_archE4294967295ELNS1_3gpuE0ELNS1_3repE0EEENS1_30default_config_static_selectorELNS0_4arch9wavefront6targetE1EEEvT1_,comdat
.Lfunc_end209:
	.size	_ZN7rocprim17ROCPRIM_400000_NS6detail17trampoline_kernelINS0_14default_configENS1_35adjacent_difference_config_selectorILb0E14custom_numericEEZNS1_24adjacent_difference_implIS3_Lb0ELb0EPS5_S8_N6thrust23THRUST_200600_302600_NS5minusIS5_EEEE10hipError_tPvRmT2_T3_mT4_P12ihipStream_tbEUlT_E_NS1_11comp_targetILNS1_3genE0ELNS1_11target_archE4294967295ELNS1_3gpuE0ELNS1_3repE0EEENS1_30default_config_static_selectorELNS0_4arch9wavefront6targetE1EEEvT1_, .Lfunc_end209-_ZN7rocprim17ROCPRIM_400000_NS6detail17trampoline_kernelINS0_14default_configENS1_35adjacent_difference_config_selectorILb0E14custom_numericEEZNS1_24adjacent_difference_implIS3_Lb0ELb0EPS5_S8_N6thrust23THRUST_200600_302600_NS5minusIS5_EEEE10hipError_tPvRmT2_T3_mT4_P12ihipStream_tbEUlT_E_NS1_11comp_targetILNS1_3genE0ELNS1_11target_archE4294967295ELNS1_3gpuE0ELNS1_3repE0EEENS1_30default_config_static_selectorELNS0_4arch9wavefront6targetE1EEEvT1_
                                        ; -- End function
	.section	.AMDGPU.csdata,"",@progbits
; Kernel info:
; codeLenInByte = 0
; NumSgprs: 6
; NumVgprs: 0
; NumAgprs: 0
; TotalNumVgprs: 0
; ScratchSize: 0
; MemoryBound: 0
; FloatMode: 240
; IeeeMode: 1
; LDSByteSize: 0 bytes/workgroup (compile time only)
; SGPRBlocks: 0
; VGPRBlocks: 0
; NumSGPRsForWavesPerEU: 6
; NumVGPRsForWavesPerEU: 1
; AccumOffset: 4
; Occupancy: 8
; WaveLimiterHint : 0
; COMPUTE_PGM_RSRC2:SCRATCH_EN: 0
; COMPUTE_PGM_RSRC2:USER_SGPR: 2
; COMPUTE_PGM_RSRC2:TRAP_HANDLER: 0
; COMPUTE_PGM_RSRC2:TGID_X_EN: 1
; COMPUTE_PGM_RSRC2:TGID_Y_EN: 0
; COMPUTE_PGM_RSRC2:TGID_Z_EN: 0
; COMPUTE_PGM_RSRC2:TIDIG_COMP_CNT: 0
; COMPUTE_PGM_RSRC3_GFX90A:ACCUM_OFFSET: 0
; COMPUTE_PGM_RSRC3_GFX90A:TG_SPLIT: 0
	.section	.text._ZN7rocprim17ROCPRIM_400000_NS6detail17trampoline_kernelINS0_14default_configENS1_35adjacent_difference_config_selectorILb0E14custom_numericEEZNS1_24adjacent_difference_implIS3_Lb0ELb0EPS5_S8_N6thrust23THRUST_200600_302600_NS5minusIS5_EEEE10hipError_tPvRmT2_T3_mT4_P12ihipStream_tbEUlT_E_NS1_11comp_targetILNS1_3genE10ELNS1_11target_archE1201ELNS1_3gpuE5ELNS1_3repE0EEENS1_30default_config_static_selectorELNS0_4arch9wavefront6targetE1EEEvT1_,"axG",@progbits,_ZN7rocprim17ROCPRIM_400000_NS6detail17trampoline_kernelINS0_14default_configENS1_35adjacent_difference_config_selectorILb0E14custom_numericEEZNS1_24adjacent_difference_implIS3_Lb0ELb0EPS5_S8_N6thrust23THRUST_200600_302600_NS5minusIS5_EEEE10hipError_tPvRmT2_T3_mT4_P12ihipStream_tbEUlT_E_NS1_11comp_targetILNS1_3genE10ELNS1_11target_archE1201ELNS1_3gpuE5ELNS1_3repE0EEENS1_30default_config_static_selectorELNS0_4arch9wavefront6targetE1EEEvT1_,comdat
	.protected	_ZN7rocprim17ROCPRIM_400000_NS6detail17trampoline_kernelINS0_14default_configENS1_35adjacent_difference_config_selectorILb0E14custom_numericEEZNS1_24adjacent_difference_implIS3_Lb0ELb0EPS5_S8_N6thrust23THRUST_200600_302600_NS5minusIS5_EEEE10hipError_tPvRmT2_T3_mT4_P12ihipStream_tbEUlT_E_NS1_11comp_targetILNS1_3genE10ELNS1_11target_archE1201ELNS1_3gpuE5ELNS1_3repE0EEENS1_30default_config_static_selectorELNS0_4arch9wavefront6targetE1EEEvT1_ ; -- Begin function _ZN7rocprim17ROCPRIM_400000_NS6detail17trampoline_kernelINS0_14default_configENS1_35adjacent_difference_config_selectorILb0E14custom_numericEEZNS1_24adjacent_difference_implIS3_Lb0ELb0EPS5_S8_N6thrust23THRUST_200600_302600_NS5minusIS5_EEEE10hipError_tPvRmT2_T3_mT4_P12ihipStream_tbEUlT_E_NS1_11comp_targetILNS1_3genE10ELNS1_11target_archE1201ELNS1_3gpuE5ELNS1_3repE0EEENS1_30default_config_static_selectorELNS0_4arch9wavefront6targetE1EEEvT1_
	.globl	_ZN7rocprim17ROCPRIM_400000_NS6detail17trampoline_kernelINS0_14default_configENS1_35adjacent_difference_config_selectorILb0E14custom_numericEEZNS1_24adjacent_difference_implIS3_Lb0ELb0EPS5_S8_N6thrust23THRUST_200600_302600_NS5minusIS5_EEEE10hipError_tPvRmT2_T3_mT4_P12ihipStream_tbEUlT_E_NS1_11comp_targetILNS1_3genE10ELNS1_11target_archE1201ELNS1_3gpuE5ELNS1_3repE0EEENS1_30default_config_static_selectorELNS0_4arch9wavefront6targetE1EEEvT1_
	.p2align	8
	.type	_ZN7rocprim17ROCPRIM_400000_NS6detail17trampoline_kernelINS0_14default_configENS1_35adjacent_difference_config_selectorILb0E14custom_numericEEZNS1_24adjacent_difference_implIS3_Lb0ELb0EPS5_S8_N6thrust23THRUST_200600_302600_NS5minusIS5_EEEE10hipError_tPvRmT2_T3_mT4_P12ihipStream_tbEUlT_E_NS1_11comp_targetILNS1_3genE10ELNS1_11target_archE1201ELNS1_3gpuE5ELNS1_3repE0EEENS1_30default_config_static_selectorELNS0_4arch9wavefront6targetE1EEEvT1_,@function
_ZN7rocprim17ROCPRIM_400000_NS6detail17trampoline_kernelINS0_14default_configENS1_35adjacent_difference_config_selectorILb0E14custom_numericEEZNS1_24adjacent_difference_implIS3_Lb0ELb0EPS5_S8_N6thrust23THRUST_200600_302600_NS5minusIS5_EEEE10hipError_tPvRmT2_T3_mT4_P12ihipStream_tbEUlT_E_NS1_11comp_targetILNS1_3genE10ELNS1_11target_archE1201ELNS1_3gpuE5ELNS1_3repE0EEENS1_30default_config_static_selectorELNS0_4arch9wavefront6targetE1EEEvT1_: ; @_ZN7rocprim17ROCPRIM_400000_NS6detail17trampoline_kernelINS0_14default_configENS1_35adjacent_difference_config_selectorILb0E14custom_numericEEZNS1_24adjacent_difference_implIS3_Lb0ELb0EPS5_S8_N6thrust23THRUST_200600_302600_NS5minusIS5_EEEE10hipError_tPvRmT2_T3_mT4_P12ihipStream_tbEUlT_E_NS1_11comp_targetILNS1_3genE10ELNS1_11target_archE1201ELNS1_3gpuE5ELNS1_3repE0EEENS1_30default_config_static_selectorELNS0_4arch9wavefront6targetE1EEEvT1_
; %bb.0:
	.section	.rodata,"a",@progbits
	.p2align	6, 0x0
	.amdhsa_kernel _ZN7rocprim17ROCPRIM_400000_NS6detail17trampoline_kernelINS0_14default_configENS1_35adjacent_difference_config_selectorILb0E14custom_numericEEZNS1_24adjacent_difference_implIS3_Lb0ELb0EPS5_S8_N6thrust23THRUST_200600_302600_NS5minusIS5_EEEE10hipError_tPvRmT2_T3_mT4_P12ihipStream_tbEUlT_E_NS1_11comp_targetILNS1_3genE10ELNS1_11target_archE1201ELNS1_3gpuE5ELNS1_3repE0EEENS1_30default_config_static_selectorELNS0_4arch9wavefront6targetE1EEEvT1_
		.amdhsa_group_segment_fixed_size 0
		.amdhsa_private_segment_fixed_size 0
		.amdhsa_kernarg_size 56
		.amdhsa_user_sgpr_count 2
		.amdhsa_user_sgpr_dispatch_ptr 0
		.amdhsa_user_sgpr_queue_ptr 0
		.amdhsa_user_sgpr_kernarg_segment_ptr 1
		.amdhsa_user_sgpr_dispatch_id 0
		.amdhsa_user_sgpr_kernarg_preload_length 0
		.amdhsa_user_sgpr_kernarg_preload_offset 0
		.amdhsa_user_sgpr_private_segment_size 0
		.amdhsa_uses_dynamic_stack 0
		.amdhsa_enable_private_segment 0
		.amdhsa_system_sgpr_workgroup_id_x 1
		.amdhsa_system_sgpr_workgroup_id_y 0
		.amdhsa_system_sgpr_workgroup_id_z 0
		.amdhsa_system_sgpr_workgroup_info 0
		.amdhsa_system_vgpr_workitem_id 0
		.amdhsa_next_free_vgpr 1
		.amdhsa_next_free_sgpr 0
		.amdhsa_accum_offset 4
		.amdhsa_reserve_vcc 0
		.amdhsa_float_round_mode_32 0
		.amdhsa_float_round_mode_16_64 0
		.amdhsa_float_denorm_mode_32 3
		.amdhsa_float_denorm_mode_16_64 3
		.amdhsa_dx10_clamp 1
		.amdhsa_ieee_mode 1
		.amdhsa_fp16_overflow 0
		.amdhsa_tg_split 0
		.amdhsa_exception_fp_ieee_invalid_op 0
		.amdhsa_exception_fp_denorm_src 0
		.amdhsa_exception_fp_ieee_div_zero 0
		.amdhsa_exception_fp_ieee_overflow 0
		.amdhsa_exception_fp_ieee_underflow 0
		.amdhsa_exception_fp_ieee_inexact 0
		.amdhsa_exception_int_div_zero 0
	.end_amdhsa_kernel
	.section	.text._ZN7rocprim17ROCPRIM_400000_NS6detail17trampoline_kernelINS0_14default_configENS1_35adjacent_difference_config_selectorILb0E14custom_numericEEZNS1_24adjacent_difference_implIS3_Lb0ELb0EPS5_S8_N6thrust23THRUST_200600_302600_NS5minusIS5_EEEE10hipError_tPvRmT2_T3_mT4_P12ihipStream_tbEUlT_E_NS1_11comp_targetILNS1_3genE10ELNS1_11target_archE1201ELNS1_3gpuE5ELNS1_3repE0EEENS1_30default_config_static_selectorELNS0_4arch9wavefront6targetE1EEEvT1_,"axG",@progbits,_ZN7rocprim17ROCPRIM_400000_NS6detail17trampoline_kernelINS0_14default_configENS1_35adjacent_difference_config_selectorILb0E14custom_numericEEZNS1_24adjacent_difference_implIS3_Lb0ELb0EPS5_S8_N6thrust23THRUST_200600_302600_NS5minusIS5_EEEE10hipError_tPvRmT2_T3_mT4_P12ihipStream_tbEUlT_E_NS1_11comp_targetILNS1_3genE10ELNS1_11target_archE1201ELNS1_3gpuE5ELNS1_3repE0EEENS1_30default_config_static_selectorELNS0_4arch9wavefront6targetE1EEEvT1_,comdat
.Lfunc_end210:
	.size	_ZN7rocprim17ROCPRIM_400000_NS6detail17trampoline_kernelINS0_14default_configENS1_35adjacent_difference_config_selectorILb0E14custom_numericEEZNS1_24adjacent_difference_implIS3_Lb0ELb0EPS5_S8_N6thrust23THRUST_200600_302600_NS5minusIS5_EEEE10hipError_tPvRmT2_T3_mT4_P12ihipStream_tbEUlT_E_NS1_11comp_targetILNS1_3genE10ELNS1_11target_archE1201ELNS1_3gpuE5ELNS1_3repE0EEENS1_30default_config_static_selectorELNS0_4arch9wavefront6targetE1EEEvT1_, .Lfunc_end210-_ZN7rocprim17ROCPRIM_400000_NS6detail17trampoline_kernelINS0_14default_configENS1_35adjacent_difference_config_selectorILb0E14custom_numericEEZNS1_24adjacent_difference_implIS3_Lb0ELb0EPS5_S8_N6thrust23THRUST_200600_302600_NS5minusIS5_EEEE10hipError_tPvRmT2_T3_mT4_P12ihipStream_tbEUlT_E_NS1_11comp_targetILNS1_3genE10ELNS1_11target_archE1201ELNS1_3gpuE5ELNS1_3repE0EEENS1_30default_config_static_selectorELNS0_4arch9wavefront6targetE1EEEvT1_
                                        ; -- End function
	.section	.AMDGPU.csdata,"",@progbits
; Kernel info:
; codeLenInByte = 0
; NumSgprs: 6
; NumVgprs: 0
; NumAgprs: 0
; TotalNumVgprs: 0
; ScratchSize: 0
; MemoryBound: 0
; FloatMode: 240
; IeeeMode: 1
; LDSByteSize: 0 bytes/workgroup (compile time only)
; SGPRBlocks: 0
; VGPRBlocks: 0
; NumSGPRsForWavesPerEU: 6
; NumVGPRsForWavesPerEU: 1
; AccumOffset: 4
; Occupancy: 8
; WaveLimiterHint : 0
; COMPUTE_PGM_RSRC2:SCRATCH_EN: 0
; COMPUTE_PGM_RSRC2:USER_SGPR: 2
; COMPUTE_PGM_RSRC2:TRAP_HANDLER: 0
; COMPUTE_PGM_RSRC2:TGID_X_EN: 1
; COMPUTE_PGM_RSRC2:TGID_Y_EN: 0
; COMPUTE_PGM_RSRC2:TGID_Z_EN: 0
; COMPUTE_PGM_RSRC2:TIDIG_COMP_CNT: 0
; COMPUTE_PGM_RSRC3_GFX90A:ACCUM_OFFSET: 0
; COMPUTE_PGM_RSRC3_GFX90A:TG_SPLIT: 0
	.section	.text._ZN7rocprim17ROCPRIM_400000_NS6detail17trampoline_kernelINS0_14default_configENS1_35adjacent_difference_config_selectorILb0E14custom_numericEEZNS1_24adjacent_difference_implIS3_Lb0ELb0EPS5_S8_N6thrust23THRUST_200600_302600_NS5minusIS5_EEEE10hipError_tPvRmT2_T3_mT4_P12ihipStream_tbEUlT_E_NS1_11comp_targetILNS1_3genE5ELNS1_11target_archE942ELNS1_3gpuE9ELNS1_3repE0EEENS1_30default_config_static_selectorELNS0_4arch9wavefront6targetE1EEEvT1_,"axG",@progbits,_ZN7rocprim17ROCPRIM_400000_NS6detail17trampoline_kernelINS0_14default_configENS1_35adjacent_difference_config_selectorILb0E14custom_numericEEZNS1_24adjacent_difference_implIS3_Lb0ELb0EPS5_S8_N6thrust23THRUST_200600_302600_NS5minusIS5_EEEE10hipError_tPvRmT2_T3_mT4_P12ihipStream_tbEUlT_E_NS1_11comp_targetILNS1_3genE5ELNS1_11target_archE942ELNS1_3gpuE9ELNS1_3repE0EEENS1_30default_config_static_selectorELNS0_4arch9wavefront6targetE1EEEvT1_,comdat
	.protected	_ZN7rocprim17ROCPRIM_400000_NS6detail17trampoline_kernelINS0_14default_configENS1_35adjacent_difference_config_selectorILb0E14custom_numericEEZNS1_24adjacent_difference_implIS3_Lb0ELb0EPS5_S8_N6thrust23THRUST_200600_302600_NS5minusIS5_EEEE10hipError_tPvRmT2_T3_mT4_P12ihipStream_tbEUlT_E_NS1_11comp_targetILNS1_3genE5ELNS1_11target_archE942ELNS1_3gpuE9ELNS1_3repE0EEENS1_30default_config_static_selectorELNS0_4arch9wavefront6targetE1EEEvT1_ ; -- Begin function _ZN7rocprim17ROCPRIM_400000_NS6detail17trampoline_kernelINS0_14default_configENS1_35adjacent_difference_config_selectorILb0E14custom_numericEEZNS1_24adjacent_difference_implIS3_Lb0ELb0EPS5_S8_N6thrust23THRUST_200600_302600_NS5minusIS5_EEEE10hipError_tPvRmT2_T3_mT4_P12ihipStream_tbEUlT_E_NS1_11comp_targetILNS1_3genE5ELNS1_11target_archE942ELNS1_3gpuE9ELNS1_3repE0EEENS1_30default_config_static_selectorELNS0_4arch9wavefront6targetE1EEEvT1_
	.globl	_ZN7rocprim17ROCPRIM_400000_NS6detail17trampoline_kernelINS0_14default_configENS1_35adjacent_difference_config_selectorILb0E14custom_numericEEZNS1_24adjacent_difference_implIS3_Lb0ELb0EPS5_S8_N6thrust23THRUST_200600_302600_NS5minusIS5_EEEE10hipError_tPvRmT2_T3_mT4_P12ihipStream_tbEUlT_E_NS1_11comp_targetILNS1_3genE5ELNS1_11target_archE942ELNS1_3gpuE9ELNS1_3repE0EEENS1_30default_config_static_selectorELNS0_4arch9wavefront6targetE1EEEvT1_
	.p2align	8
	.type	_ZN7rocprim17ROCPRIM_400000_NS6detail17trampoline_kernelINS0_14default_configENS1_35adjacent_difference_config_selectorILb0E14custom_numericEEZNS1_24adjacent_difference_implIS3_Lb0ELb0EPS5_S8_N6thrust23THRUST_200600_302600_NS5minusIS5_EEEE10hipError_tPvRmT2_T3_mT4_P12ihipStream_tbEUlT_E_NS1_11comp_targetILNS1_3genE5ELNS1_11target_archE942ELNS1_3gpuE9ELNS1_3repE0EEENS1_30default_config_static_selectorELNS0_4arch9wavefront6targetE1EEEvT1_,@function
_ZN7rocprim17ROCPRIM_400000_NS6detail17trampoline_kernelINS0_14default_configENS1_35adjacent_difference_config_selectorILb0E14custom_numericEEZNS1_24adjacent_difference_implIS3_Lb0ELb0EPS5_S8_N6thrust23THRUST_200600_302600_NS5minusIS5_EEEE10hipError_tPvRmT2_T3_mT4_P12ihipStream_tbEUlT_E_NS1_11comp_targetILNS1_3genE5ELNS1_11target_archE942ELNS1_3gpuE9ELNS1_3repE0EEENS1_30default_config_static_selectorELNS0_4arch9wavefront6targetE1EEEvT1_: ; @_ZN7rocprim17ROCPRIM_400000_NS6detail17trampoline_kernelINS0_14default_configENS1_35adjacent_difference_config_selectorILb0E14custom_numericEEZNS1_24adjacent_difference_implIS3_Lb0ELb0EPS5_S8_N6thrust23THRUST_200600_302600_NS5minusIS5_EEEE10hipError_tPvRmT2_T3_mT4_P12ihipStream_tbEUlT_E_NS1_11comp_targetILNS1_3genE5ELNS1_11target_archE942ELNS1_3gpuE9ELNS1_3repE0EEENS1_30default_config_static_selectorELNS0_4arch9wavefront6targetE1EEEvT1_
; %bb.0:
	s_load_dwordx8 s[4:11], s[0:1], 0x0
	s_load_dwordx2 s[12:13], s[0:1], 0x30
	s_mov_b32 s1, 0x55500000
	v_mov_b32_e32 v1, 0x55555000
	s_mul_i32 s16, s2, 0x300
	s_waitcnt lgkmcnt(0)
	s_mul_i32 s0, s7, 20
	s_mul_hi_u32 s17, s6, 20
	s_add_i32 s17, s17, s0
	s_mul_i32 s18, s6, 20
	s_add_u32 s20, s4, s18
	s_addc_u32 s21, s5, s17
	s_add_u32 s1, 0x55555, s1
	s_addc_u32 s1, 0, 0x555
	;; [unrolled: 2-line block ×3, first 2 shown]
	v_add_co_u32_e32 v1, vcc, s1, v1
	s_cmp_lg_u64 vcc, 0
	s_addc_u32 s1, s3, 0x555555
	v_readfirstlane_b32 s5, v1
	s_mul_i32 s4, s10, s1
	s_mul_hi_u32 s6, s10, s5
	s_mul_hi_u32 s3, s10, s1
	s_add_u32 s4, s6, s4
	s_addc_u32 s3, 0, s3
	s_mul_hi_u32 s7, s11, s5
	s_mul_i32 s5, s11, s5
	s_add_u32 s4, s4, s5
	s_mul_hi_u32 s6, s11, s1
	s_addc_u32 s3, s3, s7
	s_addc_u32 s4, s6, 0
	s_mul_i32 s1, s11, s1
	s_add_u32 s1, s3, s1
	s_addc_u32 s3, 0, s4
	s_add_u32 s4, s1, 1
	s_addc_u32 s5, s3, 0
	s_add_u32 s6, s1, 2
	s_mul_i32 s14, s3, 0x300
	s_mul_hi_u32 s15, s1, 0x300
	s_addc_u32 s7, s3, 0
	s_add_i32 s15, s15, s14
	s_mul_i32 s14, s1, 0x300
	v_mov_b32_e32 v1, s14
	v_sub_co_u32_e32 v1, vcc, s10, v1
	s_movk_i32 s0, 0x300
	s_cmp_lg_u64 vcc, 0
	s_subb_u32 s14, s11, s15
	v_subrev_co_u32_e32 v2, vcc, s0, v1
	s_cmp_lg_u64 vcc, 0
	s_subb_u32 s0, s14, 0
	v_readfirstlane_b32 s15, v2
	s_cmpk_gt_u32 s15, 0x2ff
	s_cselect_b32 s15, -1, 0
	s_cmp_eq_u32 s0, 0
	s_cselect_b32 s0, s15, -1
	s_cmp_lg_u32 s0, 0
	s_cselect_b32 s0, s6, s4
	s_cselect_b32 s4, s7, s5
	v_readfirstlane_b32 s5, v1
	s_cmpk_gt_u32 s5, 0x2ff
	s_cselect_b32 s5, -1, 0
	s_cmp_eq_u32 s14, 0
	s_cselect_b32 s5, s5, -1
	s_cmp_lg_u32 s5, 0
	s_cselect_b32 s3, s4, s3
	s_cselect_b32 s4, s0, s1
	s_mul_i32 s0, s3, 0x300
	s_mul_hi_u32 s1, s4, 0x300
	s_add_i32 s1, s1, s0
	s_mul_i32 s0, s4, 0x300
	s_sub_u32 s0, s10, s0
	s_subb_u32 s1, s11, s1
	s_cmp_lg_u64 s[0:1], 0
	s_cselect_b64 s[0:1], -1, 0
	v_cndmask_b32_e64 v1, 0, 1, s[0:1]
	s_mul_hi_u32 s11, s16, 20
	v_readfirstlane_b32 s0, v1
	s_add_u32 s4, s4, s0
	s_addc_u32 s5, s3, 0
	s_add_u32 s2, s12, s2
	s_addc_u32 s3, s13, 0
	s_add_u32 s6, s4, -1
	s_addc_u32 s7, s5, -1
	v_mov_b64_e32 v[2:3], s[6:7]
	v_cmp_ge_u64_e64 s[0:1], s[2:3], v[2:3]
	s_mov_b64 s[12:13], -1
	s_and_b64 vcc, exec, s[0:1]
	s_mul_i32 s19, s6, 0xfffffd00
	s_mul_i32 s16, s16, 20
	s_cbranch_vccz .LBB211_8
; %bb.1:
	s_add_i32 s22, s19, s10
	s_add_u32 s12, s20, s16
	s_addc_u32 s13, s21, s11
	v_cmp_gt_u32_e32 vcc, s22, v0
	v_mov_b32_e32 v1, 0
	v_mov_b32_e32 v2, 0
	s_and_saveexec_b64 s[14:15], vcc
	s_cbranch_execz .LBB211_3
; %bb.2:
	v_mad_u64_u32 v[2:3], s[24:25], v0, 20, s[12:13]
	global_load_dword v2, v[2:3], off
.LBB211_3:
	s_or_b64 exec, exec, s[14:15]
	v_or_b32_e32 v3, 0x100, v0
	v_cmp_gt_u32_e32 vcc, s22, v3
	s_and_saveexec_b64 s[14:15], vcc
	s_cbranch_execz .LBB211_5
; %bb.4:
	v_mad_u64_u32 v[4:5], s[24:25], v3, 20, s[12:13]
	global_load_dword v1, v[4:5], off
.LBB211_5:
	s_or_b64 exec, exec, s[14:15]
	v_or_b32_e32 v4, 0x200, v0
	v_cmp_gt_u32_e32 vcc, s22, v4
	v_mov_b32_e32 v3, 0
	s_and_saveexec_b64 s[14:15], vcc
	s_cbranch_execz .LBB211_7
; %bb.6:
	v_mad_u64_u32 v[4:5], s[12:13], v4, 20, s[12:13]
	global_load_dword v3, v[4:5], off
.LBB211_7:
	s_or_b64 exec, exec, s[14:15]
	v_mov_b32_e32 v5, 0x1400
	v_mul_u32_u24_e32 v4, 20, v0
	v_mad_u32_u24 v5, v0, 20, v5
	s_waitcnt vmcnt(0)
	ds_write2_b32 v4, v2, v2 offset1:1
	ds_write2_b32 v4, v2, v2 offset0:2 offset1:3
	ds_write2_b32 v5, v1, v1 offset1:1
	v_mov_b32_e32 v5, 0x1408
	v_mad_u32_u24 v5, v0, 20, v5
	ds_write2_b32 v5, v1, v1 offset1:1
	v_add_u32_e32 v5, 16, v4
	ds_write2st64_b32 v5, v2, v1 offset1:20
	v_mov_b32_e32 v1, 0x2800
	v_mad_u32_u24 v1, v0, 20, v1
	ds_write2_b32 v1, v3, v3 offset1:1
	v_mov_b32_e32 v1, 0x2808
	v_mad_u32_u24 v1, v0, 20, v1
	s_mov_b64 s[12:13], 0
	ds_write2_b32 v1, v3, v3 offset1:1
	ds_write_b32 v4, v3 offset:10256
	s_waitcnt lgkmcnt(0)
	s_barrier
.LBB211_8:
	s_and_b64 vcc, exec, s[12:13]
	v_mul_u32_u24_e32 v1, 20, v0
	s_cbranch_vccz .LBB211_10
; %bb.9:
	s_add_u32 s12, s20, s16
	s_addc_u32 s13, s21, s11
	v_mad_u64_u32 v[2:3], s[12:13], v0, 20, s[12:13]
	v_add_co_u32_e32 v4, vcc, 0x1000, v2
	v_mov_b32_e32 v8, 0x2800
	s_nop 0
	v_addc_co_u32_e32 v5, vcc, 0, v3, vcc
	global_load_dword v6, v[2:3], off
	global_load_dword v7, v[4:5], off offset:1024
	v_add_co_u32_e32 v2, vcc, 0x2000, v2
	v_mov_b32_e32 v4, 0x1408
	s_nop 0
	v_addc_co_u32_e32 v3, vcc, 0, v3, vcc
	global_load_dword v2, v[2:3], off offset:2048
	v_mov_b32_e32 v3, 0x1400
	v_mov_b32_e32 v9, 0x2808
	v_add_u32_e32 v5, 16, v1
	v_mad_u32_u24 v3, v0, 20, v3
	v_mad_u32_u24 v4, v0, 20, v4
	;; [unrolled: 1-line block ×4, first 2 shown]
	s_waitcnt vmcnt(2)
	ds_write2_b32 v1, v6, v6 offset1:1
	ds_write2_b32 v1, v6, v6 offset0:2 offset1:3
	s_waitcnt vmcnt(1)
	ds_write2_b32 v3, v7, v7 offset1:1
	ds_write2_b32 v4, v7, v7 offset1:1
	ds_write2st64_b32 v5, v6, v7 offset1:20
	s_waitcnt vmcnt(0)
	ds_write2_b32 v8, v2, v2 offset1:1
	ds_write2_b32 v9, v2, v2 offset1:1
	ds_write_b32 v1, v2 offset:10256
	s_waitcnt lgkmcnt(0)
	s_barrier
.LBB211_10:
	v_mul_u32_u24_e32 v2, 3, v0
	v_mul_lo_u32 v4, v2, 20
	ds_read2_b32 v[2:3], v4 offset1:5
	ds_read_b32 v4, v4 offset:40
	s_cmp_eq_u64 s[2:3], 0
	s_waitcnt lgkmcnt(0)
	s_barrier
	s_cbranch_scc1 .LBB211_15
; %bb.11:
	s_add_u32 s12, s20, s16
	s_addc_u32 s13, s21, s11
	s_add_u32 s12, s12, 0xffffffec
	s_addc_u32 s13, s13, -1
	s_load_dword s12, s[12:13], 0x0
	s_cmp_eq_u64 s[2:3], s[6:7]
	s_cbranch_scc1 .LBB211_16
; %bb.12:
	v_cmp_ne_u32_e32 vcc, 0, v0
	s_waitcnt lgkmcnt(0)
	v_mov_b32_e32 v5, s12
	ds_write2_b32 v1, v4, v4 offset1:1
	ds_write2_b32 v1, v4, v4 offset0:2 offset1:3
	ds_write_b32 v1, v4 offset:16
	s_waitcnt lgkmcnt(0)
	s_barrier
	s_and_saveexec_b64 s[6:7], vcc
	s_cbranch_execz .LBB211_14
; %bb.13:
	v_subrev_u32_e32 v5, 20, v1
	ds_read_b32 v5, v5
.LBB211_14:
	s_or_b64 exec, exec, s[6:7]
	s_waitcnt lgkmcnt(0)
	v_sub_u32_e32 v5, v2, v5
	v_mov_b32_e32 v6, v3
	v_mov_b32_e32 v7, v2
	s_branch .LBB211_20
.LBB211_15:
                                        ; implicit-def: $vgpr6
                                        ; implicit-def: $vgpr7
                                        ; implicit-def: $vgpr5
	s_branch .LBB211_21
.LBB211_16:
                                        ; implicit-def: $vgpr5
	v_mov_b32_e32 v6, v3
	v_mov_b32_e32 v7, v2
	s_cbranch_execz .LBB211_20
; %bb.17:
	v_mul_u32_u24_e32 v5, 3, v0
	v_cmp_ne_u32_e32 vcc, 0, v0
	s_waitcnt lgkmcnt(0)
	v_mov_b32_e32 v8, s12
	ds_write2_b32 v1, v4, v4 offset1:1
	ds_write2_b32 v1, v4, v4 offset0:2 offset1:3
	ds_write_b32 v1, v4 offset:16
	s_waitcnt lgkmcnt(0)
	s_barrier
	s_and_saveexec_b64 s[6:7], vcc
	s_cbranch_execz .LBB211_19
; %bb.18:
	v_subrev_u32_e32 v6, 20, v1
	ds_read_b32 v8, v6
.LBB211_19:
	s_or_b64 exec, exec, s[6:7]
	s_mulk_i32 s2, 0xfd00
	s_add_i32 s2, s2, s10
	v_add_u32_e32 v6, 1, v5
	v_add_u32_e32 v9, 2, v5
	v_cmp_gt_u32_e32 vcc, s2, v6
	s_nop 1
	v_cndmask_b32_e32 v7, 0, v2, vcc
	v_cmp_gt_u32_e32 vcc, s2, v9
	s_nop 1
	v_cndmask_b32_e32 v6, 0, v3, vcc
	v_cmp_gt_u32_e32 vcc, s2, v5
	s_waitcnt lgkmcnt(0)
	s_nop 0
	v_cndmask_b32_e32 v5, 0, v8, vcc
	v_sub_u32_e32 v5, v2, v5
.LBB211_20:
	s_cbranch_execnz .LBB211_30
.LBB211_21:
	s_cmp_eq_u64 s[4:5], 1
	v_cmp_ne_u32_e32 vcc, 0, v0
	s_cbranch_scc1 .LBB211_25
; %bb.22:
	v_mov_b32_e32 v5, v2
	ds_write2_b32 v1, v4, v4 offset1:1
	ds_write2_b32 v1, v4, v4 offset0:2 offset1:3
	ds_write_b32 v1, v4 offset:16
	s_waitcnt lgkmcnt(0)
	s_barrier
	s_and_saveexec_b64 s[2:3], vcc
	s_cbranch_execz .LBB211_24
; %bb.23:
	v_subrev_u32_e32 v5, 20, v1
	ds_read_b32 v5, v5
	s_waitcnt lgkmcnt(0)
	v_sub_u32_e32 v5, v2, v5
.LBB211_24:
	s_or_b64 exec, exec, s[2:3]
	v_mov_b32_e32 v6, v3
	s_cbranch_execz .LBB211_26
	s_branch .LBB211_29
.LBB211_25:
                                        ; implicit-def: $vgpr5
	v_mov_b32_e32 v6, v3
.LBB211_26:
	v_mul_u32_u24_e32 v5, 3, v0
	v_mad_u32_u24 v6, v0, 3, 1
	v_mad_u32_u24 v7, v0, 3, 2
	v_cmp_ne_u32_e64 s[4:5], 0, v0
	v_cmp_gt_u32_e64 s[6:7], s10, v5
	v_cmp_gt_u32_e32 vcc, s10, v7
	v_cmp_gt_u32_e64 s[2:3], s10, v6
	s_and_b64 s[6:7], s[4:5], s[6:7]
	v_mov_b32_e32 v5, v2
	ds_write2_b32 v1, v4, v4 offset1:1
	ds_write2_b32 v1, v4, v4 offset0:2 offset1:3
	ds_write_b32 v1, v4 offset:16
	s_waitcnt lgkmcnt(0)
	s_barrier
	s_and_saveexec_b64 s[4:5], s[6:7]
	s_cbranch_execz .LBB211_28
; %bb.27:
	v_subrev_u32_e32 v1, 20, v1
	ds_read_b32 v1, v1
	s_waitcnt lgkmcnt(0)
	v_sub_u32_e32 v5, v2, v1
.LBB211_28:
	s_or_b64 exec, exec, s[4:5]
	v_cndmask_b32_e64 v2, 0, v2, s[2:3]
	v_cndmask_b32_e32 v6, 0, v3, vcc
.LBB211_29:
	v_mov_b32_e32 v7, v2
.LBB211_30:
	s_add_u32 s5, s8, s18
	s_addc_u32 s4, s9, s17
	v_sub_u32_e32 v1, v4, v6
	v_sub_u32_e32 v4, v3, v7
	s_and_b64 vcc, exec, s[0:1]
	v_mul_u32_u24_e32 v8, 60, v0
	s_waitcnt lgkmcnt(0)
	s_barrier
	s_cbranch_vccz .LBB211_36
; %bb.31:
	v_mul_i32_i24_e32 v9, 0xffffffd8, v0
	v_mad_u32_u24 v2, v0, 60, v9
	ds_write2_b32 v8, v5, v5 offset1:1
	ds_write2_b32 v8, v5, v5 offset0:2 offset1:3
	ds_write_b32 v8, v5 offset:16
	ds_write2_b32 v8, v4, v4 offset0:5 offset1:6
	ds_write2_b32 v8, v4, v4 offset0:7 offset1:8
	ds_write2_b32 v8, v4, v1 offset0:9 offset1:10
	ds_write2_b32 v8, v1, v1 offset0:11 offset1:12
	ds_write2_b32 v8, v1, v1 offset0:13 offset1:14
	s_waitcnt lgkmcnt(0)
	s_barrier
	ds_read2st64_b32 v[2:3], v2 offset0:20 offset1:40
	s_add_i32 s19, s19, s10
	s_add_u32 s0, s5, s16
	s_addc_u32 s1, s4, s11
	v_mad_u64_u32 v[6:7], s[0:1], v0, 20, s[0:1]
	v_cmp_gt_u32_e32 vcc, s19, v0
	s_and_saveexec_b64 s[0:1], vcc
	s_cbranch_execz .LBB211_33
; %bb.32:
	v_add_u32_e32 v9, v8, v9
	ds_read_b32 v10, v9
	s_waitcnt lgkmcnt(0)
	v_mov_b32_e32 v11, v10
	v_mov_b32_e32 v12, v10
	;; [unrolled: 1-line block ×3, first 2 shown]
	global_store_dwordx4 v[6:7], v[10:13], off
	global_store_dword v[6:7], v10, off offset:16
.LBB211_33:
	s_or_b64 exec, exec, s[0:1]
	v_or_b32_e32 v9, 0x100, v0
	v_cmp_gt_u32_e32 vcc, s19, v9
	s_and_saveexec_b64 s[0:1], vcc
	s_cbranch_execz .LBB211_35
; %bb.34:
	v_add_co_u32_e32 v14, vcc, 0x1000, v6
	s_waitcnt lgkmcnt(0)
	v_mov_b32_e32 v10, v2
	v_mov_b32_e32 v11, v2
	;; [unrolled: 1-line block ×4, first 2 shown]
	v_addc_co_u32_e32 v15, vcc, 0, v7, vcc
	global_store_dwordx4 v[14:15], v[10:13], off offset:1024
	global_store_dword v[14:15], v2, off offset:1040
.LBB211_35:
	s_or_b64 exec, exec, s[0:1]
	s_waitcnt lgkmcnt(0)
	v_or_b32_e32 v2, 0x200, v0
	v_cmp_gt_u32_e64 s[0:1], s19, v2
	s_branch .LBB211_38
.LBB211_36:
	s_mov_b64 s[0:1], 0
                                        ; implicit-def: $vgpr3
                                        ; implicit-def: $vgpr6_vgpr7
	s_cbranch_execz .LBB211_38
; %bb.37:
	ds_write2_b32 v8, v5, v5 offset1:1
	ds_write2_b32 v8, v5, v5 offset0:2 offset1:3
	ds_write_b32 v8, v5 offset:16
	ds_write2_b32 v8, v4, v4 offset0:5 offset1:6
	ds_write2_b32 v8, v4, v4 offset0:7 offset1:8
	;; [unrolled: 1-line block ×5, first 2 shown]
	v_mul_i32_i24_e32 v1, 0xffffffd8, v0
	v_mad_u32_u24 v1, v0, 60, v1
	s_waitcnt lgkmcnt(0)
	s_barrier
	ds_read2st64_b32 v[8:9], v1 offset1:20
	s_add_u32 s2, s5, s16
	ds_read_b32 v3, v1 offset:10240
	s_addc_u32 s3, s4, s11
	v_mad_u64_u32 v[6:7], s[2:3], v0, 20, s[2:3]
	s_waitcnt lgkmcnt(1)
	v_mov_b32_e32 v10, v8
	v_mov_b32_e32 v11, v8
	v_mov_b32_e32 v12, v8
	v_mov_b32_e32 v13, v8
	v_add_co_u32_e32 v0, vcc, 0x1000, v6
	global_store_dwordx4 v[6:7], v[10:13], off
	global_store_dword v[6:7], v8, off offset:16
	v_mov_b32_e32 v8, v9
	v_mov_b32_e32 v10, v9
	;; [unrolled: 1-line block ×3, first 2 shown]
	v_addc_co_u32_e32 v1, vcc, 0, v7, vcc
	s_or_b64 s[0:1], s[0:1], exec
	global_store_dwordx4 v[0:1], v[8:11], off offset:1024
	global_store_dword v[0:1], v9, off offset:1040
.LBB211_38:
	s_and_saveexec_b64 s[2:3], s[0:1]
	s_cbranch_execnz .LBB211_40
; %bb.39:
	s_endpgm
.LBB211_40:
	v_add_co_u32_e32 v0, vcc, 0x2000, v6
	s_waitcnt lgkmcnt(0)
	v_mov_b32_e32 v2, v3
	v_mov_b32_e32 v4, v3
	;; [unrolled: 1-line block ×3, first 2 shown]
	v_addc_co_u32_e32 v1, vcc, 0, v7, vcc
	global_store_dwordx4 v[0:1], v[2:5], off offset:2048
	global_store_dword v[0:1], v3, off offset:2064
	s_endpgm
	.section	.rodata,"a",@progbits
	.p2align	6, 0x0
	.amdhsa_kernel _ZN7rocprim17ROCPRIM_400000_NS6detail17trampoline_kernelINS0_14default_configENS1_35adjacent_difference_config_selectorILb0E14custom_numericEEZNS1_24adjacent_difference_implIS3_Lb0ELb0EPS5_S8_N6thrust23THRUST_200600_302600_NS5minusIS5_EEEE10hipError_tPvRmT2_T3_mT4_P12ihipStream_tbEUlT_E_NS1_11comp_targetILNS1_3genE5ELNS1_11target_archE942ELNS1_3gpuE9ELNS1_3repE0EEENS1_30default_config_static_selectorELNS0_4arch9wavefront6targetE1EEEvT1_
		.amdhsa_group_segment_fixed_size 15360
		.amdhsa_private_segment_fixed_size 0
		.amdhsa_kernarg_size 56
		.amdhsa_user_sgpr_count 2
		.amdhsa_user_sgpr_dispatch_ptr 0
		.amdhsa_user_sgpr_queue_ptr 0
		.amdhsa_user_sgpr_kernarg_segment_ptr 1
		.amdhsa_user_sgpr_dispatch_id 0
		.amdhsa_user_sgpr_kernarg_preload_length 0
		.amdhsa_user_sgpr_kernarg_preload_offset 0
		.amdhsa_user_sgpr_private_segment_size 0
		.amdhsa_uses_dynamic_stack 0
		.amdhsa_enable_private_segment 0
		.amdhsa_system_sgpr_workgroup_id_x 1
		.amdhsa_system_sgpr_workgroup_id_y 0
		.amdhsa_system_sgpr_workgroup_id_z 0
		.amdhsa_system_sgpr_workgroup_info 0
		.amdhsa_system_vgpr_workitem_id 0
		.amdhsa_next_free_vgpr 16
		.amdhsa_next_free_sgpr 26
		.amdhsa_accum_offset 16
		.amdhsa_reserve_vcc 1
		.amdhsa_float_round_mode_32 0
		.amdhsa_float_round_mode_16_64 0
		.amdhsa_float_denorm_mode_32 3
		.amdhsa_float_denorm_mode_16_64 3
		.amdhsa_dx10_clamp 1
		.amdhsa_ieee_mode 1
		.amdhsa_fp16_overflow 0
		.amdhsa_tg_split 0
		.amdhsa_exception_fp_ieee_invalid_op 0
		.amdhsa_exception_fp_denorm_src 0
		.amdhsa_exception_fp_ieee_div_zero 0
		.amdhsa_exception_fp_ieee_overflow 0
		.amdhsa_exception_fp_ieee_underflow 0
		.amdhsa_exception_fp_ieee_inexact 0
		.amdhsa_exception_int_div_zero 0
	.end_amdhsa_kernel
	.section	.text._ZN7rocprim17ROCPRIM_400000_NS6detail17trampoline_kernelINS0_14default_configENS1_35adjacent_difference_config_selectorILb0E14custom_numericEEZNS1_24adjacent_difference_implIS3_Lb0ELb0EPS5_S8_N6thrust23THRUST_200600_302600_NS5minusIS5_EEEE10hipError_tPvRmT2_T3_mT4_P12ihipStream_tbEUlT_E_NS1_11comp_targetILNS1_3genE5ELNS1_11target_archE942ELNS1_3gpuE9ELNS1_3repE0EEENS1_30default_config_static_selectorELNS0_4arch9wavefront6targetE1EEEvT1_,"axG",@progbits,_ZN7rocprim17ROCPRIM_400000_NS6detail17trampoline_kernelINS0_14default_configENS1_35adjacent_difference_config_selectorILb0E14custom_numericEEZNS1_24adjacent_difference_implIS3_Lb0ELb0EPS5_S8_N6thrust23THRUST_200600_302600_NS5minusIS5_EEEE10hipError_tPvRmT2_T3_mT4_P12ihipStream_tbEUlT_E_NS1_11comp_targetILNS1_3genE5ELNS1_11target_archE942ELNS1_3gpuE9ELNS1_3repE0EEENS1_30default_config_static_selectorELNS0_4arch9wavefront6targetE1EEEvT1_,comdat
.Lfunc_end211:
	.size	_ZN7rocprim17ROCPRIM_400000_NS6detail17trampoline_kernelINS0_14default_configENS1_35adjacent_difference_config_selectorILb0E14custom_numericEEZNS1_24adjacent_difference_implIS3_Lb0ELb0EPS5_S8_N6thrust23THRUST_200600_302600_NS5minusIS5_EEEE10hipError_tPvRmT2_T3_mT4_P12ihipStream_tbEUlT_E_NS1_11comp_targetILNS1_3genE5ELNS1_11target_archE942ELNS1_3gpuE9ELNS1_3repE0EEENS1_30default_config_static_selectorELNS0_4arch9wavefront6targetE1EEEvT1_, .Lfunc_end211-_ZN7rocprim17ROCPRIM_400000_NS6detail17trampoline_kernelINS0_14default_configENS1_35adjacent_difference_config_selectorILb0E14custom_numericEEZNS1_24adjacent_difference_implIS3_Lb0ELb0EPS5_S8_N6thrust23THRUST_200600_302600_NS5minusIS5_EEEE10hipError_tPvRmT2_T3_mT4_P12ihipStream_tbEUlT_E_NS1_11comp_targetILNS1_3genE5ELNS1_11target_archE942ELNS1_3gpuE9ELNS1_3repE0EEENS1_30default_config_static_selectorELNS0_4arch9wavefront6targetE1EEEvT1_
                                        ; -- End function
	.section	.AMDGPU.csdata,"",@progbits
; Kernel info:
; codeLenInByte = 2080
; NumSgprs: 32
; NumVgprs: 16
; NumAgprs: 0
; TotalNumVgprs: 16
; ScratchSize: 0
; MemoryBound: 0
; FloatMode: 240
; IeeeMode: 1
; LDSByteSize: 15360 bytes/workgroup (compile time only)
; SGPRBlocks: 3
; VGPRBlocks: 1
; NumSGPRsForWavesPerEU: 32
; NumVGPRsForWavesPerEU: 16
; AccumOffset: 16
; Occupancy: 4
; WaveLimiterHint : 1
; COMPUTE_PGM_RSRC2:SCRATCH_EN: 0
; COMPUTE_PGM_RSRC2:USER_SGPR: 2
; COMPUTE_PGM_RSRC2:TRAP_HANDLER: 0
; COMPUTE_PGM_RSRC2:TGID_X_EN: 1
; COMPUTE_PGM_RSRC2:TGID_Y_EN: 0
; COMPUTE_PGM_RSRC2:TGID_Z_EN: 0
; COMPUTE_PGM_RSRC2:TIDIG_COMP_CNT: 0
; COMPUTE_PGM_RSRC3_GFX90A:ACCUM_OFFSET: 3
; COMPUTE_PGM_RSRC3_GFX90A:TG_SPLIT: 0
	.section	.text._ZN7rocprim17ROCPRIM_400000_NS6detail17trampoline_kernelINS0_14default_configENS1_35adjacent_difference_config_selectorILb0E14custom_numericEEZNS1_24adjacent_difference_implIS3_Lb0ELb0EPS5_S8_N6thrust23THRUST_200600_302600_NS5minusIS5_EEEE10hipError_tPvRmT2_T3_mT4_P12ihipStream_tbEUlT_E_NS1_11comp_targetILNS1_3genE4ELNS1_11target_archE910ELNS1_3gpuE8ELNS1_3repE0EEENS1_30default_config_static_selectorELNS0_4arch9wavefront6targetE1EEEvT1_,"axG",@progbits,_ZN7rocprim17ROCPRIM_400000_NS6detail17trampoline_kernelINS0_14default_configENS1_35adjacent_difference_config_selectorILb0E14custom_numericEEZNS1_24adjacent_difference_implIS3_Lb0ELb0EPS5_S8_N6thrust23THRUST_200600_302600_NS5minusIS5_EEEE10hipError_tPvRmT2_T3_mT4_P12ihipStream_tbEUlT_E_NS1_11comp_targetILNS1_3genE4ELNS1_11target_archE910ELNS1_3gpuE8ELNS1_3repE0EEENS1_30default_config_static_selectorELNS0_4arch9wavefront6targetE1EEEvT1_,comdat
	.protected	_ZN7rocprim17ROCPRIM_400000_NS6detail17trampoline_kernelINS0_14default_configENS1_35adjacent_difference_config_selectorILb0E14custom_numericEEZNS1_24adjacent_difference_implIS3_Lb0ELb0EPS5_S8_N6thrust23THRUST_200600_302600_NS5minusIS5_EEEE10hipError_tPvRmT2_T3_mT4_P12ihipStream_tbEUlT_E_NS1_11comp_targetILNS1_3genE4ELNS1_11target_archE910ELNS1_3gpuE8ELNS1_3repE0EEENS1_30default_config_static_selectorELNS0_4arch9wavefront6targetE1EEEvT1_ ; -- Begin function _ZN7rocprim17ROCPRIM_400000_NS6detail17trampoline_kernelINS0_14default_configENS1_35adjacent_difference_config_selectorILb0E14custom_numericEEZNS1_24adjacent_difference_implIS3_Lb0ELb0EPS5_S8_N6thrust23THRUST_200600_302600_NS5minusIS5_EEEE10hipError_tPvRmT2_T3_mT4_P12ihipStream_tbEUlT_E_NS1_11comp_targetILNS1_3genE4ELNS1_11target_archE910ELNS1_3gpuE8ELNS1_3repE0EEENS1_30default_config_static_selectorELNS0_4arch9wavefront6targetE1EEEvT1_
	.globl	_ZN7rocprim17ROCPRIM_400000_NS6detail17trampoline_kernelINS0_14default_configENS1_35adjacent_difference_config_selectorILb0E14custom_numericEEZNS1_24adjacent_difference_implIS3_Lb0ELb0EPS5_S8_N6thrust23THRUST_200600_302600_NS5minusIS5_EEEE10hipError_tPvRmT2_T3_mT4_P12ihipStream_tbEUlT_E_NS1_11comp_targetILNS1_3genE4ELNS1_11target_archE910ELNS1_3gpuE8ELNS1_3repE0EEENS1_30default_config_static_selectorELNS0_4arch9wavefront6targetE1EEEvT1_
	.p2align	8
	.type	_ZN7rocprim17ROCPRIM_400000_NS6detail17trampoline_kernelINS0_14default_configENS1_35adjacent_difference_config_selectorILb0E14custom_numericEEZNS1_24adjacent_difference_implIS3_Lb0ELb0EPS5_S8_N6thrust23THRUST_200600_302600_NS5minusIS5_EEEE10hipError_tPvRmT2_T3_mT4_P12ihipStream_tbEUlT_E_NS1_11comp_targetILNS1_3genE4ELNS1_11target_archE910ELNS1_3gpuE8ELNS1_3repE0EEENS1_30default_config_static_selectorELNS0_4arch9wavefront6targetE1EEEvT1_,@function
_ZN7rocprim17ROCPRIM_400000_NS6detail17trampoline_kernelINS0_14default_configENS1_35adjacent_difference_config_selectorILb0E14custom_numericEEZNS1_24adjacent_difference_implIS3_Lb0ELb0EPS5_S8_N6thrust23THRUST_200600_302600_NS5minusIS5_EEEE10hipError_tPvRmT2_T3_mT4_P12ihipStream_tbEUlT_E_NS1_11comp_targetILNS1_3genE4ELNS1_11target_archE910ELNS1_3gpuE8ELNS1_3repE0EEENS1_30default_config_static_selectorELNS0_4arch9wavefront6targetE1EEEvT1_: ; @_ZN7rocprim17ROCPRIM_400000_NS6detail17trampoline_kernelINS0_14default_configENS1_35adjacent_difference_config_selectorILb0E14custom_numericEEZNS1_24adjacent_difference_implIS3_Lb0ELb0EPS5_S8_N6thrust23THRUST_200600_302600_NS5minusIS5_EEEE10hipError_tPvRmT2_T3_mT4_P12ihipStream_tbEUlT_E_NS1_11comp_targetILNS1_3genE4ELNS1_11target_archE910ELNS1_3gpuE8ELNS1_3repE0EEENS1_30default_config_static_selectorELNS0_4arch9wavefront6targetE1EEEvT1_
; %bb.0:
	.section	.rodata,"a",@progbits
	.p2align	6, 0x0
	.amdhsa_kernel _ZN7rocprim17ROCPRIM_400000_NS6detail17trampoline_kernelINS0_14default_configENS1_35adjacent_difference_config_selectorILb0E14custom_numericEEZNS1_24adjacent_difference_implIS3_Lb0ELb0EPS5_S8_N6thrust23THRUST_200600_302600_NS5minusIS5_EEEE10hipError_tPvRmT2_T3_mT4_P12ihipStream_tbEUlT_E_NS1_11comp_targetILNS1_3genE4ELNS1_11target_archE910ELNS1_3gpuE8ELNS1_3repE0EEENS1_30default_config_static_selectorELNS0_4arch9wavefront6targetE1EEEvT1_
		.amdhsa_group_segment_fixed_size 0
		.amdhsa_private_segment_fixed_size 0
		.amdhsa_kernarg_size 56
		.amdhsa_user_sgpr_count 2
		.amdhsa_user_sgpr_dispatch_ptr 0
		.amdhsa_user_sgpr_queue_ptr 0
		.amdhsa_user_sgpr_kernarg_segment_ptr 1
		.amdhsa_user_sgpr_dispatch_id 0
		.amdhsa_user_sgpr_kernarg_preload_length 0
		.amdhsa_user_sgpr_kernarg_preload_offset 0
		.amdhsa_user_sgpr_private_segment_size 0
		.amdhsa_uses_dynamic_stack 0
		.amdhsa_enable_private_segment 0
		.amdhsa_system_sgpr_workgroup_id_x 1
		.amdhsa_system_sgpr_workgroup_id_y 0
		.amdhsa_system_sgpr_workgroup_id_z 0
		.amdhsa_system_sgpr_workgroup_info 0
		.amdhsa_system_vgpr_workitem_id 0
		.amdhsa_next_free_vgpr 1
		.amdhsa_next_free_sgpr 0
		.amdhsa_accum_offset 4
		.amdhsa_reserve_vcc 0
		.amdhsa_float_round_mode_32 0
		.amdhsa_float_round_mode_16_64 0
		.amdhsa_float_denorm_mode_32 3
		.amdhsa_float_denorm_mode_16_64 3
		.amdhsa_dx10_clamp 1
		.amdhsa_ieee_mode 1
		.amdhsa_fp16_overflow 0
		.amdhsa_tg_split 0
		.amdhsa_exception_fp_ieee_invalid_op 0
		.amdhsa_exception_fp_denorm_src 0
		.amdhsa_exception_fp_ieee_div_zero 0
		.amdhsa_exception_fp_ieee_overflow 0
		.amdhsa_exception_fp_ieee_underflow 0
		.amdhsa_exception_fp_ieee_inexact 0
		.amdhsa_exception_int_div_zero 0
	.end_amdhsa_kernel
	.section	.text._ZN7rocprim17ROCPRIM_400000_NS6detail17trampoline_kernelINS0_14default_configENS1_35adjacent_difference_config_selectorILb0E14custom_numericEEZNS1_24adjacent_difference_implIS3_Lb0ELb0EPS5_S8_N6thrust23THRUST_200600_302600_NS5minusIS5_EEEE10hipError_tPvRmT2_T3_mT4_P12ihipStream_tbEUlT_E_NS1_11comp_targetILNS1_3genE4ELNS1_11target_archE910ELNS1_3gpuE8ELNS1_3repE0EEENS1_30default_config_static_selectorELNS0_4arch9wavefront6targetE1EEEvT1_,"axG",@progbits,_ZN7rocprim17ROCPRIM_400000_NS6detail17trampoline_kernelINS0_14default_configENS1_35adjacent_difference_config_selectorILb0E14custom_numericEEZNS1_24adjacent_difference_implIS3_Lb0ELb0EPS5_S8_N6thrust23THRUST_200600_302600_NS5minusIS5_EEEE10hipError_tPvRmT2_T3_mT4_P12ihipStream_tbEUlT_E_NS1_11comp_targetILNS1_3genE4ELNS1_11target_archE910ELNS1_3gpuE8ELNS1_3repE0EEENS1_30default_config_static_selectorELNS0_4arch9wavefront6targetE1EEEvT1_,comdat
.Lfunc_end212:
	.size	_ZN7rocprim17ROCPRIM_400000_NS6detail17trampoline_kernelINS0_14default_configENS1_35adjacent_difference_config_selectorILb0E14custom_numericEEZNS1_24adjacent_difference_implIS3_Lb0ELb0EPS5_S8_N6thrust23THRUST_200600_302600_NS5minusIS5_EEEE10hipError_tPvRmT2_T3_mT4_P12ihipStream_tbEUlT_E_NS1_11comp_targetILNS1_3genE4ELNS1_11target_archE910ELNS1_3gpuE8ELNS1_3repE0EEENS1_30default_config_static_selectorELNS0_4arch9wavefront6targetE1EEEvT1_, .Lfunc_end212-_ZN7rocprim17ROCPRIM_400000_NS6detail17trampoline_kernelINS0_14default_configENS1_35adjacent_difference_config_selectorILb0E14custom_numericEEZNS1_24adjacent_difference_implIS3_Lb0ELb0EPS5_S8_N6thrust23THRUST_200600_302600_NS5minusIS5_EEEE10hipError_tPvRmT2_T3_mT4_P12ihipStream_tbEUlT_E_NS1_11comp_targetILNS1_3genE4ELNS1_11target_archE910ELNS1_3gpuE8ELNS1_3repE0EEENS1_30default_config_static_selectorELNS0_4arch9wavefront6targetE1EEEvT1_
                                        ; -- End function
	.section	.AMDGPU.csdata,"",@progbits
; Kernel info:
; codeLenInByte = 0
; NumSgprs: 6
; NumVgprs: 0
; NumAgprs: 0
; TotalNumVgprs: 0
; ScratchSize: 0
; MemoryBound: 0
; FloatMode: 240
; IeeeMode: 1
; LDSByteSize: 0 bytes/workgroup (compile time only)
; SGPRBlocks: 0
; VGPRBlocks: 0
; NumSGPRsForWavesPerEU: 6
; NumVGPRsForWavesPerEU: 1
; AccumOffset: 4
; Occupancy: 8
; WaveLimiterHint : 0
; COMPUTE_PGM_RSRC2:SCRATCH_EN: 0
; COMPUTE_PGM_RSRC2:USER_SGPR: 2
; COMPUTE_PGM_RSRC2:TRAP_HANDLER: 0
; COMPUTE_PGM_RSRC2:TGID_X_EN: 1
; COMPUTE_PGM_RSRC2:TGID_Y_EN: 0
; COMPUTE_PGM_RSRC2:TGID_Z_EN: 0
; COMPUTE_PGM_RSRC2:TIDIG_COMP_CNT: 0
; COMPUTE_PGM_RSRC3_GFX90A:ACCUM_OFFSET: 0
; COMPUTE_PGM_RSRC3_GFX90A:TG_SPLIT: 0
	.section	.text._ZN7rocprim17ROCPRIM_400000_NS6detail17trampoline_kernelINS0_14default_configENS1_35adjacent_difference_config_selectorILb0E14custom_numericEEZNS1_24adjacent_difference_implIS3_Lb0ELb0EPS5_S8_N6thrust23THRUST_200600_302600_NS5minusIS5_EEEE10hipError_tPvRmT2_T3_mT4_P12ihipStream_tbEUlT_E_NS1_11comp_targetILNS1_3genE3ELNS1_11target_archE908ELNS1_3gpuE7ELNS1_3repE0EEENS1_30default_config_static_selectorELNS0_4arch9wavefront6targetE1EEEvT1_,"axG",@progbits,_ZN7rocprim17ROCPRIM_400000_NS6detail17trampoline_kernelINS0_14default_configENS1_35adjacent_difference_config_selectorILb0E14custom_numericEEZNS1_24adjacent_difference_implIS3_Lb0ELb0EPS5_S8_N6thrust23THRUST_200600_302600_NS5minusIS5_EEEE10hipError_tPvRmT2_T3_mT4_P12ihipStream_tbEUlT_E_NS1_11comp_targetILNS1_3genE3ELNS1_11target_archE908ELNS1_3gpuE7ELNS1_3repE0EEENS1_30default_config_static_selectorELNS0_4arch9wavefront6targetE1EEEvT1_,comdat
	.protected	_ZN7rocprim17ROCPRIM_400000_NS6detail17trampoline_kernelINS0_14default_configENS1_35adjacent_difference_config_selectorILb0E14custom_numericEEZNS1_24adjacent_difference_implIS3_Lb0ELb0EPS5_S8_N6thrust23THRUST_200600_302600_NS5minusIS5_EEEE10hipError_tPvRmT2_T3_mT4_P12ihipStream_tbEUlT_E_NS1_11comp_targetILNS1_3genE3ELNS1_11target_archE908ELNS1_3gpuE7ELNS1_3repE0EEENS1_30default_config_static_selectorELNS0_4arch9wavefront6targetE1EEEvT1_ ; -- Begin function _ZN7rocprim17ROCPRIM_400000_NS6detail17trampoline_kernelINS0_14default_configENS1_35adjacent_difference_config_selectorILb0E14custom_numericEEZNS1_24adjacent_difference_implIS3_Lb0ELb0EPS5_S8_N6thrust23THRUST_200600_302600_NS5minusIS5_EEEE10hipError_tPvRmT2_T3_mT4_P12ihipStream_tbEUlT_E_NS1_11comp_targetILNS1_3genE3ELNS1_11target_archE908ELNS1_3gpuE7ELNS1_3repE0EEENS1_30default_config_static_selectorELNS0_4arch9wavefront6targetE1EEEvT1_
	.globl	_ZN7rocprim17ROCPRIM_400000_NS6detail17trampoline_kernelINS0_14default_configENS1_35adjacent_difference_config_selectorILb0E14custom_numericEEZNS1_24adjacent_difference_implIS3_Lb0ELb0EPS5_S8_N6thrust23THRUST_200600_302600_NS5minusIS5_EEEE10hipError_tPvRmT2_T3_mT4_P12ihipStream_tbEUlT_E_NS1_11comp_targetILNS1_3genE3ELNS1_11target_archE908ELNS1_3gpuE7ELNS1_3repE0EEENS1_30default_config_static_selectorELNS0_4arch9wavefront6targetE1EEEvT1_
	.p2align	8
	.type	_ZN7rocprim17ROCPRIM_400000_NS6detail17trampoline_kernelINS0_14default_configENS1_35adjacent_difference_config_selectorILb0E14custom_numericEEZNS1_24adjacent_difference_implIS3_Lb0ELb0EPS5_S8_N6thrust23THRUST_200600_302600_NS5minusIS5_EEEE10hipError_tPvRmT2_T3_mT4_P12ihipStream_tbEUlT_E_NS1_11comp_targetILNS1_3genE3ELNS1_11target_archE908ELNS1_3gpuE7ELNS1_3repE0EEENS1_30default_config_static_selectorELNS0_4arch9wavefront6targetE1EEEvT1_,@function
_ZN7rocprim17ROCPRIM_400000_NS6detail17trampoline_kernelINS0_14default_configENS1_35adjacent_difference_config_selectorILb0E14custom_numericEEZNS1_24adjacent_difference_implIS3_Lb0ELb0EPS5_S8_N6thrust23THRUST_200600_302600_NS5minusIS5_EEEE10hipError_tPvRmT2_T3_mT4_P12ihipStream_tbEUlT_E_NS1_11comp_targetILNS1_3genE3ELNS1_11target_archE908ELNS1_3gpuE7ELNS1_3repE0EEENS1_30default_config_static_selectorELNS0_4arch9wavefront6targetE1EEEvT1_: ; @_ZN7rocprim17ROCPRIM_400000_NS6detail17trampoline_kernelINS0_14default_configENS1_35adjacent_difference_config_selectorILb0E14custom_numericEEZNS1_24adjacent_difference_implIS3_Lb0ELb0EPS5_S8_N6thrust23THRUST_200600_302600_NS5minusIS5_EEEE10hipError_tPvRmT2_T3_mT4_P12ihipStream_tbEUlT_E_NS1_11comp_targetILNS1_3genE3ELNS1_11target_archE908ELNS1_3gpuE7ELNS1_3repE0EEENS1_30default_config_static_selectorELNS0_4arch9wavefront6targetE1EEEvT1_
; %bb.0:
	.section	.rodata,"a",@progbits
	.p2align	6, 0x0
	.amdhsa_kernel _ZN7rocprim17ROCPRIM_400000_NS6detail17trampoline_kernelINS0_14default_configENS1_35adjacent_difference_config_selectorILb0E14custom_numericEEZNS1_24adjacent_difference_implIS3_Lb0ELb0EPS5_S8_N6thrust23THRUST_200600_302600_NS5minusIS5_EEEE10hipError_tPvRmT2_T3_mT4_P12ihipStream_tbEUlT_E_NS1_11comp_targetILNS1_3genE3ELNS1_11target_archE908ELNS1_3gpuE7ELNS1_3repE0EEENS1_30default_config_static_selectorELNS0_4arch9wavefront6targetE1EEEvT1_
		.amdhsa_group_segment_fixed_size 0
		.amdhsa_private_segment_fixed_size 0
		.amdhsa_kernarg_size 56
		.amdhsa_user_sgpr_count 2
		.amdhsa_user_sgpr_dispatch_ptr 0
		.amdhsa_user_sgpr_queue_ptr 0
		.amdhsa_user_sgpr_kernarg_segment_ptr 1
		.amdhsa_user_sgpr_dispatch_id 0
		.amdhsa_user_sgpr_kernarg_preload_length 0
		.amdhsa_user_sgpr_kernarg_preload_offset 0
		.amdhsa_user_sgpr_private_segment_size 0
		.amdhsa_uses_dynamic_stack 0
		.amdhsa_enable_private_segment 0
		.amdhsa_system_sgpr_workgroup_id_x 1
		.amdhsa_system_sgpr_workgroup_id_y 0
		.amdhsa_system_sgpr_workgroup_id_z 0
		.amdhsa_system_sgpr_workgroup_info 0
		.amdhsa_system_vgpr_workitem_id 0
		.amdhsa_next_free_vgpr 1
		.amdhsa_next_free_sgpr 0
		.amdhsa_accum_offset 4
		.amdhsa_reserve_vcc 0
		.amdhsa_float_round_mode_32 0
		.amdhsa_float_round_mode_16_64 0
		.amdhsa_float_denorm_mode_32 3
		.amdhsa_float_denorm_mode_16_64 3
		.amdhsa_dx10_clamp 1
		.amdhsa_ieee_mode 1
		.amdhsa_fp16_overflow 0
		.amdhsa_tg_split 0
		.amdhsa_exception_fp_ieee_invalid_op 0
		.amdhsa_exception_fp_denorm_src 0
		.amdhsa_exception_fp_ieee_div_zero 0
		.amdhsa_exception_fp_ieee_overflow 0
		.amdhsa_exception_fp_ieee_underflow 0
		.amdhsa_exception_fp_ieee_inexact 0
		.amdhsa_exception_int_div_zero 0
	.end_amdhsa_kernel
	.section	.text._ZN7rocprim17ROCPRIM_400000_NS6detail17trampoline_kernelINS0_14default_configENS1_35adjacent_difference_config_selectorILb0E14custom_numericEEZNS1_24adjacent_difference_implIS3_Lb0ELb0EPS5_S8_N6thrust23THRUST_200600_302600_NS5minusIS5_EEEE10hipError_tPvRmT2_T3_mT4_P12ihipStream_tbEUlT_E_NS1_11comp_targetILNS1_3genE3ELNS1_11target_archE908ELNS1_3gpuE7ELNS1_3repE0EEENS1_30default_config_static_selectorELNS0_4arch9wavefront6targetE1EEEvT1_,"axG",@progbits,_ZN7rocprim17ROCPRIM_400000_NS6detail17trampoline_kernelINS0_14default_configENS1_35adjacent_difference_config_selectorILb0E14custom_numericEEZNS1_24adjacent_difference_implIS3_Lb0ELb0EPS5_S8_N6thrust23THRUST_200600_302600_NS5minusIS5_EEEE10hipError_tPvRmT2_T3_mT4_P12ihipStream_tbEUlT_E_NS1_11comp_targetILNS1_3genE3ELNS1_11target_archE908ELNS1_3gpuE7ELNS1_3repE0EEENS1_30default_config_static_selectorELNS0_4arch9wavefront6targetE1EEEvT1_,comdat
.Lfunc_end213:
	.size	_ZN7rocprim17ROCPRIM_400000_NS6detail17trampoline_kernelINS0_14default_configENS1_35adjacent_difference_config_selectorILb0E14custom_numericEEZNS1_24adjacent_difference_implIS3_Lb0ELb0EPS5_S8_N6thrust23THRUST_200600_302600_NS5minusIS5_EEEE10hipError_tPvRmT2_T3_mT4_P12ihipStream_tbEUlT_E_NS1_11comp_targetILNS1_3genE3ELNS1_11target_archE908ELNS1_3gpuE7ELNS1_3repE0EEENS1_30default_config_static_selectorELNS0_4arch9wavefront6targetE1EEEvT1_, .Lfunc_end213-_ZN7rocprim17ROCPRIM_400000_NS6detail17trampoline_kernelINS0_14default_configENS1_35adjacent_difference_config_selectorILb0E14custom_numericEEZNS1_24adjacent_difference_implIS3_Lb0ELb0EPS5_S8_N6thrust23THRUST_200600_302600_NS5minusIS5_EEEE10hipError_tPvRmT2_T3_mT4_P12ihipStream_tbEUlT_E_NS1_11comp_targetILNS1_3genE3ELNS1_11target_archE908ELNS1_3gpuE7ELNS1_3repE0EEENS1_30default_config_static_selectorELNS0_4arch9wavefront6targetE1EEEvT1_
                                        ; -- End function
	.section	.AMDGPU.csdata,"",@progbits
; Kernel info:
; codeLenInByte = 0
; NumSgprs: 6
; NumVgprs: 0
; NumAgprs: 0
; TotalNumVgprs: 0
; ScratchSize: 0
; MemoryBound: 0
; FloatMode: 240
; IeeeMode: 1
; LDSByteSize: 0 bytes/workgroup (compile time only)
; SGPRBlocks: 0
; VGPRBlocks: 0
; NumSGPRsForWavesPerEU: 6
; NumVGPRsForWavesPerEU: 1
; AccumOffset: 4
; Occupancy: 8
; WaveLimiterHint : 0
; COMPUTE_PGM_RSRC2:SCRATCH_EN: 0
; COMPUTE_PGM_RSRC2:USER_SGPR: 2
; COMPUTE_PGM_RSRC2:TRAP_HANDLER: 0
; COMPUTE_PGM_RSRC2:TGID_X_EN: 1
; COMPUTE_PGM_RSRC2:TGID_Y_EN: 0
; COMPUTE_PGM_RSRC2:TGID_Z_EN: 0
; COMPUTE_PGM_RSRC2:TIDIG_COMP_CNT: 0
; COMPUTE_PGM_RSRC3_GFX90A:ACCUM_OFFSET: 0
; COMPUTE_PGM_RSRC3_GFX90A:TG_SPLIT: 0
	.section	.text._ZN7rocprim17ROCPRIM_400000_NS6detail17trampoline_kernelINS0_14default_configENS1_35adjacent_difference_config_selectorILb0E14custom_numericEEZNS1_24adjacent_difference_implIS3_Lb0ELb0EPS5_S8_N6thrust23THRUST_200600_302600_NS5minusIS5_EEEE10hipError_tPvRmT2_T3_mT4_P12ihipStream_tbEUlT_E_NS1_11comp_targetILNS1_3genE2ELNS1_11target_archE906ELNS1_3gpuE6ELNS1_3repE0EEENS1_30default_config_static_selectorELNS0_4arch9wavefront6targetE1EEEvT1_,"axG",@progbits,_ZN7rocprim17ROCPRIM_400000_NS6detail17trampoline_kernelINS0_14default_configENS1_35adjacent_difference_config_selectorILb0E14custom_numericEEZNS1_24adjacent_difference_implIS3_Lb0ELb0EPS5_S8_N6thrust23THRUST_200600_302600_NS5minusIS5_EEEE10hipError_tPvRmT2_T3_mT4_P12ihipStream_tbEUlT_E_NS1_11comp_targetILNS1_3genE2ELNS1_11target_archE906ELNS1_3gpuE6ELNS1_3repE0EEENS1_30default_config_static_selectorELNS0_4arch9wavefront6targetE1EEEvT1_,comdat
	.protected	_ZN7rocprim17ROCPRIM_400000_NS6detail17trampoline_kernelINS0_14default_configENS1_35adjacent_difference_config_selectorILb0E14custom_numericEEZNS1_24adjacent_difference_implIS3_Lb0ELb0EPS5_S8_N6thrust23THRUST_200600_302600_NS5minusIS5_EEEE10hipError_tPvRmT2_T3_mT4_P12ihipStream_tbEUlT_E_NS1_11comp_targetILNS1_3genE2ELNS1_11target_archE906ELNS1_3gpuE6ELNS1_3repE0EEENS1_30default_config_static_selectorELNS0_4arch9wavefront6targetE1EEEvT1_ ; -- Begin function _ZN7rocprim17ROCPRIM_400000_NS6detail17trampoline_kernelINS0_14default_configENS1_35adjacent_difference_config_selectorILb0E14custom_numericEEZNS1_24adjacent_difference_implIS3_Lb0ELb0EPS5_S8_N6thrust23THRUST_200600_302600_NS5minusIS5_EEEE10hipError_tPvRmT2_T3_mT4_P12ihipStream_tbEUlT_E_NS1_11comp_targetILNS1_3genE2ELNS1_11target_archE906ELNS1_3gpuE6ELNS1_3repE0EEENS1_30default_config_static_selectorELNS0_4arch9wavefront6targetE1EEEvT1_
	.globl	_ZN7rocprim17ROCPRIM_400000_NS6detail17trampoline_kernelINS0_14default_configENS1_35adjacent_difference_config_selectorILb0E14custom_numericEEZNS1_24adjacent_difference_implIS3_Lb0ELb0EPS5_S8_N6thrust23THRUST_200600_302600_NS5minusIS5_EEEE10hipError_tPvRmT2_T3_mT4_P12ihipStream_tbEUlT_E_NS1_11comp_targetILNS1_3genE2ELNS1_11target_archE906ELNS1_3gpuE6ELNS1_3repE0EEENS1_30default_config_static_selectorELNS0_4arch9wavefront6targetE1EEEvT1_
	.p2align	8
	.type	_ZN7rocprim17ROCPRIM_400000_NS6detail17trampoline_kernelINS0_14default_configENS1_35adjacent_difference_config_selectorILb0E14custom_numericEEZNS1_24adjacent_difference_implIS3_Lb0ELb0EPS5_S8_N6thrust23THRUST_200600_302600_NS5minusIS5_EEEE10hipError_tPvRmT2_T3_mT4_P12ihipStream_tbEUlT_E_NS1_11comp_targetILNS1_3genE2ELNS1_11target_archE906ELNS1_3gpuE6ELNS1_3repE0EEENS1_30default_config_static_selectorELNS0_4arch9wavefront6targetE1EEEvT1_,@function
_ZN7rocprim17ROCPRIM_400000_NS6detail17trampoline_kernelINS0_14default_configENS1_35adjacent_difference_config_selectorILb0E14custom_numericEEZNS1_24adjacent_difference_implIS3_Lb0ELb0EPS5_S8_N6thrust23THRUST_200600_302600_NS5minusIS5_EEEE10hipError_tPvRmT2_T3_mT4_P12ihipStream_tbEUlT_E_NS1_11comp_targetILNS1_3genE2ELNS1_11target_archE906ELNS1_3gpuE6ELNS1_3repE0EEENS1_30default_config_static_selectorELNS0_4arch9wavefront6targetE1EEEvT1_: ; @_ZN7rocprim17ROCPRIM_400000_NS6detail17trampoline_kernelINS0_14default_configENS1_35adjacent_difference_config_selectorILb0E14custom_numericEEZNS1_24adjacent_difference_implIS3_Lb0ELb0EPS5_S8_N6thrust23THRUST_200600_302600_NS5minusIS5_EEEE10hipError_tPvRmT2_T3_mT4_P12ihipStream_tbEUlT_E_NS1_11comp_targetILNS1_3genE2ELNS1_11target_archE906ELNS1_3gpuE6ELNS1_3repE0EEENS1_30default_config_static_selectorELNS0_4arch9wavefront6targetE1EEEvT1_
; %bb.0:
	.section	.rodata,"a",@progbits
	.p2align	6, 0x0
	.amdhsa_kernel _ZN7rocprim17ROCPRIM_400000_NS6detail17trampoline_kernelINS0_14default_configENS1_35adjacent_difference_config_selectorILb0E14custom_numericEEZNS1_24adjacent_difference_implIS3_Lb0ELb0EPS5_S8_N6thrust23THRUST_200600_302600_NS5minusIS5_EEEE10hipError_tPvRmT2_T3_mT4_P12ihipStream_tbEUlT_E_NS1_11comp_targetILNS1_3genE2ELNS1_11target_archE906ELNS1_3gpuE6ELNS1_3repE0EEENS1_30default_config_static_selectorELNS0_4arch9wavefront6targetE1EEEvT1_
		.amdhsa_group_segment_fixed_size 0
		.amdhsa_private_segment_fixed_size 0
		.amdhsa_kernarg_size 56
		.amdhsa_user_sgpr_count 2
		.amdhsa_user_sgpr_dispatch_ptr 0
		.amdhsa_user_sgpr_queue_ptr 0
		.amdhsa_user_sgpr_kernarg_segment_ptr 1
		.amdhsa_user_sgpr_dispatch_id 0
		.amdhsa_user_sgpr_kernarg_preload_length 0
		.amdhsa_user_sgpr_kernarg_preload_offset 0
		.amdhsa_user_sgpr_private_segment_size 0
		.amdhsa_uses_dynamic_stack 0
		.amdhsa_enable_private_segment 0
		.amdhsa_system_sgpr_workgroup_id_x 1
		.amdhsa_system_sgpr_workgroup_id_y 0
		.amdhsa_system_sgpr_workgroup_id_z 0
		.amdhsa_system_sgpr_workgroup_info 0
		.amdhsa_system_vgpr_workitem_id 0
		.amdhsa_next_free_vgpr 1
		.amdhsa_next_free_sgpr 0
		.amdhsa_accum_offset 4
		.amdhsa_reserve_vcc 0
		.amdhsa_float_round_mode_32 0
		.amdhsa_float_round_mode_16_64 0
		.amdhsa_float_denorm_mode_32 3
		.amdhsa_float_denorm_mode_16_64 3
		.amdhsa_dx10_clamp 1
		.amdhsa_ieee_mode 1
		.amdhsa_fp16_overflow 0
		.amdhsa_tg_split 0
		.amdhsa_exception_fp_ieee_invalid_op 0
		.amdhsa_exception_fp_denorm_src 0
		.amdhsa_exception_fp_ieee_div_zero 0
		.amdhsa_exception_fp_ieee_overflow 0
		.amdhsa_exception_fp_ieee_underflow 0
		.amdhsa_exception_fp_ieee_inexact 0
		.amdhsa_exception_int_div_zero 0
	.end_amdhsa_kernel
	.section	.text._ZN7rocprim17ROCPRIM_400000_NS6detail17trampoline_kernelINS0_14default_configENS1_35adjacent_difference_config_selectorILb0E14custom_numericEEZNS1_24adjacent_difference_implIS3_Lb0ELb0EPS5_S8_N6thrust23THRUST_200600_302600_NS5minusIS5_EEEE10hipError_tPvRmT2_T3_mT4_P12ihipStream_tbEUlT_E_NS1_11comp_targetILNS1_3genE2ELNS1_11target_archE906ELNS1_3gpuE6ELNS1_3repE0EEENS1_30default_config_static_selectorELNS0_4arch9wavefront6targetE1EEEvT1_,"axG",@progbits,_ZN7rocprim17ROCPRIM_400000_NS6detail17trampoline_kernelINS0_14default_configENS1_35adjacent_difference_config_selectorILb0E14custom_numericEEZNS1_24adjacent_difference_implIS3_Lb0ELb0EPS5_S8_N6thrust23THRUST_200600_302600_NS5minusIS5_EEEE10hipError_tPvRmT2_T3_mT4_P12ihipStream_tbEUlT_E_NS1_11comp_targetILNS1_3genE2ELNS1_11target_archE906ELNS1_3gpuE6ELNS1_3repE0EEENS1_30default_config_static_selectorELNS0_4arch9wavefront6targetE1EEEvT1_,comdat
.Lfunc_end214:
	.size	_ZN7rocprim17ROCPRIM_400000_NS6detail17trampoline_kernelINS0_14default_configENS1_35adjacent_difference_config_selectorILb0E14custom_numericEEZNS1_24adjacent_difference_implIS3_Lb0ELb0EPS5_S8_N6thrust23THRUST_200600_302600_NS5minusIS5_EEEE10hipError_tPvRmT2_T3_mT4_P12ihipStream_tbEUlT_E_NS1_11comp_targetILNS1_3genE2ELNS1_11target_archE906ELNS1_3gpuE6ELNS1_3repE0EEENS1_30default_config_static_selectorELNS0_4arch9wavefront6targetE1EEEvT1_, .Lfunc_end214-_ZN7rocprim17ROCPRIM_400000_NS6detail17trampoline_kernelINS0_14default_configENS1_35adjacent_difference_config_selectorILb0E14custom_numericEEZNS1_24adjacent_difference_implIS3_Lb0ELb0EPS5_S8_N6thrust23THRUST_200600_302600_NS5minusIS5_EEEE10hipError_tPvRmT2_T3_mT4_P12ihipStream_tbEUlT_E_NS1_11comp_targetILNS1_3genE2ELNS1_11target_archE906ELNS1_3gpuE6ELNS1_3repE0EEENS1_30default_config_static_selectorELNS0_4arch9wavefront6targetE1EEEvT1_
                                        ; -- End function
	.section	.AMDGPU.csdata,"",@progbits
; Kernel info:
; codeLenInByte = 0
; NumSgprs: 6
; NumVgprs: 0
; NumAgprs: 0
; TotalNumVgprs: 0
; ScratchSize: 0
; MemoryBound: 0
; FloatMode: 240
; IeeeMode: 1
; LDSByteSize: 0 bytes/workgroup (compile time only)
; SGPRBlocks: 0
; VGPRBlocks: 0
; NumSGPRsForWavesPerEU: 6
; NumVGPRsForWavesPerEU: 1
; AccumOffset: 4
; Occupancy: 8
; WaveLimiterHint : 0
; COMPUTE_PGM_RSRC2:SCRATCH_EN: 0
; COMPUTE_PGM_RSRC2:USER_SGPR: 2
; COMPUTE_PGM_RSRC2:TRAP_HANDLER: 0
; COMPUTE_PGM_RSRC2:TGID_X_EN: 1
; COMPUTE_PGM_RSRC2:TGID_Y_EN: 0
; COMPUTE_PGM_RSRC2:TGID_Z_EN: 0
; COMPUTE_PGM_RSRC2:TIDIG_COMP_CNT: 0
; COMPUTE_PGM_RSRC3_GFX90A:ACCUM_OFFSET: 0
; COMPUTE_PGM_RSRC3_GFX90A:TG_SPLIT: 0
	.section	.text._ZN7rocprim17ROCPRIM_400000_NS6detail17trampoline_kernelINS0_14default_configENS1_35adjacent_difference_config_selectorILb0E14custom_numericEEZNS1_24adjacent_difference_implIS3_Lb0ELb0EPS5_S8_N6thrust23THRUST_200600_302600_NS5minusIS5_EEEE10hipError_tPvRmT2_T3_mT4_P12ihipStream_tbEUlT_E_NS1_11comp_targetILNS1_3genE9ELNS1_11target_archE1100ELNS1_3gpuE3ELNS1_3repE0EEENS1_30default_config_static_selectorELNS0_4arch9wavefront6targetE1EEEvT1_,"axG",@progbits,_ZN7rocprim17ROCPRIM_400000_NS6detail17trampoline_kernelINS0_14default_configENS1_35adjacent_difference_config_selectorILb0E14custom_numericEEZNS1_24adjacent_difference_implIS3_Lb0ELb0EPS5_S8_N6thrust23THRUST_200600_302600_NS5minusIS5_EEEE10hipError_tPvRmT2_T3_mT4_P12ihipStream_tbEUlT_E_NS1_11comp_targetILNS1_3genE9ELNS1_11target_archE1100ELNS1_3gpuE3ELNS1_3repE0EEENS1_30default_config_static_selectorELNS0_4arch9wavefront6targetE1EEEvT1_,comdat
	.protected	_ZN7rocprim17ROCPRIM_400000_NS6detail17trampoline_kernelINS0_14default_configENS1_35adjacent_difference_config_selectorILb0E14custom_numericEEZNS1_24adjacent_difference_implIS3_Lb0ELb0EPS5_S8_N6thrust23THRUST_200600_302600_NS5minusIS5_EEEE10hipError_tPvRmT2_T3_mT4_P12ihipStream_tbEUlT_E_NS1_11comp_targetILNS1_3genE9ELNS1_11target_archE1100ELNS1_3gpuE3ELNS1_3repE0EEENS1_30default_config_static_selectorELNS0_4arch9wavefront6targetE1EEEvT1_ ; -- Begin function _ZN7rocprim17ROCPRIM_400000_NS6detail17trampoline_kernelINS0_14default_configENS1_35adjacent_difference_config_selectorILb0E14custom_numericEEZNS1_24adjacent_difference_implIS3_Lb0ELb0EPS5_S8_N6thrust23THRUST_200600_302600_NS5minusIS5_EEEE10hipError_tPvRmT2_T3_mT4_P12ihipStream_tbEUlT_E_NS1_11comp_targetILNS1_3genE9ELNS1_11target_archE1100ELNS1_3gpuE3ELNS1_3repE0EEENS1_30default_config_static_selectorELNS0_4arch9wavefront6targetE1EEEvT1_
	.globl	_ZN7rocprim17ROCPRIM_400000_NS6detail17trampoline_kernelINS0_14default_configENS1_35adjacent_difference_config_selectorILb0E14custom_numericEEZNS1_24adjacent_difference_implIS3_Lb0ELb0EPS5_S8_N6thrust23THRUST_200600_302600_NS5minusIS5_EEEE10hipError_tPvRmT2_T3_mT4_P12ihipStream_tbEUlT_E_NS1_11comp_targetILNS1_3genE9ELNS1_11target_archE1100ELNS1_3gpuE3ELNS1_3repE0EEENS1_30default_config_static_selectorELNS0_4arch9wavefront6targetE1EEEvT1_
	.p2align	8
	.type	_ZN7rocprim17ROCPRIM_400000_NS6detail17trampoline_kernelINS0_14default_configENS1_35adjacent_difference_config_selectorILb0E14custom_numericEEZNS1_24adjacent_difference_implIS3_Lb0ELb0EPS5_S8_N6thrust23THRUST_200600_302600_NS5minusIS5_EEEE10hipError_tPvRmT2_T3_mT4_P12ihipStream_tbEUlT_E_NS1_11comp_targetILNS1_3genE9ELNS1_11target_archE1100ELNS1_3gpuE3ELNS1_3repE0EEENS1_30default_config_static_selectorELNS0_4arch9wavefront6targetE1EEEvT1_,@function
_ZN7rocprim17ROCPRIM_400000_NS6detail17trampoline_kernelINS0_14default_configENS1_35adjacent_difference_config_selectorILb0E14custom_numericEEZNS1_24adjacent_difference_implIS3_Lb0ELb0EPS5_S8_N6thrust23THRUST_200600_302600_NS5minusIS5_EEEE10hipError_tPvRmT2_T3_mT4_P12ihipStream_tbEUlT_E_NS1_11comp_targetILNS1_3genE9ELNS1_11target_archE1100ELNS1_3gpuE3ELNS1_3repE0EEENS1_30default_config_static_selectorELNS0_4arch9wavefront6targetE1EEEvT1_: ; @_ZN7rocprim17ROCPRIM_400000_NS6detail17trampoline_kernelINS0_14default_configENS1_35adjacent_difference_config_selectorILb0E14custom_numericEEZNS1_24adjacent_difference_implIS3_Lb0ELb0EPS5_S8_N6thrust23THRUST_200600_302600_NS5minusIS5_EEEE10hipError_tPvRmT2_T3_mT4_P12ihipStream_tbEUlT_E_NS1_11comp_targetILNS1_3genE9ELNS1_11target_archE1100ELNS1_3gpuE3ELNS1_3repE0EEENS1_30default_config_static_selectorELNS0_4arch9wavefront6targetE1EEEvT1_
; %bb.0:
	.section	.rodata,"a",@progbits
	.p2align	6, 0x0
	.amdhsa_kernel _ZN7rocprim17ROCPRIM_400000_NS6detail17trampoline_kernelINS0_14default_configENS1_35adjacent_difference_config_selectorILb0E14custom_numericEEZNS1_24adjacent_difference_implIS3_Lb0ELb0EPS5_S8_N6thrust23THRUST_200600_302600_NS5minusIS5_EEEE10hipError_tPvRmT2_T3_mT4_P12ihipStream_tbEUlT_E_NS1_11comp_targetILNS1_3genE9ELNS1_11target_archE1100ELNS1_3gpuE3ELNS1_3repE0EEENS1_30default_config_static_selectorELNS0_4arch9wavefront6targetE1EEEvT1_
		.amdhsa_group_segment_fixed_size 0
		.amdhsa_private_segment_fixed_size 0
		.amdhsa_kernarg_size 56
		.amdhsa_user_sgpr_count 2
		.amdhsa_user_sgpr_dispatch_ptr 0
		.amdhsa_user_sgpr_queue_ptr 0
		.amdhsa_user_sgpr_kernarg_segment_ptr 1
		.amdhsa_user_sgpr_dispatch_id 0
		.amdhsa_user_sgpr_kernarg_preload_length 0
		.amdhsa_user_sgpr_kernarg_preload_offset 0
		.amdhsa_user_sgpr_private_segment_size 0
		.amdhsa_uses_dynamic_stack 0
		.amdhsa_enable_private_segment 0
		.amdhsa_system_sgpr_workgroup_id_x 1
		.amdhsa_system_sgpr_workgroup_id_y 0
		.amdhsa_system_sgpr_workgroup_id_z 0
		.amdhsa_system_sgpr_workgroup_info 0
		.amdhsa_system_vgpr_workitem_id 0
		.amdhsa_next_free_vgpr 1
		.amdhsa_next_free_sgpr 0
		.amdhsa_accum_offset 4
		.amdhsa_reserve_vcc 0
		.amdhsa_float_round_mode_32 0
		.amdhsa_float_round_mode_16_64 0
		.amdhsa_float_denorm_mode_32 3
		.amdhsa_float_denorm_mode_16_64 3
		.amdhsa_dx10_clamp 1
		.amdhsa_ieee_mode 1
		.amdhsa_fp16_overflow 0
		.amdhsa_tg_split 0
		.amdhsa_exception_fp_ieee_invalid_op 0
		.amdhsa_exception_fp_denorm_src 0
		.amdhsa_exception_fp_ieee_div_zero 0
		.amdhsa_exception_fp_ieee_overflow 0
		.amdhsa_exception_fp_ieee_underflow 0
		.amdhsa_exception_fp_ieee_inexact 0
		.amdhsa_exception_int_div_zero 0
	.end_amdhsa_kernel
	.section	.text._ZN7rocprim17ROCPRIM_400000_NS6detail17trampoline_kernelINS0_14default_configENS1_35adjacent_difference_config_selectorILb0E14custom_numericEEZNS1_24adjacent_difference_implIS3_Lb0ELb0EPS5_S8_N6thrust23THRUST_200600_302600_NS5minusIS5_EEEE10hipError_tPvRmT2_T3_mT4_P12ihipStream_tbEUlT_E_NS1_11comp_targetILNS1_3genE9ELNS1_11target_archE1100ELNS1_3gpuE3ELNS1_3repE0EEENS1_30default_config_static_selectorELNS0_4arch9wavefront6targetE1EEEvT1_,"axG",@progbits,_ZN7rocprim17ROCPRIM_400000_NS6detail17trampoline_kernelINS0_14default_configENS1_35adjacent_difference_config_selectorILb0E14custom_numericEEZNS1_24adjacent_difference_implIS3_Lb0ELb0EPS5_S8_N6thrust23THRUST_200600_302600_NS5minusIS5_EEEE10hipError_tPvRmT2_T3_mT4_P12ihipStream_tbEUlT_E_NS1_11comp_targetILNS1_3genE9ELNS1_11target_archE1100ELNS1_3gpuE3ELNS1_3repE0EEENS1_30default_config_static_selectorELNS0_4arch9wavefront6targetE1EEEvT1_,comdat
.Lfunc_end215:
	.size	_ZN7rocprim17ROCPRIM_400000_NS6detail17trampoline_kernelINS0_14default_configENS1_35adjacent_difference_config_selectorILb0E14custom_numericEEZNS1_24adjacent_difference_implIS3_Lb0ELb0EPS5_S8_N6thrust23THRUST_200600_302600_NS5minusIS5_EEEE10hipError_tPvRmT2_T3_mT4_P12ihipStream_tbEUlT_E_NS1_11comp_targetILNS1_3genE9ELNS1_11target_archE1100ELNS1_3gpuE3ELNS1_3repE0EEENS1_30default_config_static_selectorELNS0_4arch9wavefront6targetE1EEEvT1_, .Lfunc_end215-_ZN7rocprim17ROCPRIM_400000_NS6detail17trampoline_kernelINS0_14default_configENS1_35adjacent_difference_config_selectorILb0E14custom_numericEEZNS1_24adjacent_difference_implIS3_Lb0ELb0EPS5_S8_N6thrust23THRUST_200600_302600_NS5minusIS5_EEEE10hipError_tPvRmT2_T3_mT4_P12ihipStream_tbEUlT_E_NS1_11comp_targetILNS1_3genE9ELNS1_11target_archE1100ELNS1_3gpuE3ELNS1_3repE0EEENS1_30default_config_static_selectorELNS0_4arch9wavefront6targetE1EEEvT1_
                                        ; -- End function
	.section	.AMDGPU.csdata,"",@progbits
; Kernel info:
; codeLenInByte = 0
; NumSgprs: 6
; NumVgprs: 0
; NumAgprs: 0
; TotalNumVgprs: 0
; ScratchSize: 0
; MemoryBound: 0
; FloatMode: 240
; IeeeMode: 1
; LDSByteSize: 0 bytes/workgroup (compile time only)
; SGPRBlocks: 0
; VGPRBlocks: 0
; NumSGPRsForWavesPerEU: 6
; NumVGPRsForWavesPerEU: 1
; AccumOffset: 4
; Occupancy: 8
; WaveLimiterHint : 0
; COMPUTE_PGM_RSRC2:SCRATCH_EN: 0
; COMPUTE_PGM_RSRC2:USER_SGPR: 2
; COMPUTE_PGM_RSRC2:TRAP_HANDLER: 0
; COMPUTE_PGM_RSRC2:TGID_X_EN: 1
; COMPUTE_PGM_RSRC2:TGID_Y_EN: 0
; COMPUTE_PGM_RSRC2:TGID_Z_EN: 0
; COMPUTE_PGM_RSRC2:TIDIG_COMP_CNT: 0
; COMPUTE_PGM_RSRC3_GFX90A:ACCUM_OFFSET: 0
; COMPUTE_PGM_RSRC3_GFX90A:TG_SPLIT: 0
	.section	.text._ZN7rocprim17ROCPRIM_400000_NS6detail17trampoline_kernelINS0_14default_configENS1_35adjacent_difference_config_selectorILb0E14custom_numericEEZNS1_24adjacent_difference_implIS3_Lb0ELb0EPS5_S8_N6thrust23THRUST_200600_302600_NS5minusIS5_EEEE10hipError_tPvRmT2_T3_mT4_P12ihipStream_tbEUlT_E_NS1_11comp_targetILNS1_3genE8ELNS1_11target_archE1030ELNS1_3gpuE2ELNS1_3repE0EEENS1_30default_config_static_selectorELNS0_4arch9wavefront6targetE1EEEvT1_,"axG",@progbits,_ZN7rocprim17ROCPRIM_400000_NS6detail17trampoline_kernelINS0_14default_configENS1_35adjacent_difference_config_selectorILb0E14custom_numericEEZNS1_24adjacent_difference_implIS3_Lb0ELb0EPS5_S8_N6thrust23THRUST_200600_302600_NS5minusIS5_EEEE10hipError_tPvRmT2_T3_mT4_P12ihipStream_tbEUlT_E_NS1_11comp_targetILNS1_3genE8ELNS1_11target_archE1030ELNS1_3gpuE2ELNS1_3repE0EEENS1_30default_config_static_selectorELNS0_4arch9wavefront6targetE1EEEvT1_,comdat
	.protected	_ZN7rocprim17ROCPRIM_400000_NS6detail17trampoline_kernelINS0_14default_configENS1_35adjacent_difference_config_selectorILb0E14custom_numericEEZNS1_24adjacent_difference_implIS3_Lb0ELb0EPS5_S8_N6thrust23THRUST_200600_302600_NS5minusIS5_EEEE10hipError_tPvRmT2_T3_mT4_P12ihipStream_tbEUlT_E_NS1_11comp_targetILNS1_3genE8ELNS1_11target_archE1030ELNS1_3gpuE2ELNS1_3repE0EEENS1_30default_config_static_selectorELNS0_4arch9wavefront6targetE1EEEvT1_ ; -- Begin function _ZN7rocprim17ROCPRIM_400000_NS6detail17trampoline_kernelINS0_14default_configENS1_35adjacent_difference_config_selectorILb0E14custom_numericEEZNS1_24adjacent_difference_implIS3_Lb0ELb0EPS5_S8_N6thrust23THRUST_200600_302600_NS5minusIS5_EEEE10hipError_tPvRmT2_T3_mT4_P12ihipStream_tbEUlT_E_NS1_11comp_targetILNS1_3genE8ELNS1_11target_archE1030ELNS1_3gpuE2ELNS1_3repE0EEENS1_30default_config_static_selectorELNS0_4arch9wavefront6targetE1EEEvT1_
	.globl	_ZN7rocprim17ROCPRIM_400000_NS6detail17trampoline_kernelINS0_14default_configENS1_35adjacent_difference_config_selectorILb0E14custom_numericEEZNS1_24adjacent_difference_implIS3_Lb0ELb0EPS5_S8_N6thrust23THRUST_200600_302600_NS5minusIS5_EEEE10hipError_tPvRmT2_T3_mT4_P12ihipStream_tbEUlT_E_NS1_11comp_targetILNS1_3genE8ELNS1_11target_archE1030ELNS1_3gpuE2ELNS1_3repE0EEENS1_30default_config_static_selectorELNS0_4arch9wavefront6targetE1EEEvT1_
	.p2align	8
	.type	_ZN7rocprim17ROCPRIM_400000_NS6detail17trampoline_kernelINS0_14default_configENS1_35adjacent_difference_config_selectorILb0E14custom_numericEEZNS1_24adjacent_difference_implIS3_Lb0ELb0EPS5_S8_N6thrust23THRUST_200600_302600_NS5minusIS5_EEEE10hipError_tPvRmT2_T3_mT4_P12ihipStream_tbEUlT_E_NS1_11comp_targetILNS1_3genE8ELNS1_11target_archE1030ELNS1_3gpuE2ELNS1_3repE0EEENS1_30default_config_static_selectorELNS0_4arch9wavefront6targetE1EEEvT1_,@function
_ZN7rocprim17ROCPRIM_400000_NS6detail17trampoline_kernelINS0_14default_configENS1_35adjacent_difference_config_selectorILb0E14custom_numericEEZNS1_24adjacent_difference_implIS3_Lb0ELb0EPS5_S8_N6thrust23THRUST_200600_302600_NS5minusIS5_EEEE10hipError_tPvRmT2_T3_mT4_P12ihipStream_tbEUlT_E_NS1_11comp_targetILNS1_3genE8ELNS1_11target_archE1030ELNS1_3gpuE2ELNS1_3repE0EEENS1_30default_config_static_selectorELNS0_4arch9wavefront6targetE1EEEvT1_: ; @_ZN7rocprim17ROCPRIM_400000_NS6detail17trampoline_kernelINS0_14default_configENS1_35adjacent_difference_config_selectorILb0E14custom_numericEEZNS1_24adjacent_difference_implIS3_Lb0ELb0EPS5_S8_N6thrust23THRUST_200600_302600_NS5minusIS5_EEEE10hipError_tPvRmT2_T3_mT4_P12ihipStream_tbEUlT_E_NS1_11comp_targetILNS1_3genE8ELNS1_11target_archE1030ELNS1_3gpuE2ELNS1_3repE0EEENS1_30default_config_static_selectorELNS0_4arch9wavefront6targetE1EEEvT1_
; %bb.0:
	.section	.rodata,"a",@progbits
	.p2align	6, 0x0
	.amdhsa_kernel _ZN7rocprim17ROCPRIM_400000_NS6detail17trampoline_kernelINS0_14default_configENS1_35adjacent_difference_config_selectorILb0E14custom_numericEEZNS1_24adjacent_difference_implIS3_Lb0ELb0EPS5_S8_N6thrust23THRUST_200600_302600_NS5minusIS5_EEEE10hipError_tPvRmT2_T3_mT4_P12ihipStream_tbEUlT_E_NS1_11comp_targetILNS1_3genE8ELNS1_11target_archE1030ELNS1_3gpuE2ELNS1_3repE0EEENS1_30default_config_static_selectorELNS0_4arch9wavefront6targetE1EEEvT1_
		.amdhsa_group_segment_fixed_size 0
		.amdhsa_private_segment_fixed_size 0
		.amdhsa_kernarg_size 56
		.amdhsa_user_sgpr_count 2
		.amdhsa_user_sgpr_dispatch_ptr 0
		.amdhsa_user_sgpr_queue_ptr 0
		.amdhsa_user_sgpr_kernarg_segment_ptr 1
		.amdhsa_user_sgpr_dispatch_id 0
		.amdhsa_user_sgpr_kernarg_preload_length 0
		.amdhsa_user_sgpr_kernarg_preload_offset 0
		.amdhsa_user_sgpr_private_segment_size 0
		.amdhsa_uses_dynamic_stack 0
		.amdhsa_enable_private_segment 0
		.amdhsa_system_sgpr_workgroup_id_x 1
		.amdhsa_system_sgpr_workgroup_id_y 0
		.amdhsa_system_sgpr_workgroup_id_z 0
		.amdhsa_system_sgpr_workgroup_info 0
		.amdhsa_system_vgpr_workitem_id 0
		.amdhsa_next_free_vgpr 1
		.amdhsa_next_free_sgpr 0
		.amdhsa_accum_offset 4
		.amdhsa_reserve_vcc 0
		.amdhsa_float_round_mode_32 0
		.amdhsa_float_round_mode_16_64 0
		.amdhsa_float_denorm_mode_32 3
		.amdhsa_float_denorm_mode_16_64 3
		.amdhsa_dx10_clamp 1
		.amdhsa_ieee_mode 1
		.amdhsa_fp16_overflow 0
		.amdhsa_tg_split 0
		.amdhsa_exception_fp_ieee_invalid_op 0
		.amdhsa_exception_fp_denorm_src 0
		.amdhsa_exception_fp_ieee_div_zero 0
		.amdhsa_exception_fp_ieee_overflow 0
		.amdhsa_exception_fp_ieee_underflow 0
		.amdhsa_exception_fp_ieee_inexact 0
		.amdhsa_exception_int_div_zero 0
	.end_amdhsa_kernel
	.section	.text._ZN7rocprim17ROCPRIM_400000_NS6detail17trampoline_kernelINS0_14default_configENS1_35adjacent_difference_config_selectorILb0E14custom_numericEEZNS1_24adjacent_difference_implIS3_Lb0ELb0EPS5_S8_N6thrust23THRUST_200600_302600_NS5minusIS5_EEEE10hipError_tPvRmT2_T3_mT4_P12ihipStream_tbEUlT_E_NS1_11comp_targetILNS1_3genE8ELNS1_11target_archE1030ELNS1_3gpuE2ELNS1_3repE0EEENS1_30default_config_static_selectorELNS0_4arch9wavefront6targetE1EEEvT1_,"axG",@progbits,_ZN7rocprim17ROCPRIM_400000_NS6detail17trampoline_kernelINS0_14default_configENS1_35adjacent_difference_config_selectorILb0E14custom_numericEEZNS1_24adjacent_difference_implIS3_Lb0ELb0EPS5_S8_N6thrust23THRUST_200600_302600_NS5minusIS5_EEEE10hipError_tPvRmT2_T3_mT4_P12ihipStream_tbEUlT_E_NS1_11comp_targetILNS1_3genE8ELNS1_11target_archE1030ELNS1_3gpuE2ELNS1_3repE0EEENS1_30default_config_static_selectorELNS0_4arch9wavefront6targetE1EEEvT1_,comdat
.Lfunc_end216:
	.size	_ZN7rocprim17ROCPRIM_400000_NS6detail17trampoline_kernelINS0_14default_configENS1_35adjacent_difference_config_selectorILb0E14custom_numericEEZNS1_24adjacent_difference_implIS3_Lb0ELb0EPS5_S8_N6thrust23THRUST_200600_302600_NS5minusIS5_EEEE10hipError_tPvRmT2_T3_mT4_P12ihipStream_tbEUlT_E_NS1_11comp_targetILNS1_3genE8ELNS1_11target_archE1030ELNS1_3gpuE2ELNS1_3repE0EEENS1_30default_config_static_selectorELNS0_4arch9wavefront6targetE1EEEvT1_, .Lfunc_end216-_ZN7rocprim17ROCPRIM_400000_NS6detail17trampoline_kernelINS0_14default_configENS1_35adjacent_difference_config_selectorILb0E14custom_numericEEZNS1_24adjacent_difference_implIS3_Lb0ELb0EPS5_S8_N6thrust23THRUST_200600_302600_NS5minusIS5_EEEE10hipError_tPvRmT2_T3_mT4_P12ihipStream_tbEUlT_E_NS1_11comp_targetILNS1_3genE8ELNS1_11target_archE1030ELNS1_3gpuE2ELNS1_3repE0EEENS1_30default_config_static_selectorELNS0_4arch9wavefront6targetE1EEEvT1_
                                        ; -- End function
	.section	.AMDGPU.csdata,"",@progbits
; Kernel info:
; codeLenInByte = 0
; NumSgprs: 6
; NumVgprs: 0
; NumAgprs: 0
; TotalNumVgprs: 0
; ScratchSize: 0
; MemoryBound: 0
; FloatMode: 240
; IeeeMode: 1
; LDSByteSize: 0 bytes/workgroup (compile time only)
; SGPRBlocks: 0
; VGPRBlocks: 0
; NumSGPRsForWavesPerEU: 6
; NumVGPRsForWavesPerEU: 1
; AccumOffset: 4
; Occupancy: 8
; WaveLimiterHint : 0
; COMPUTE_PGM_RSRC2:SCRATCH_EN: 0
; COMPUTE_PGM_RSRC2:USER_SGPR: 2
; COMPUTE_PGM_RSRC2:TRAP_HANDLER: 0
; COMPUTE_PGM_RSRC2:TGID_X_EN: 1
; COMPUTE_PGM_RSRC2:TGID_Y_EN: 0
; COMPUTE_PGM_RSRC2:TGID_Z_EN: 0
; COMPUTE_PGM_RSRC2:TIDIG_COMP_CNT: 0
; COMPUTE_PGM_RSRC3_GFX90A:ACCUM_OFFSET: 0
; COMPUTE_PGM_RSRC3_GFX90A:TG_SPLIT: 0
	.section	.text._ZN7rocprim17ROCPRIM_400000_NS6detail17trampoline_kernelINS0_14default_configENS1_25transform_config_selectorI14custom_numericLb0EEEZNS1_14transform_implILb0ES3_S6_NS0_18transform_iteratorINS0_17counting_iteratorImlEEZNS1_24adjacent_difference_implIS3_Lb1ELb0EPS5_SC_N6thrust23THRUST_200600_302600_NS5minusIS5_EEEE10hipError_tPvRmT2_T3_mT4_P12ihipStream_tbEUlmE_S5_EESC_NS0_8identityIvEEEESH_SK_SL_mSM_SO_bEUlT_E_NS1_11comp_targetILNS1_3genE0ELNS1_11target_archE4294967295ELNS1_3gpuE0ELNS1_3repE0EEENS1_30default_config_static_selectorELNS0_4arch9wavefront6targetE1EEEvT1_,"axG",@progbits,_ZN7rocprim17ROCPRIM_400000_NS6detail17trampoline_kernelINS0_14default_configENS1_25transform_config_selectorI14custom_numericLb0EEEZNS1_14transform_implILb0ES3_S6_NS0_18transform_iteratorINS0_17counting_iteratorImlEEZNS1_24adjacent_difference_implIS3_Lb1ELb0EPS5_SC_N6thrust23THRUST_200600_302600_NS5minusIS5_EEEE10hipError_tPvRmT2_T3_mT4_P12ihipStream_tbEUlmE_S5_EESC_NS0_8identityIvEEEESH_SK_SL_mSM_SO_bEUlT_E_NS1_11comp_targetILNS1_3genE0ELNS1_11target_archE4294967295ELNS1_3gpuE0ELNS1_3repE0EEENS1_30default_config_static_selectorELNS0_4arch9wavefront6targetE1EEEvT1_,comdat
	.protected	_ZN7rocprim17ROCPRIM_400000_NS6detail17trampoline_kernelINS0_14default_configENS1_25transform_config_selectorI14custom_numericLb0EEEZNS1_14transform_implILb0ES3_S6_NS0_18transform_iteratorINS0_17counting_iteratorImlEEZNS1_24adjacent_difference_implIS3_Lb1ELb0EPS5_SC_N6thrust23THRUST_200600_302600_NS5minusIS5_EEEE10hipError_tPvRmT2_T3_mT4_P12ihipStream_tbEUlmE_S5_EESC_NS0_8identityIvEEEESH_SK_SL_mSM_SO_bEUlT_E_NS1_11comp_targetILNS1_3genE0ELNS1_11target_archE4294967295ELNS1_3gpuE0ELNS1_3repE0EEENS1_30default_config_static_selectorELNS0_4arch9wavefront6targetE1EEEvT1_ ; -- Begin function _ZN7rocprim17ROCPRIM_400000_NS6detail17trampoline_kernelINS0_14default_configENS1_25transform_config_selectorI14custom_numericLb0EEEZNS1_14transform_implILb0ES3_S6_NS0_18transform_iteratorINS0_17counting_iteratorImlEEZNS1_24adjacent_difference_implIS3_Lb1ELb0EPS5_SC_N6thrust23THRUST_200600_302600_NS5minusIS5_EEEE10hipError_tPvRmT2_T3_mT4_P12ihipStream_tbEUlmE_S5_EESC_NS0_8identityIvEEEESH_SK_SL_mSM_SO_bEUlT_E_NS1_11comp_targetILNS1_3genE0ELNS1_11target_archE4294967295ELNS1_3gpuE0ELNS1_3repE0EEENS1_30default_config_static_selectorELNS0_4arch9wavefront6targetE1EEEvT1_
	.globl	_ZN7rocprim17ROCPRIM_400000_NS6detail17trampoline_kernelINS0_14default_configENS1_25transform_config_selectorI14custom_numericLb0EEEZNS1_14transform_implILb0ES3_S6_NS0_18transform_iteratorINS0_17counting_iteratorImlEEZNS1_24adjacent_difference_implIS3_Lb1ELb0EPS5_SC_N6thrust23THRUST_200600_302600_NS5minusIS5_EEEE10hipError_tPvRmT2_T3_mT4_P12ihipStream_tbEUlmE_S5_EESC_NS0_8identityIvEEEESH_SK_SL_mSM_SO_bEUlT_E_NS1_11comp_targetILNS1_3genE0ELNS1_11target_archE4294967295ELNS1_3gpuE0ELNS1_3repE0EEENS1_30default_config_static_selectorELNS0_4arch9wavefront6targetE1EEEvT1_
	.p2align	8
	.type	_ZN7rocprim17ROCPRIM_400000_NS6detail17trampoline_kernelINS0_14default_configENS1_25transform_config_selectorI14custom_numericLb0EEEZNS1_14transform_implILb0ES3_S6_NS0_18transform_iteratorINS0_17counting_iteratorImlEEZNS1_24adjacent_difference_implIS3_Lb1ELb0EPS5_SC_N6thrust23THRUST_200600_302600_NS5minusIS5_EEEE10hipError_tPvRmT2_T3_mT4_P12ihipStream_tbEUlmE_S5_EESC_NS0_8identityIvEEEESH_SK_SL_mSM_SO_bEUlT_E_NS1_11comp_targetILNS1_3genE0ELNS1_11target_archE4294967295ELNS1_3gpuE0ELNS1_3repE0EEENS1_30default_config_static_selectorELNS0_4arch9wavefront6targetE1EEEvT1_,@function
_ZN7rocprim17ROCPRIM_400000_NS6detail17trampoline_kernelINS0_14default_configENS1_25transform_config_selectorI14custom_numericLb0EEEZNS1_14transform_implILb0ES3_S6_NS0_18transform_iteratorINS0_17counting_iteratorImlEEZNS1_24adjacent_difference_implIS3_Lb1ELb0EPS5_SC_N6thrust23THRUST_200600_302600_NS5minusIS5_EEEE10hipError_tPvRmT2_T3_mT4_P12ihipStream_tbEUlmE_S5_EESC_NS0_8identityIvEEEESH_SK_SL_mSM_SO_bEUlT_E_NS1_11comp_targetILNS1_3genE0ELNS1_11target_archE4294967295ELNS1_3gpuE0ELNS1_3repE0EEENS1_30default_config_static_selectorELNS0_4arch9wavefront6targetE1EEEvT1_: ; @_ZN7rocprim17ROCPRIM_400000_NS6detail17trampoline_kernelINS0_14default_configENS1_25transform_config_selectorI14custom_numericLb0EEEZNS1_14transform_implILb0ES3_S6_NS0_18transform_iteratorINS0_17counting_iteratorImlEEZNS1_24adjacent_difference_implIS3_Lb1ELb0EPS5_SC_N6thrust23THRUST_200600_302600_NS5minusIS5_EEEE10hipError_tPvRmT2_T3_mT4_P12ihipStream_tbEUlmE_S5_EESC_NS0_8identityIvEEEESH_SK_SL_mSM_SO_bEUlT_E_NS1_11comp_targetILNS1_3genE0ELNS1_11target_archE4294967295ELNS1_3gpuE0ELNS1_3repE0EEENS1_30default_config_static_selectorELNS0_4arch9wavefront6targetE1EEEvT1_
; %bb.0:
	.section	.rodata,"a",@progbits
	.p2align	6, 0x0
	.amdhsa_kernel _ZN7rocprim17ROCPRIM_400000_NS6detail17trampoline_kernelINS0_14default_configENS1_25transform_config_selectorI14custom_numericLb0EEEZNS1_14transform_implILb0ES3_S6_NS0_18transform_iteratorINS0_17counting_iteratorImlEEZNS1_24adjacent_difference_implIS3_Lb1ELb0EPS5_SC_N6thrust23THRUST_200600_302600_NS5minusIS5_EEEE10hipError_tPvRmT2_T3_mT4_P12ihipStream_tbEUlmE_S5_EESC_NS0_8identityIvEEEESH_SK_SL_mSM_SO_bEUlT_E_NS1_11comp_targetILNS1_3genE0ELNS1_11target_archE4294967295ELNS1_3gpuE0ELNS1_3repE0EEENS1_30default_config_static_selectorELNS0_4arch9wavefront6targetE1EEEvT1_
		.amdhsa_group_segment_fixed_size 0
		.amdhsa_private_segment_fixed_size 0
		.amdhsa_kernarg_size 56
		.amdhsa_user_sgpr_count 2
		.amdhsa_user_sgpr_dispatch_ptr 0
		.amdhsa_user_sgpr_queue_ptr 0
		.amdhsa_user_sgpr_kernarg_segment_ptr 1
		.amdhsa_user_sgpr_dispatch_id 0
		.amdhsa_user_sgpr_kernarg_preload_length 0
		.amdhsa_user_sgpr_kernarg_preload_offset 0
		.amdhsa_user_sgpr_private_segment_size 0
		.amdhsa_uses_dynamic_stack 0
		.amdhsa_enable_private_segment 0
		.amdhsa_system_sgpr_workgroup_id_x 1
		.amdhsa_system_sgpr_workgroup_id_y 0
		.amdhsa_system_sgpr_workgroup_id_z 0
		.amdhsa_system_sgpr_workgroup_info 0
		.amdhsa_system_vgpr_workitem_id 0
		.amdhsa_next_free_vgpr 1
		.amdhsa_next_free_sgpr 0
		.amdhsa_accum_offset 4
		.amdhsa_reserve_vcc 0
		.amdhsa_float_round_mode_32 0
		.amdhsa_float_round_mode_16_64 0
		.amdhsa_float_denorm_mode_32 3
		.amdhsa_float_denorm_mode_16_64 3
		.amdhsa_dx10_clamp 1
		.amdhsa_ieee_mode 1
		.amdhsa_fp16_overflow 0
		.amdhsa_tg_split 0
		.amdhsa_exception_fp_ieee_invalid_op 0
		.amdhsa_exception_fp_denorm_src 0
		.amdhsa_exception_fp_ieee_div_zero 0
		.amdhsa_exception_fp_ieee_overflow 0
		.amdhsa_exception_fp_ieee_underflow 0
		.amdhsa_exception_fp_ieee_inexact 0
		.amdhsa_exception_int_div_zero 0
	.end_amdhsa_kernel
	.section	.text._ZN7rocprim17ROCPRIM_400000_NS6detail17trampoline_kernelINS0_14default_configENS1_25transform_config_selectorI14custom_numericLb0EEEZNS1_14transform_implILb0ES3_S6_NS0_18transform_iteratorINS0_17counting_iteratorImlEEZNS1_24adjacent_difference_implIS3_Lb1ELb0EPS5_SC_N6thrust23THRUST_200600_302600_NS5minusIS5_EEEE10hipError_tPvRmT2_T3_mT4_P12ihipStream_tbEUlmE_S5_EESC_NS0_8identityIvEEEESH_SK_SL_mSM_SO_bEUlT_E_NS1_11comp_targetILNS1_3genE0ELNS1_11target_archE4294967295ELNS1_3gpuE0ELNS1_3repE0EEENS1_30default_config_static_selectorELNS0_4arch9wavefront6targetE1EEEvT1_,"axG",@progbits,_ZN7rocprim17ROCPRIM_400000_NS6detail17trampoline_kernelINS0_14default_configENS1_25transform_config_selectorI14custom_numericLb0EEEZNS1_14transform_implILb0ES3_S6_NS0_18transform_iteratorINS0_17counting_iteratorImlEEZNS1_24adjacent_difference_implIS3_Lb1ELb0EPS5_SC_N6thrust23THRUST_200600_302600_NS5minusIS5_EEEE10hipError_tPvRmT2_T3_mT4_P12ihipStream_tbEUlmE_S5_EESC_NS0_8identityIvEEEESH_SK_SL_mSM_SO_bEUlT_E_NS1_11comp_targetILNS1_3genE0ELNS1_11target_archE4294967295ELNS1_3gpuE0ELNS1_3repE0EEENS1_30default_config_static_selectorELNS0_4arch9wavefront6targetE1EEEvT1_,comdat
.Lfunc_end217:
	.size	_ZN7rocprim17ROCPRIM_400000_NS6detail17trampoline_kernelINS0_14default_configENS1_25transform_config_selectorI14custom_numericLb0EEEZNS1_14transform_implILb0ES3_S6_NS0_18transform_iteratorINS0_17counting_iteratorImlEEZNS1_24adjacent_difference_implIS3_Lb1ELb0EPS5_SC_N6thrust23THRUST_200600_302600_NS5minusIS5_EEEE10hipError_tPvRmT2_T3_mT4_P12ihipStream_tbEUlmE_S5_EESC_NS0_8identityIvEEEESH_SK_SL_mSM_SO_bEUlT_E_NS1_11comp_targetILNS1_3genE0ELNS1_11target_archE4294967295ELNS1_3gpuE0ELNS1_3repE0EEENS1_30default_config_static_selectorELNS0_4arch9wavefront6targetE1EEEvT1_, .Lfunc_end217-_ZN7rocprim17ROCPRIM_400000_NS6detail17trampoline_kernelINS0_14default_configENS1_25transform_config_selectorI14custom_numericLb0EEEZNS1_14transform_implILb0ES3_S6_NS0_18transform_iteratorINS0_17counting_iteratorImlEEZNS1_24adjacent_difference_implIS3_Lb1ELb0EPS5_SC_N6thrust23THRUST_200600_302600_NS5minusIS5_EEEE10hipError_tPvRmT2_T3_mT4_P12ihipStream_tbEUlmE_S5_EESC_NS0_8identityIvEEEESH_SK_SL_mSM_SO_bEUlT_E_NS1_11comp_targetILNS1_3genE0ELNS1_11target_archE4294967295ELNS1_3gpuE0ELNS1_3repE0EEENS1_30default_config_static_selectorELNS0_4arch9wavefront6targetE1EEEvT1_
                                        ; -- End function
	.section	.AMDGPU.csdata,"",@progbits
; Kernel info:
; codeLenInByte = 0
; NumSgprs: 6
; NumVgprs: 0
; NumAgprs: 0
; TotalNumVgprs: 0
; ScratchSize: 0
; MemoryBound: 0
; FloatMode: 240
; IeeeMode: 1
; LDSByteSize: 0 bytes/workgroup (compile time only)
; SGPRBlocks: 0
; VGPRBlocks: 0
; NumSGPRsForWavesPerEU: 6
; NumVGPRsForWavesPerEU: 1
; AccumOffset: 4
; Occupancy: 8
; WaveLimiterHint : 0
; COMPUTE_PGM_RSRC2:SCRATCH_EN: 0
; COMPUTE_PGM_RSRC2:USER_SGPR: 2
; COMPUTE_PGM_RSRC2:TRAP_HANDLER: 0
; COMPUTE_PGM_RSRC2:TGID_X_EN: 1
; COMPUTE_PGM_RSRC2:TGID_Y_EN: 0
; COMPUTE_PGM_RSRC2:TGID_Z_EN: 0
; COMPUTE_PGM_RSRC2:TIDIG_COMP_CNT: 0
; COMPUTE_PGM_RSRC3_GFX90A:ACCUM_OFFSET: 0
; COMPUTE_PGM_RSRC3_GFX90A:TG_SPLIT: 0
	.section	.text._ZN7rocprim17ROCPRIM_400000_NS6detail17trampoline_kernelINS0_14default_configENS1_25transform_config_selectorI14custom_numericLb0EEEZNS1_14transform_implILb0ES3_S6_NS0_18transform_iteratorINS0_17counting_iteratorImlEEZNS1_24adjacent_difference_implIS3_Lb1ELb0EPS5_SC_N6thrust23THRUST_200600_302600_NS5minusIS5_EEEE10hipError_tPvRmT2_T3_mT4_P12ihipStream_tbEUlmE_S5_EESC_NS0_8identityIvEEEESH_SK_SL_mSM_SO_bEUlT_E_NS1_11comp_targetILNS1_3genE5ELNS1_11target_archE942ELNS1_3gpuE9ELNS1_3repE0EEENS1_30default_config_static_selectorELNS0_4arch9wavefront6targetE1EEEvT1_,"axG",@progbits,_ZN7rocprim17ROCPRIM_400000_NS6detail17trampoline_kernelINS0_14default_configENS1_25transform_config_selectorI14custom_numericLb0EEEZNS1_14transform_implILb0ES3_S6_NS0_18transform_iteratorINS0_17counting_iteratorImlEEZNS1_24adjacent_difference_implIS3_Lb1ELb0EPS5_SC_N6thrust23THRUST_200600_302600_NS5minusIS5_EEEE10hipError_tPvRmT2_T3_mT4_P12ihipStream_tbEUlmE_S5_EESC_NS0_8identityIvEEEESH_SK_SL_mSM_SO_bEUlT_E_NS1_11comp_targetILNS1_3genE5ELNS1_11target_archE942ELNS1_3gpuE9ELNS1_3repE0EEENS1_30default_config_static_selectorELNS0_4arch9wavefront6targetE1EEEvT1_,comdat
	.protected	_ZN7rocprim17ROCPRIM_400000_NS6detail17trampoline_kernelINS0_14default_configENS1_25transform_config_selectorI14custom_numericLb0EEEZNS1_14transform_implILb0ES3_S6_NS0_18transform_iteratorINS0_17counting_iteratorImlEEZNS1_24adjacent_difference_implIS3_Lb1ELb0EPS5_SC_N6thrust23THRUST_200600_302600_NS5minusIS5_EEEE10hipError_tPvRmT2_T3_mT4_P12ihipStream_tbEUlmE_S5_EESC_NS0_8identityIvEEEESH_SK_SL_mSM_SO_bEUlT_E_NS1_11comp_targetILNS1_3genE5ELNS1_11target_archE942ELNS1_3gpuE9ELNS1_3repE0EEENS1_30default_config_static_selectorELNS0_4arch9wavefront6targetE1EEEvT1_ ; -- Begin function _ZN7rocprim17ROCPRIM_400000_NS6detail17trampoline_kernelINS0_14default_configENS1_25transform_config_selectorI14custom_numericLb0EEEZNS1_14transform_implILb0ES3_S6_NS0_18transform_iteratorINS0_17counting_iteratorImlEEZNS1_24adjacent_difference_implIS3_Lb1ELb0EPS5_SC_N6thrust23THRUST_200600_302600_NS5minusIS5_EEEE10hipError_tPvRmT2_T3_mT4_P12ihipStream_tbEUlmE_S5_EESC_NS0_8identityIvEEEESH_SK_SL_mSM_SO_bEUlT_E_NS1_11comp_targetILNS1_3genE5ELNS1_11target_archE942ELNS1_3gpuE9ELNS1_3repE0EEENS1_30default_config_static_selectorELNS0_4arch9wavefront6targetE1EEEvT1_
	.globl	_ZN7rocprim17ROCPRIM_400000_NS6detail17trampoline_kernelINS0_14default_configENS1_25transform_config_selectorI14custom_numericLb0EEEZNS1_14transform_implILb0ES3_S6_NS0_18transform_iteratorINS0_17counting_iteratorImlEEZNS1_24adjacent_difference_implIS3_Lb1ELb0EPS5_SC_N6thrust23THRUST_200600_302600_NS5minusIS5_EEEE10hipError_tPvRmT2_T3_mT4_P12ihipStream_tbEUlmE_S5_EESC_NS0_8identityIvEEEESH_SK_SL_mSM_SO_bEUlT_E_NS1_11comp_targetILNS1_3genE5ELNS1_11target_archE942ELNS1_3gpuE9ELNS1_3repE0EEENS1_30default_config_static_selectorELNS0_4arch9wavefront6targetE1EEEvT1_
	.p2align	8
	.type	_ZN7rocprim17ROCPRIM_400000_NS6detail17trampoline_kernelINS0_14default_configENS1_25transform_config_selectorI14custom_numericLb0EEEZNS1_14transform_implILb0ES3_S6_NS0_18transform_iteratorINS0_17counting_iteratorImlEEZNS1_24adjacent_difference_implIS3_Lb1ELb0EPS5_SC_N6thrust23THRUST_200600_302600_NS5minusIS5_EEEE10hipError_tPvRmT2_T3_mT4_P12ihipStream_tbEUlmE_S5_EESC_NS0_8identityIvEEEESH_SK_SL_mSM_SO_bEUlT_E_NS1_11comp_targetILNS1_3genE5ELNS1_11target_archE942ELNS1_3gpuE9ELNS1_3repE0EEENS1_30default_config_static_selectorELNS0_4arch9wavefront6targetE1EEEvT1_,@function
_ZN7rocprim17ROCPRIM_400000_NS6detail17trampoline_kernelINS0_14default_configENS1_25transform_config_selectorI14custom_numericLb0EEEZNS1_14transform_implILb0ES3_S6_NS0_18transform_iteratorINS0_17counting_iteratorImlEEZNS1_24adjacent_difference_implIS3_Lb1ELb0EPS5_SC_N6thrust23THRUST_200600_302600_NS5minusIS5_EEEE10hipError_tPvRmT2_T3_mT4_P12ihipStream_tbEUlmE_S5_EESC_NS0_8identityIvEEEESH_SK_SL_mSM_SO_bEUlT_E_NS1_11comp_targetILNS1_3genE5ELNS1_11target_archE942ELNS1_3gpuE9ELNS1_3repE0EEENS1_30default_config_static_selectorELNS0_4arch9wavefront6targetE1EEEvT1_: ; @_ZN7rocprim17ROCPRIM_400000_NS6detail17trampoline_kernelINS0_14default_configENS1_25transform_config_selectorI14custom_numericLb0EEEZNS1_14transform_implILb0ES3_S6_NS0_18transform_iteratorINS0_17counting_iteratorImlEEZNS1_24adjacent_difference_implIS3_Lb1ELb0EPS5_SC_N6thrust23THRUST_200600_302600_NS5minusIS5_EEEE10hipError_tPvRmT2_T3_mT4_P12ihipStream_tbEUlmE_S5_EESC_NS0_8identityIvEEEESH_SK_SL_mSM_SO_bEUlT_E_NS1_11comp_targetILNS1_3genE5ELNS1_11target_archE942ELNS1_3gpuE9ELNS1_3repE0EEENS1_30default_config_static_selectorELNS0_4arch9wavefront6targetE1EEEvT1_
; %bb.0:
	s_load_dwordx4 s[8:11], s[0:1], 0x18
	s_load_dwordx4 s[4:7], s[0:1], 0x0
	s_waitcnt lgkmcnt(0)
	s_load_dword s11, s[0:1], 0x10
	s_load_dwordx2 s[12:13], s[0:1], 0x28
	s_load_dword s3, s[0:1], 0x38
	s_mul_i32 s16, s2, 0x300
	s_mul_hi_u32 s14, s16, 20
	s_mul_i32 s0, s9, 20
	s_mul_hi_u32 s1, s8, 20
	s_add_i32 s1, s1, s0
	s_mul_i32 s0, s8, 20
	s_waitcnt lgkmcnt(0)
	s_add_u32 s12, s12, s0
	s_addc_u32 s13, s13, s1
	s_add_i32 s3, s3, -1
	s_add_u32 s0, s4, s16
	s_addc_u32 s1, s5, 0
	s_add_u32 s4, s0, s8
	s_addc_u32 s5, s1, s9
	s_cmp_lg_u32 s2, s3
	s_mul_i32 s15, s16, 20
	s_cbranch_scc0 .LBB218_2
; %bb.1:
	v_mov_b32_e32 v1, 0
	v_lshl_add_u64 v[2:3], s[4:5], 0, v[0:1]
	v_mad_u64_u32 v[4:5], s[0:1], v2, s11, 0
	v_mov_b32_e32 v2, v5
	v_mad_u64_u32 v[6:7], s[0:1], v4, 20, s[6:7]
	v_mad_u64_u32 v[2:3], s[0:1], v3, s11, v[2:3]
	v_mov_b32_e32 v4, v7
	v_mad_u64_u32 v[2:3], s[0:1], v2, 20, v[4:5]
	v_mov_b32_e32 v7, v2
	s_lshl_b32 s2, s11, 8
	v_mad_u64_u32 v[2:3], s[0:1], s2, 20, v[6:7]
	s_lshr_b32 s0, s11, 24
	s_mul_i32 s3, s0, 20
	v_add_u32_e32 v3, s3, v3
	global_load_dword v4, v[6:7], off
	global_load_dword v12, v[2:3], off
	v_mad_u64_u32 v[2:3], s[0:1], s2, 20, v[2:3]
	v_add_u32_e32 v3, s3, v3
	global_load_dword v2, v[2:3], off
	s_add_u32 s2, s12, s15
	s_addc_u32 s3, s13, s14
	v_mad_u64_u32 v[10:11], s[2:3], v0, 20, s[2:3]
	v_add_co_u32_e32 v8, vcc, 0x1000, v10
	s_nop 1
	v_addc_co_u32_e32 v9, vcc, 0, v11, vcc
	s_mov_b64 s[2:3], -1
	s_waitcnt vmcnt(2)
	v_mov_b32_e32 v5, v4
	v_mov_b32_e32 v6, v4
	;; [unrolled: 1-line block ×3, first 2 shown]
	s_waitcnt vmcnt(1)
	v_mov_b32_e32 v13, v12
	v_mov_b32_e32 v14, v12
	;; [unrolled: 1-line block ×3, first 2 shown]
	global_store_dword v[10:11], v4, off offset:16
	global_store_dwordx4 v[10:11], v[4:7], off
	global_store_dword v[8:9], v12, off offset:1040
	global_store_dwordx4 v[8:9], v[12:15], off offset:1024
	s_cbranch_execz .LBB218_3
	s_branch .LBB218_14
.LBB218_2:
	s_mov_b64 s[2:3], 0
                                        ; implicit-def: $vgpr2
                                        ; implicit-def: $vgpr10_vgpr11
.LBB218_3:
	s_sub_i32 s8, s10, s16
	v_cmp_gt_u32_e32 vcc, s8, v0
	v_mov_b32_e32 v4, 0
	v_mov_b32_e32 v6, 0
	s_and_saveexec_b64 s[0:1], vcc
	s_cbranch_execz .LBB218_5
; %bb.4:
	v_mov_b32_e32 v1, 0
	s_waitcnt vmcnt(4)
	v_lshl_add_u64 v[2:3], s[4:5], 0, v[0:1]
	v_mad_u64_u32 v[6:7], s[2:3], v2, s11, 0
	v_mov_b32_e32 v2, v7
	v_mad_u64_u32 v[6:7], s[2:3], v6, 20, s[6:7]
	v_mad_u64_u32 v[2:3], s[2:3], v3, s11, v[2:3]
	v_mov_b32_e32 v8, v7
	v_mad_u64_u32 v[2:3], s[2:3], v2, 20, v[8:9]
	v_mov_b32_e32 v7, v2
	global_load_dword v6, v[6:7], off
.LBB218_5:
	s_or_b64 exec, exec, s[0:1]
	s_waitcnt vmcnt(4)
	v_or_b32_e32 v2, 0x100, v0
	v_cmp_gt_u32_e64 s[0:1], s8, v2
	s_and_saveexec_b64 s[2:3], s[0:1]
	s_cbranch_execz .LBB218_7
; %bb.6:
	v_mov_b32_e32 v3, 0
	v_lshl_add_u64 v[2:3], s[4:5], 0, v[2:3]
	v_mad_u64_u32 v[4:5], s[16:17], v2, s11, 0
	v_mov_b32_e32 v2, v5
	v_mad_u64_u32 v[4:5], s[16:17], v4, 20, s[6:7]
	v_mad_u64_u32 v[2:3], s[16:17], v3, s11, v[2:3]
	v_mov_b32_e32 v8, v5
	v_mad_u64_u32 v[2:3], s[16:17], v2, 20, v[8:9]
	v_mov_b32_e32 v5, v2
	global_load_dword v4, v[4:5], off
.LBB218_7:
	s_or_b64 exec, exec, s[2:3]
	v_or_b32_e32 v8, 0x200, v0
	v_cmp_gt_u32_e64 s[2:3], s8, v8
	v_mov_b32_e32 v2, 0
	s_and_saveexec_b64 s[8:9], s[2:3]
	s_cbranch_execz .LBB218_9
; %bb.8:
	v_mov_b32_e32 v9, 0
	v_lshl_add_u64 v[2:3], s[4:5], 0, v[8:9]
	v_mad_u64_u32 v[8:9], s[4:5], v2, s11, 0
	v_mov_b32_e32 v2, v9
	v_mad_u64_u32 v[8:9], s[4:5], v8, 20, s[6:7]
	v_mad_u64_u32 v[2:3], s[4:5], v3, s11, v[2:3]
	v_mov_b32_e32 v10, v9
	v_mad_u64_u32 v[2:3], s[4:5], v2, 20, v[10:11]
	v_mov_b32_e32 v9, v2
	global_load_dword v2, v[8:9], off
.LBB218_9:
	s_or_b64 exec, exec, s[8:9]
	s_add_u32 s4, s12, s15
	s_addc_u32 s5, s13, s14
	v_mad_u64_u32 v[10:11], s[4:5], v0, 20, s[4:5]
	s_and_saveexec_b64 s[4:5], vcc
	s_cbranch_execz .LBB218_11
; %bb.10:
	s_waitcnt vmcnt(0)
	v_mov_b32_e32 v7, v6
	v_mov_b32_e32 v8, v6
	;; [unrolled: 1-line block ×3, first 2 shown]
	global_store_dwordx4 v[10:11], v[6:9], off
	global_store_dword v[10:11], v6, off offset:16
.LBB218_11:
	s_or_b64 exec, exec, s[4:5]
	s_and_saveexec_b64 s[4:5], s[0:1]
	s_cbranch_execz .LBB218_13
; %bb.12:
	v_add_co_u32_e32 v0, vcc, 0x1000, v10
	s_waitcnt vmcnt(0)
	v_mov_b32_e32 v5, v4
	v_mov_b32_e32 v6, v4
	;; [unrolled: 1-line block ×3, first 2 shown]
	v_addc_co_u32_e32 v1, vcc, 0, v11, vcc
	global_store_dwordx4 v[0:1], v[4:7], off offset:1024
	global_store_dword v[0:1], v4, off offset:1040
.LBB218_13:
	s_or_b64 exec, exec, s[4:5]
.LBB218_14:
	s_and_saveexec_b64 s[0:1], s[2:3]
	s_cbranch_execnz .LBB218_16
; %bb.15:
	s_endpgm
.LBB218_16:
	v_add_co_u32_e32 v0, vcc, 0x2000, v10
	s_waitcnt vmcnt(0)
	v_mov_b32_e32 v3, v2
	v_mov_b32_e32 v4, v2
	;; [unrolled: 1-line block ×3, first 2 shown]
	v_addc_co_u32_e32 v1, vcc, 0, v11, vcc
	global_store_dwordx4 v[0:1], v[2:5], off offset:2048
	global_store_dword v[0:1], v2, off offset:2064
	s_endpgm
	.section	.rodata,"a",@progbits
	.p2align	6, 0x0
	.amdhsa_kernel _ZN7rocprim17ROCPRIM_400000_NS6detail17trampoline_kernelINS0_14default_configENS1_25transform_config_selectorI14custom_numericLb0EEEZNS1_14transform_implILb0ES3_S6_NS0_18transform_iteratorINS0_17counting_iteratorImlEEZNS1_24adjacent_difference_implIS3_Lb1ELb0EPS5_SC_N6thrust23THRUST_200600_302600_NS5minusIS5_EEEE10hipError_tPvRmT2_T3_mT4_P12ihipStream_tbEUlmE_S5_EESC_NS0_8identityIvEEEESH_SK_SL_mSM_SO_bEUlT_E_NS1_11comp_targetILNS1_3genE5ELNS1_11target_archE942ELNS1_3gpuE9ELNS1_3repE0EEENS1_30default_config_static_selectorELNS0_4arch9wavefront6targetE1EEEvT1_
		.amdhsa_group_segment_fixed_size 0
		.amdhsa_private_segment_fixed_size 0
		.amdhsa_kernarg_size 312
		.amdhsa_user_sgpr_count 2
		.amdhsa_user_sgpr_dispatch_ptr 0
		.amdhsa_user_sgpr_queue_ptr 0
		.amdhsa_user_sgpr_kernarg_segment_ptr 1
		.amdhsa_user_sgpr_dispatch_id 0
		.amdhsa_user_sgpr_kernarg_preload_length 0
		.amdhsa_user_sgpr_kernarg_preload_offset 0
		.amdhsa_user_sgpr_private_segment_size 0
		.amdhsa_uses_dynamic_stack 0
		.amdhsa_enable_private_segment 0
		.amdhsa_system_sgpr_workgroup_id_x 1
		.amdhsa_system_sgpr_workgroup_id_y 0
		.amdhsa_system_sgpr_workgroup_id_z 0
		.amdhsa_system_sgpr_workgroup_info 0
		.amdhsa_system_vgpr_workitem_id 0
		.amdhsa_next_free_vgpr 16
		.amdhsa_next_free_sgpr 18
		.amdhsa_accum_offset 16
		.amdhsa_reserve_vcc 1
		.amdhsa_float_round_mode_32 0
		.amdhsa_float_round_mode_16_64 0
		.amdhsa_float_denorm_mode_32 3
		.amdhsa_float_denorm_mode_16_64 3
		.amdhsa_dx10_clamp 1
		.amdhsa_ieee_mode 1
		.amdhsa_fp16_overflow 0
		.amdhsa_tg_split 0
		.amdhsa_exception_fp_ieee_invalid_op 0
		.amdhsa_exception_fp_denorm_src 0
		.amdhsa_exception_fp_ieee_div_zero 0
		.amdhsa_exception_fp_ieee_overflow 0
		.amdhsa_exception_fp_ieee_underflow 0
		.amdhsa_exception_fp_ieee_inexact 0
		.amdhsa_exception_int_div_zero 0
	.end_amdhsa_kernel
	.section	.text._ZN7rocprim17ROCPRIM_400000_NS6detail17trampoline_kernelINS0_14default_configENS1_25transform_config_selectorI14custom_numericLb0EEEZNS1_14transform_implILb0ES3_S6_NS0_18transform_iteratorINS0_17counting_iteratorImlEEZNS1_24adjacent_difference_implIS3_Lb1ELb0EPS5_SC_N6thrust23THRUST_200600_302600_NS5minusIS5_EEEE10hipError_tPvRmT2_T3_mT4_P12ihipStream_tbEUlmE_S5_EESC_NS0_8identityIvEEEESH_SK_SL_mSM_SO_bEUlT_E_NS1_11comp_targetILNS1_3genE5ELNS1_11target_archE942ELNS1_3gpuE9ELNS1_3repE0EEENS1_30default_config_static_selectorELNS0_4arch9wavefront6targetE1EEEvT1_,"axG",@progbits,_ZN7rocprim17ROCPRIM_400000_NS6detail17trampoline_kernelINS0_14default_configENS1_25transform_config_selectorI14custom_numericLb0EEEZNS1_14transform_implILb0ES3_S6_NS0_18transform_iteratorINS0_17counting_iteratorImlEEZNS1_24adjacent_difference_implIS3_Lb1ELb0EPS5_SC_N6thrust23THRUST_200600_302600_NS5minusIS5_EEEE10hipError_tPvRmT2_T3_mT4_P12ihipStream_tbEUlmE_S5_EESC_NS0_8identityIvEEEESH_SK_SL_mSM_SO_bEUlT_E_NS1_11comp_targetILNS1_3genE5ELNS1_11target_archE942ELNS1_3gpuE9ELNS1_3repE0EEENS1_30default_config_static_selectorELNS0_4arch9wavefront6targetE1EEEvT1_,comdat
.Lfunc_end218:
	.size	_ZN7rocprim17ROCPRIM_400000_NS6detail17trampoline_kernelINS0_14default_configENS1_25transform_config_selectorI14custom_numericLb0EEEZNS1_14transform_implILb0ES3_S6_NS0_18transform_iteratorINS0_17counting_iteratorImlEEZNS1_24adjacent_difference_implIS3_Lb1ELb0EPS5_SC_N6thrust23THRUST_200600_302600_NS5minusIS5_EEEE10hipError_tPvRmT2_T3_mT4_P12ihipStream_tbEUlmE_S5_EESC_NS0_8identityIvEEEESH_SK_SL_mSM_SO_bEUlT_E_NS1_11comp_targetILNS1_3genE5ELNS1_11target_archE942ELNS1_3gpuE9ELNS1_3repE0EEENS1_30default_config_static_selectorELNS0_4arch9wavefront6targetE1EEEvT1_, .Lfunc_end218-_ZN7rocprim17ROCPRIM_400000_NS6detail17trampoline_kernelINS0_14default_configENS1_25transform_config_selectorI14custom_numericLb0EEEZNS1_14transform_implILb0ES3_S6_NS0_18transform_iteratorINS0_17counting_iteratorImlEEZNS1_24adjacent_difference_implIS3_Lb1ELb0EPS5_SC_N6thrust23THRUST_200600_302600_NS5minusIS5_EEEE10hipError_tPvRmT2_T3_mT4_P12ihipStream_tbEUlmE_S5_EESC_NS0_8identityIvEEEESH_SK_SL_mSM_SO_bEUlT_E_NS1_11comp_targetILNS1_3genE5ELNS1_11target_archE942ELNS1_3gpuE9ELNS1_3repE0EEENS1_30default_config_static_selectorELNS0_4arch9wavefront6targetE1EEEvT1_
                                        ; -- End function
	.section	.AMDGPU.csdata,"",@progbits
; Kernel info:
; codeLenInByte = 808
; NumSgprs: 24
; NumVgprs: 16
; NumAgprs: 0
; TotalNumVgprs: 16
; ScratchSize: 0
; MemoryBound: 0
; FloatMode: 240
; IeeeMode: 1
; LDSByteSize: 0 bytes/workgroup (compile time only)
; SGPRBlocks: 2
; VGPRBlocks: 1
; NumSGPRsForWavesPerEU: 24
; NumVGPRsForWavesPerEU: 16
; AccumOffset: 16
; Occupancy: 8
; WaveLimiterHint : 1
; COMPUTE_PGM_RSRC2:SCRATCH_EN: 0
; COMPUTE_PGM_RSRC2:USER_SGPR: 2
; COMPUTE_PGM_RSRC2:TRAP_HANDLER: 0
; COMPUTE_PGM_RSRC2:TGID_X_EN: 1
; COMPUTE_PGM_RSRC2:TGID_Y_EN: 0
; COMPUTE_PGM_RSRC2:TGID_Z_EN: 0
; COMPUTE_PGM_RSRC2:TIDIG_COMP_CNT: 0
; COMPUTE_PGM_RSRC3_GFX90A:ACCUM_OFFSET: 3
; COMPUTE_PGM_RSRC3_GFX90A:TG_SPLIT: 0
	.section	.text._ZN7rocprim17ROCPRIM_400000_NS6detail17trampoline_kernelINS0_14default_configENS1_25transform_config_selectorI14custom_numericLb0EEEZNS1_14transform_implILb0ES3_S6_NS0_18transform_iteratorINS0_17counting_iteratorImlEEZNS1_24adjacent_difference_implIS3_Lb1ELb0EPS5_SC_N6thrust23THRUST_200600_302600_NS5minusIS5_EEEE10hipError_tPvRmT2_T3_mT4_P12ihipStream_tbEUlmE_S5_EESC_NS0_8identityIvEEEESH_SK_SL_mSM_SO_bEUlT_E_NS1_11comp_targetILNS1_3genE4ELNS1_11target_archE910ELNS1_3gpuE8ELNS1_3repE0EEENS1_30default_config_static_selectorELNS0_4arch9wavefront6targetE1EEEvT1_,"axG",@progbits,_ZN7rocprim17ROCPRIM_400000_NS6detail17trampoline_kernelINS0_14default_configENS1_25transform_config_selectorI14custom_numericLb0EEEZNS1_14transform_implILb0ES3_S6_NS0_18transform_iteratorINS0_17counting_iteratorImlEEZNS1_24adjacent_difference_implIS3_Lb1ELb0EPS5_SC_N6thrust23THRUST_200600_302600_NS5minusIS5_EEEE10hipError_tPvRmT2_T3_mT4_P12ihipStream_tbEUlmE_S5_EESC_NS0_8identityIvEEEESH_SK_SL_mSM_SO_bEUlT_E_NS1_11comp_targetILNS1_3genE4ELNS1_11target_archE910ELNS1_3gpuE8ELNS1_3repE0EEENS1_30default_config_static_selectorELNS0_4arch9wavefront6targetE1EEEvT1_,comdat
	.protected	_ZN7rocprim17ROCPRIM_400000_NS6detail17trampoline_kernelINS0_14default_configENS1_25transform_config_selectorI14custom_numericLb0EEEZNS1_14transform_implILb0ES3_S6_NS0_18transform_iteratorINS0_17counting_iteratorImlEEZNS1_24adjacent_difference_implIS3_Lb1ELb0EPS5_SC_N6thrust23THRUST_200600_302600_NS5minusIS5_EEEE10hipError_tPvRmT2_T3_mT4_P12ihipStream_tbEUlmE_S5_EESC_NS0_8identityIvEEEESH_SK_SL_mSM_SO_bEUlT_E_NS1_11comp_targetILNS1_3genE4ELNS1_11target_archE910ELNS1_3gpuE8ELNS1_3repE0EEENS1_30default_config_static_selectorELNS0_4arch9wavefront6targetE1EEEvT1_ ; -- Begin function _ZN7rocprim17ROCPRIM_400000_NS6detail17trampoline_kernelINS0_14default_configENS1_25transform_config_selectorI14custom_numericLb0EEEZNS1_14transform_implILb0ES3_S6_NS0_18transform_iteratorINS0_17counting_iteratorImlEEZNS1_24adjacent_difference_implIS3_Lb1ELb0EPS5_SC_N6thrust23THRUST_200600_302600_NS5minusIS5_EEEE10hipError_tPvRmT2_T3_mT4_P12ihipStream_tbEUlmE_S5_EESC_NS0_8identityIvEEEESH_SK_SL_mSM_SO_bEUlT_E_NS1_11comp_targetILNS1_3genE4ELNS1_11target_archE910ELNS1_3gpuE8ELNS1_3repE0EEENS1_30default_config_static_selectorELNS0_4arch9wavefront6targetE1EEEvT1_
	.globl	_ZN7rocprim17ROCPRIM_400000_NS6detail17trampoline_kernelINS0_14default_configENS1_25transform_config_selectorI14custom_numericLb0EEEZNS1_14transform_implILb0ES3_S6_NS0_18transform_iteratorINS0_17counting_iteratorImlEEZNS1_24adjacent_difference_implIS3_Lb1ELb0EPS5_SC_N6thrust23THRUST_200600_302600_NS5minusIS5_EEEE10hipError_tPvRmT2_T3_mT4_P12ihipStream_tbEUlmE_S5_EESC_NS0_8identityIvEEEESH_SK_SL_mSM_SO_bEUlT_E_NS1_11comp_targetILNS1_3genE4ELNS1_11target_archE910ELNS1_3gpuE8ELNS1_3repE0EEENS1_30default_config_static_selectorELNS0_4arch9wavefront6targetE1EEEvT1_
	.p2align	8
	.type	_ZN7rocprim17ROCPRIM_400000_NS6detail17trampoline_kernelINS0_14default_configENS1_25transform_config_selectorI14custom_numericLb0EEEZNS1_14transform_implILb0ES3_S6_NS0_18transform_iteratorINS0_17counting_iteratorImlEEZNS1_24adjacent_difference_implIS3_Lb1ELb0EPS5_SC_N6thrust23THRUST_200600_302600_NS5minusIS5_EEEE10hipError_tPvRmT2_T3_mT4_P12ihipStream_tbEUlmE_S5_EESC_NS0_8identityIvEEEESH_SK_SL_mSM_SO_bEUlT_E_NS1_11comp_targetILNS1_3genE4ELNS1_11target_archE910ELNS1_3gpuE8ELNS1_3repE0EEENS1_30default_config_static_selectorELNS0_4arch9wavefront6targetE1EEEvT1_,@function
_ZN7rocprim17ROCPRIM_400000_NS6detail17trampoline_kernelINS0_14default_configENS1_25transform_config_selectorI14custom_numericLb0EEEZNS1_14transform_implILb0ES3_S6_NS0_18transform_iteratorINS0_17counting_iteratorImlEEZNS1_24adjacent_difference_implIS3_Lb1ELb0EPS5_SC_N6thrust23THRUST_200600_302600_NS5minusIS5_EEEE10hipError_tPvRmT2_T3_mT4_P12ihipStream_tbEUlmE_S5_EESC_NS0_8identityIvEEEESH_SK_SL_mSM_SO_bEUlT_E_NS1_11comp_targetILNS1_3genE4ELNS1_11target_archE910ELNS1_3gpuE8ELNS1_3repE0EEENS1_30default_config_static_selectorELNS0_4arch9wavefront6targetE1EEEvT1_: ; @_ZN7rocprim17ROCPRIM_400000_NS6detail17trampoline_kernelINS0_14default_configENS1_25transform_config_selectorI14custom_numericLb0EEEZNS1_14transform_implILb0ES3_S6_NS0_18transform_iteratorINS0_17counting_iteratorImlEEZNS1_24adjacent_difference_implIS3_Lb1ELb0EPS5_SC_N6thrust23THRUST_200600_302600_NS5minusIS5_EEEE10hipError_tPvRmT2_T3_mT4_P12ihipStream_tbEUlmE_S5_EESC_NS0_8identityIvEEEESH_SK_SL_mSM_SO_bEUlT_E_NS1_11comp_targetILNS1_3genE4ELNS1_11target_archE910ELNS1_3gpuE8ELNS1_3repE0EEENS1_30default_config_static_selectorELNS0_4arch9wavefront6targetE1EEEvT1_
; %bb.0:
	.section	.rodata,"a",@progbits
	.p2align	6, 0x0
	.amdhsa_kernel _ZN7rocprim17ROCPRIM_400000_NS6detail17trampoline_kernelINS0_14default_configENS1_25transform_config_selectorI14custom_numericLb0EEEZNS1_14transform_implILb0ES3_S6_NS0_18transform_iteratorINS0_17counting_iteratorImlEEZNS1_24adjacent_difference_implIS3_Lb1ELb0EPS5_SC_N6thrust23THRUST_200600_302600_NS5minusIS5_EEEE10hipError_tPvRmT2_T3_mT4_P12ihipStream_tbEUlmE_S5_EESC_NS0_8identityIvEEEESH_SK_SL_mSM_SO_bEUlT_E_NS1_11comp_targetILNS1_3genE4ELNS1_11target_archE910ELNS1_3gpuE8ELNS1_3repE0EEENS1_30default_config_static_selectorELNS0_4arch9wavefront6targetE1EEEvT1_
		.amdhsa_group_segment_fixed_size 0
		.amdhsa_private_segment_fixed_size 0
		.amdhsa_kernarg_size 56
		.amdhsa_user_sgpr_count 2
		.amdhsa_user_sgpr_dispatch_ptr 0
		.amdhsa_user_sgpr_queue_ptr 0
		.amdhsa_user_sgpr_kernarg_segment_ptr 1
		.amdhsa_user_sgpr_dispatch_id 0
		.amdhsa_user_sgpr_kernarg_preload_length 0
		.amdhsa_user_sgpr_kernarg_preload_offset 0
		.amdhsa_user_sgpr_private_segment_size 0
		.amdhsa_uses_dynamic_stack 0
		.amdhsa_enable_private_segment 0
		.amdhsa_system_sgpr_workgroup_id_x 1
		.amdhsa_system_sgpr_workgroup_id_y 0
		.amdhsa_system_sgpr_workgroup_id_z 0
		.amdhsa_system_sgpr_workgroup_info 0
		.amdhsa_system_vgpr_workitem_id 0
		.amdhsa_next_free_vgpr 1
		.amdhsa_next_free_sgpr 0
		.amdhsa_accum_offset 4
		.amdhsa_reserve_vcc 0
		.amdhsa_float_round_mode_32 0
		.amdhsa_float_round_mode_16_64 0
		.amdhsa_float_denorm_mode_32 3
		.amdhsa_float_denorm_mode_16_64 3
		.amdhsa_dx10_clamp 1
		.amdhsa_ieee_mode 1
		.amdhsa_fp16_overflow 0
		.amdhsa_tg_split 0
		.amdhsa_exception_fp_ieee_invalid_op 0
		.amdhsa_exception_fp_denorm_src 0
		.amdhsa_exception_fp_ieee_div_zero 0
		.amdhsa_exception_fp_ieee_overflow 0
		.amdhsa_exception_fp_ieee_underflow 0
		.amdhsa_exception_fp_ieee_inexact 0
		.amdhsa_exception_int_div_zero 0
	.end_amdhsa_kernel
	.section	.text._ZN7rocprim17ROCPRIM_400000_NS6detail17trampoline_kernelINS0_14default_configENS1_25transform_config_selectorI14custom_numericLb0EEEZNS1_14transform_implILb0ES3_S6_NS0_18transform_iteratorINS0_17counting_iteratorImlEEZNS1_24adjacent_difference_implIS3_Lb1ELb0EPS5_SC_N6thrust23THRUST_200600_302600_NS5minusIS5_EEEE10hipError_tPvRmT2_T3_mT4_P12ihipStream_tbEUlmE_S5_EESC_NS0_8identityIvEEEESH_SK_SL_mSM_SO_bEUlT_E_NS1_11comp_targetILNS1_3genE4ELNS1_11target_archE910ELNS1_3gpuE8ELNS1_3repE0EEENS1_30default_config_static_selectorELNS0_4arch9wavefront6targetE1EEEvT1_,"axG",@progbits,_ZN7rocprim17ROCPRIM_400000_NS6detail17trampoline_kernelINS0_14default_configENS1_25transform_config_selectorI14custom_numericLb0EEEZNS1_14transform_implILb0ES3_S6_NS0_18transform_iteratorINS0_17counting_iteratorImlEEZNS1_24adjacent_difference_implIS3_Lb1ELb0EPS5_SC_N6thrust23THRUST_200600_302600_NS5minusIS5_EEEE10hipError_tPvRmT2_T3_mT4_P12ihipStream_tbEUlmE_S5_EESC_NS0_8identityIvEEEESH_SK_SL_mSM_SO_bEUlT_E_NS1_11comp_targetILNS1_3genE4ELNS1_11target_archE910ELNS1_3gpuE8ELNS1_3repE0EEENS1_30default_config_static_selectorELNS0_4arch9wavefront6targetE1EEEvT1_,comdat
.Lfunc_end219:
	.size	_ZN7rocprim17ROCPRIM_400000_NS6detail17trampoline_kernelINS0_14default_configENS1_25transform_config_selectorI14custom_numericLb0EEEZNS1_14transform_implILb0ES3_S6_NS0_18transform_iteratorINS0_17counting_iteratorImlEEZNS1_24adjacent_difference_implIS3_Lb1ELb0EPS5_SC_N6thrust23THRUST_200600_302600_NS5minusIS5_EEEE10hipError_tPvRmT2_T3_mT4_P12ihipStream_tbEUlmE_S5_EESC_NS0_8identityIvEEEESH_SK_SL_mSM_SO_bEUlT_E_NS1_11comp_targetILNS1_3genE4ELNS1_11target_archE910ELNS1_3gpuE8ELNS1_3repE0EEENS1_30default_config_static_selectorELNS0_4arch9wavefront6targetE1EEEvT1_, .Lfunc_end219-_ZN7rocprim17ROCPRIM_400000_NS6detail17trampoline_kernelINS0_14default_configENS1_25transform_config_selectorI14custom_numericLb0EEEZNS1_14transform_implILb0ES3_S6_NS0_18transform_iteratorINS0_17counting_iteratorImlEEZNS1_24adjacent_difference_implIS3_Lb1ELb0EPS5_SC_N6thrust23THRUST_200600_302600_NS5minusIS5_EEEE10hipError_tPvRmT2_T3_mT4_P12ihipStream_tbEUlmE_S5_EESC_NS0_8identityIvEEEESH_SK_SL_mSM_SO_bEUlT_E_NS1_11comp_targetILNS1_3genE4ELNS1_11target_archE910ELNS1_3gpuE8ELNS1_3repE0EEENS1_30default_config_static_selectorELNS0_4arch9wavefront6targetE1EEEvT1_
                                        ; -- End function
	.section	.AMDGPU.csdata,"",@progbits
; Kernel info:
; codeLenInByte = 0
; NumSgprs: 6
; NumVgprs: 0
; NumAgprs: 0
; TotalNumVgprs: 0
; ScratchSize: 0
; MemoryBound: 0
; FloatMode: 240
; IeeeMode: 1
; LDSByteSize: 0 bytes/workgroup (compile time only)
; SGPRBlocks: 0
; VGPRBlocks: 0
; NumSGPRsForWavesPerEU: 6
; NumVGPRsForWavesPerEU: 1
; AccumOffset: 4
; Occupancy: 8
; WaveLimiterHint : 0
; COMPUTE_PGM_RSRC2:SCRATCH_EN: 0
; COMPUTE_PGM_RSRC2:USER_SGPR: 2
; COMPUTE_PGM_RSRC2:TRAP_HANDLER: 0
; COMPUTE_PGM_RSRC2:TGID_X_EN: 1
; COMPUTE_PGM_RSRC2:TGID_Y_EN: 0
; COMPUTE_PGM_RSRC2:TGID_Z_EN: 0
; COMPUTE_PGM_RSRC2:TIDIG_COMP_CNT: 0
; COMPUTE_PGM_RSRC3_GFX90A:ACCUM_OFFSET: 0
; COMPUTE_PGM_RSRC3_GFX90A:TG_SPLIT: 0
	.section	.text._ZN7rocprim17ROCPRIM_400000_NS6detail17trampoline_kernelINS0_14default_configENS1_25transform_config_selectorI14custom_numericLb0EEEZNS1_14transform_implILb0ES3_S6_NS0_18transform_iteratorINS0_17counting_iteratorImlEEZNS1_24adjacent_difference_implIS3_Lb1ELb0EPS5_SC_N6thrust23THRUST_200600_302600_NS5minusIS5_EEEE10hipError_tPvRmT2_T3_mT4_P12ihipStream_tbEUlmE_S5_EESC_NS0_8identityIvEEEESH_SK_SL_mSM_SO_bEUlT_E_NS1_11comp_targetILNS1_3genE3ELNS1_11target_archE908ELNS1_3gpuE7ELNS1_3repE0EEENS1_30default_config_static_selectorELNS0_4arch9wavefront6targetE1EEEvT1_,"axG",@progbits,_ZN7rocprim17ROCPRIM_400000_NS6detail17trampoline_kernelINS0_14default_configENS1_25transform_config_selectorI14custom_numericLb0EEEZNS1_14transform_implILb0ES3_S6_NS0_18transform_iteratorINS0_17counting_iteratorImlEEZNS1_24adjacent_difference_implIS3_Lb1ELb0EPS5_SC_N6thrust23THRUST_200600_302600_NS5minusIS5_EEEE10hipError_tPvRmT2_T3_mT4_P12ihipStream_tbEUlmE_S5_EESC_NS0_8identityIvEEEESH_SK_SL_mSM_SO_bEUlT_E_NS1_11comp_targetILNS1_3genE3ELNS1_11target_archE908ELNS1_3gpuE7ELNS1_3repE0EEENS1_30default_config_static_selectorELNS0_4arch9wavefront6targetE1EEEvT1_,comdat
	.protected	_ZN7rocprim17ROCPRIM_400000_NS6detail17trampoline_kernelINS0_14default_configENS1_25transform_config_selectorI14custom_numericLb0EEEZNS1_14transform_implILb0ES3_S6_NS0_18transform_iteratorINS0_17counting_iteratorImlEEZNS1_24adjacent_difference_implIS3_Lb1ELb0EPS5_SC_N6thrust23THRUST_200600_302600_NS5minusIS5_EEEE10hipError_tPvRmT2_T3_mT4_P12ihipStream_tbEUlmE_S5_EESC_NS0_8identityIvEEEESH_SK_SL_mSM_SO_bEUlT_E_NS1_11comp_targetILNS1_3genE3ELNS1_11target_archE908ELNS1_3gpuE7ELNS1_3repE0EEENS1_30default_config_static_selectorELNS0_4arch9wavefront6targetE1EEEvT1_ ; -- Begin function _ZN7rocprim17ROCPRIM_400000_NS6detail17trampoline_kernelINS0_14default_configENS1_25transform_config_selectorI14custom_numericLb0EEEZNS1_14transform_implILb0ES3_S6_NS0_18transform_iteratorINS0_17counting_iteratorImlEEZNS1_24adjacent_difference_implIS3_Lb1ELb0EPS5_SC_N6thrust23THRUST_200600_302600_NS5minusIS5_EEEE10hipError_tPvRmT2_T3_mT4_P12ihipStream_tbEUlmE_S5_EESC_NS0_8identityIvEEEESH_SK_SL_mSM_SO_bEUlT_E_NS1_11comp_targetILNS1_3genE3ELNS1_11target_archE908ELNS1_3gpuE7ELNS1_3repE0EEENS1_30default_config_static_selectorELNS0_4arch9wavefront6targetE1EEEvT1_
	.globl	_ZN7rocprim17ROCPRIM_400000_NS6detail17trampoline_kernelINS0_14default_configENS1_25transform_config_selectorI14custom_numericLb0EEEZNS1_14transform_implILb0ES3_S6_NS0_18transform_iteratorINS0_17counting_iteratorImlEEZNS1_24adjacent_difference_implIS3_Lb1ELb0EPS5_SC_N6thrust23THRUST_200600_302600_NS5minusIS5_EEEE10hipError_tPvRmT2_T3_mT4_P12ihipStream_tbEUlmE_S5_EESC_NS0_8identityIvEEEESH_SK_SL_mSM_SO_bEUlT_E_NS1_11comp_targetILNS1_3genE3ELNS1_11target_archE908ELNS1_3gpuE7ELNS1_3repE0EEENS1_30default_config_static_selectorELNS0_4arch9wavefront6targetE1EEEvT1_
	.p2align	8
	.type	_ZN7rocprim17ROCPRIM_400000_NS6detail17trampoline_kernelINS0_14default_configENS1_25transform_config_selectorI14custom_numericLb0EEEZNS1_14transform_implILb0ES3_S6_NS0_18transform_iteratorINS0_17counting_iteratorImlEEZNS1_24adjacent_difference_implIS3_Lb1ELb0EPS5_SC_N6thrust23THRUST_200600_302600_NS5minusIS5_EEEE10hipError_tPvRmT2_T3_mT4_P12ihipStream_tbEUlmE_S5_EESC_NS0_8identityIvEEEESH_SK_SL_mSM_SO_bEUlT_E_NS1_11comp_targetILNS1_3genE3ELNS1_11target_archE908ELNS1_3gpuE7ELNS1_3repE0EEENS1_30default_config_static_selectorELNS0_4arch9wavefront6targetE1EEEvT1_,@function
_ZN7rocprim17ROCPRIM_400000_NS6detail17trampoline_kernelINS0_14default_configENS1_25transform_config_selectorI14custom_numericLb0EEEZNS1_14transform_implILb0ES3_S6_NS0_18transform_iteratorINS0_17counting_iteratorImlEEZNS1_24adjacent_difference_implIS3_Lb1ELb0EPS5_SC_N6thrust23THRUST_200600_302600_NS5minusIS5_EEEE10hipError_tPvRmT2_T3_mT4_P12ihipStream_tbEUlmE_S5_EESC_NS0_8identityIvEEEESH_SK_SL_mSM_SO_bEUlT_E_NS1_11comp_targetILNS1_3genE3ELNS1_11target_archE908ELNS1_3gpuE7ELNS1_3repE0EEENS1_30default_config_static_selectorELNS0_4arch9wavefront6targetE1EEEvT1_: ; @_ZN7rocprim17ROCPRIM_400000_NS6detail17trampoline_kernelINS0_14default_configENS1_25transform_config_selectorI14custom_numericLb0EEEZNS1_14transform_implILb0ES3_S6_NS0_18transform_iteratorINS0_17counting_iteratorImlEEZNS1_24adjacent_difference_implIS3_Lb1ELb0EPS5_SC_N6thrust23THRUST_200600_302600_NS5minusIS5_EEEE10hipError_tPvRmT2_T3_mT4_P12ihipStream_tbEUlmE_S5_EESC_NS0_8identityIvEEEESH_SK_SL_mSM_SO_bEUlT_E_NS1_11comp_targetILNS1_3genE3ELNS1_11target_archE908ELNS1_3gpuE7ELNS1_3repE0EEENS1_30default_config_static_selectorELNS0_4arch9wavefront6targetE1EEEvT1_
; %bb.0:
	.section	.rodata,"a",@progbits
	.p2align	6, 0x0
	.amdhsa_kernel _ZN7rocprim17ROCPRIM_400000_NS6detail17trampoline_kernelINS0_14default_configENS1_25transform_config_selectorI14custom_numericLb0EEEZNS1_14transform_implILb0ES3_S6_NS0_18transform_iteratorINS0_17counting_iteratorImlEEZNS1_24adjacent_difference_implIS3_Lb1ELb0EPS5_SC_N6thrust23THRUST_200600_302600_NS5minusIS5_EEEE10hipError_tPvRmT2_T3_mT4_P12ihipStream_tbEUlmE_S5_EESC_NS0_8identityIvEEEESH_SK_SL_mSM_SO_bEUlT_E_NS1_11comp_targetILNS1_3genE3ELNS1_11target_archE908ELNS1_3gpuE7ELNS1_3repE0EEENS1_30default_config_static_selectorELNS0_4arch9wavefront6targetE1EEEvT1_
		.amdhsa_group_segment_fixed_size 0
		.amdhsa_private_segment_fixed_size 0
		.amdhsa_kernarg_size 56
		.amdhsa_user_sgpr_count 2
		.amdhsa_user_sgpr_dispatch_ptr 0
		.amdhsa_user_sgpr_queue_ptr 0
		.amdhsa_user_sgpr_kernarg_segment_ptr 1
		.amdhsa_user_sgpr_dispatch_id 0
		.amdhsa_user_sgpr_kernarg_preload_length 0
		.amdhsa_user_sgpr_kernarg_preload_offset 0
		.amdhsa_user_sgpr_private_segment_size 0
		.amdhsa_uses_dynamic_stack 0
		.amdhsa_enable_private_segment 0
		.amdhsa_system_sgpr_workgroup_id_x 1
		.amdhsa_system_sgpr_workgroup_id_y 0
		.amdhsa_system_sgpr_workgroup_id_z 0
		.amdhsa_system_sgpr_workgroup_info 0
		.amdhsa_system_vgpr_workitem_id 0
		.amdhsa_next_free_vgpr 1
		.amdhsa_next_free_sgpr 0
		.amdhsa_accum_offset 4
		.amdhsa_reserve_vcc 0
		.amdhsa_float_round_mode_32 0
		.amdhsa_float_round_mode_16_64 0
		.amdhsa_float_denorm_mode_32 3
		.amdhsa_float_denorm_mode_16_64 3
		.amdhsa_dx10_clamp 1
		.amdhsa_ieee_mode 1
		.amdhsa_fp16_overflow 0
		.amdhsa_tg_split 0
		.amdhsa_exception_fp_ieee_invalid_op 0
		.amdhsa_exception_fp_denorm_src 0
		.amdhsa_exception_fp_ieee_div_zero 0
		.amdhsa_exception_fp_ieee_overflow 0
		.amdhsa_exception_fp_ieee_underflow 0
		.amdhsa_exception_fp_ieee_inexact 0
		.amdhsa_exception_int_div_zero 0
	.end_amdhsa_kernel
	.section	.text._ZN7rocprim17ROCPRIM_400000_NS6detail17trampoline_kernelINS0_14default_configENS1_25transform_config_selectorI14custom_numericLb0EEEZNS1_14transform_implILb0ES3_S6_NS0_18transform_iteratorINS0_17counting_iteratorImlEEZNS1_24adjacent_difference_implIS3_Lb1ELb0EPS5_SC_N6thrust23THRUST_200600_302600_NS5minusIS5_EEEE10hipError_tPvRmT2_T3_mT4_P12ihipStream_tbEUlmE_S5_EESC_NS0_8identityIvEEEESH_SK_SL_mSM_SO_bEUlT_E_NS1_11comp_targetILNS1_3genE3ELNS1_11target_archE908ELNS1_3gpuE7ELNS1_3repE0EEENS1_30default_config_static_selectorELNS0_4arch9wavefront6targetE1EEEvT1_,"axG",@progbits,_ZN7rocprim17ROCPRIM_400000_NS6detail17trampoline_kernelINS0_14default_configENS1_25transform_config_selectorI14custom_numericLb0EEEZNS1_14transform_implILb0ES3_S6_NS0_18transform_iteratorINS0_17counting_iteratorImlEEZNS1_24adjacent_difference_implIS3_Lb1ELb0EPS5_SC_N6thrust23THRUST_200600_302600_NS5minusIS5_EEEE10hipError_tPvRmT2_T3_mT4_P12ihipStream_tbEUlmE_S5_EESC_NS0_8identityIvEEEESH_SK_SL_mSM_SO_bEUlT_E_NS1_11comp_targetILNS1_3genE3ELNS1_11target_archE908ELNS1_3gpuE7ELNS1_3repE0EEENS1_30default_config_static_selectorELNS0_4arch9wavefront6targetE1EEEvT1_,comdat
.Lfunc_end220:
	.size	_ZN7rocprim17ROCPRIM_400000_NS6detail17trampoline_kernelINS0_14default_configENS1_25transform_config_selectorI14custom_numericLb0EEEZNS1_14transform_implILb0ES3_S6_NS0_18transform_iteratorINS0_17counting_iteratorImlEEZNS1_24adjacent_difference_implIS3_Lb1ELb0EPS5_SC_N6thrust23THRUST_200600_302600_NS5minusIS5_EEEE10hipError_tPvRmT2_T3_mT4_P12ihipStream_tbEUlmE_S5_EESC_NS0_8identityIvEEEESH_SK_SL_mSM_SO_bEUlT_E_NS1_11comp_targetILNS1_3genE3ELNS1_11target_archE908ELNS1_3gpuE7ELNS1_3repE0EEENS1_30default_config_static_selectorELNS0_4arch9wavefront6targetE1EEEvT1_, .Lfunc_end220-_ZN7rocprim17ROCPRIM_400000_NS6detail17trampoline_kernelINS0_14default_configENS1_25transform_config_selectorI14custom_numericLb0EEEZNS1_14transform_implILb0ES3_S6_NS0_18transform_iteratorINS0_17counting_iteratorImlEEZNS1_24adjacent_difference_implIS3_Lb1ELb0EPS5_SC_N6thrust23THRUST_200600_302600_NS5minusIS5_EEEE10hipError_tPvRmT2_T3_mT4_P12ihipStream_tbEUlmE_S5_EESC_NS0_8identityIvEEEESH_SK_SL_mSM_SO_bEUlT_E_NS1_11comp_targetILNS1_3genE3ELNS1_11target_archE908ELNS1_3gpuE7ELNS1_3repE0EEENS1_30default_config_static_selectorELNS0_4arch9wavefront6targetE1EEEvT1_
                                        ; -- End function
	.section	.AMDGPU.csdata,"",@progbits
; Kernel info:
; codeLenInByte = 0
; NumSgprs: 6
; NumVgprs: 0
; NumAgprs: 0
; TotalNumVgprs: 0
; ScratchSize: 0
; MemoryBound: 0
; FloatMode: 240
; IeeeMode: 1
; LDSByteSize: 0 bytes/workgroup (compile time only)
; SGPRBlocks: 0
; VGPRBlocks: 0
; NumSGPRsForWavesPerEU: 6
; NumVGPRsForWavesPerEU: 1
; AccumOffset: 4
; Occupancy: 8
; WaveLimiterHint : 0
; COMPUTE_PGM_RSRC2:SCRATCH_EN: 0
; COMPUTE_PGM_RSRC2:USER_SGPR: 2
; COMPUTE_PGM_RSRC2:TRAP_HANDLER: 0
; COMPUTE_PGM_RSRC2:TGID_X_EN: 1
; COMPUTE_PGM_RSRC2:TGID_Y_EN: 0
; COMPUTE_PGM_RSRC2:TGID_Z_EN: 0
; COMPUTE_PGM_RSRC2:TIDIG_COMP_CNT: 0
; COMPUTE_PGM_RSRC3_GFX90A:ACCUM_OFFSET: 0
; COMPUTE_PGM_RSRC3_GFX90A:TG_SPLIT: 0
	.section	.text._ZN7rocprim17ROCPRIM_400000_NS6detail17trampoline_kernelINS0_14default_configENS1_25transform_config_selectorI14custom_numericLb0EEEZNS1_14transform_implILb0ES3_S6_NS0_18transform_iteratorINS0_17counting_iteratorImlEEZNS1_24adjacent_difference_implIS3_Lb1ELb0EPS5_SC_N6thrust23THRUST_200600_302600_NS5minusIS5_EEEE10hipError_tPvRmT2_T3_mT4_P12ihipStream_tbEUlmE_S5_EESC_NS0_8identityIvEEEESH_SK_SL_mSM_SO_bEUlT_E_NS1_11comp_targetILNS1_3genE2ELNS1_11target_archE906ELNS1_3gpuE6ELNS1_3repE0EEENS1_30default_config_static_selectorELNS0_4arch9wavefront6targetE1EEEvT1_,"axG",@progbits,_ZN7rocprim17ROCPRIM_400000_NS6detail17trampoline_kernelINS0_14default_configENS1_25transform_config_selectorI14custom_numericLb0EEEZNS1_14transform_implILb0ES3_S6_NS0_18transform_iteratorINS0_17counting_iteratorImlEEZNS1_24adjacent_difference_implIS3_Lb1ELb0EPS5_SC_N6thrust23THRUST_200600_302600_NS5minusIS5_EEEE10hipError_tPvRmT2_T3_mT4_P12ihipStream_tbEUlmE_S5_EESC_NS0_8identityIvEEEESH_SK_SL_mSM_SO_bEUlT_E_NS1_11comp_targetILNS1_3genE2ELNS1_11target_archE906ELNS1_3gpuE6ELNS1_3repE0EEENS1_30default_config_static_selectorELNS0_4arch9wavefront6targetE1EEEvT1_,comdat
	.protected	_ZN7rocprim17ROCPRIM_400000_NS6detail17trampoline_kernelINS0_14default_configENS1_25transform_config_selectorI14custom_numericLb0EEEZNS1_14transform_implILb0ES3_S6_NS0_18transform_iteratorINS0_17counting_iteratorImlEEZNS1_24adjacent_difference_implIS3_Lb1ELb0EPS5_SC_N6thrust23THRUST_200600_302600_NS5minusIS5_EEEE10hipError_tPvRmT2_T3_mT4_P12ihipStream_tbEUlmE_S5_EESC_NS0_8identityIvEEEESH_SK_SL_mSM_SO_bEUlT_E_NS1_11comp_targetILNS1_3genE2ELNS1_11target_archE906ELNS1_3gpuE6ELNS1_3repE0EEENS1_30default_config_static_selectorELNS0_4arch9wavefront6targetE1EEEvT1_ ; -- Begin function _ZN7rocprim17ROCPRIM_400000_NS6detail17trampoline_kernelINS0_14default_configENS1_25transform_config_selectorI14custom_numericLb0EEEZNS1_14transform_implILb0ES3_S6_NS0_18transform_iteratorINS0_17counting_iteratorImlEEZNS1_24adjacent_difference_implIS3_Lb1ELb0EPS5_SC_N6thrust23THRUST_200600_302600_NS5minusIS5_EEEE10hipError_tPvRmT2_T3_mT4_P12ihipStream_tbEUlmE_S5_EESC_NS0_8identityIvEEEESH_SK_SL_mSM_SO_bEUlT_E_NS1_11comp_targetILNS1_3genE2ELNS1_11target_archE906ELNS1_3gpuE6ELNS1_3repE0EEENS1_30default_config_static_selectorELNS0_4arch9wavefront6targetE1EEEvT1_
	.globl	_ZN7rocprim17ROCPRIM_400000_NS6detail17trampoline_kernelINS0_14default_configENS1_25transform_config_selectorI14custom_numericLb0EEEZNS1_14transform_implILb0ES3_S6_NS0_18transform_iteratorINS0_17counting_iteratorImlEEZNS1_24adjacent_difference_implIS3_Lb1ELb0EPS5_SC_N6thrust23THRUST_200600_302600_NS5minusIS5_EEEE10hipError_tPvRmT2_T3_mT4_P12ihipStream_tbEUlmE_S5_EESC_NS0_8identityIvEEEESH_SK_SL_mSM_SO_bEUlT_E_NS1_11comp_targetILNS1_3genE2ELNS1_11target_archE906ELNS1_3gpuE6ELNS1_3repE0EEENS1_30default_config_static_selectorELNS0_4arch9wavefront6targetE1EEEvT1_
	.p2align	8
	.type	_ZN7rocprim17ROCPRIM_400000_NS6detail17trampoline_kernelINS0_14default_configENS1_25transform_config_selectorI14custom_numericLb0EEEZNS1_14transform_implILb0ES3_S6_NS0_18transform_iteratorINS0_17counting_iteratorImlEEZNS1_24adjacent_difference_implIS3_Lb1ELb0EPS5_SC_N6thrust23THRUST_200600_302600_NS5minusIS5_EEEE10hipError_tPvRmT2_T3_mT4_P12ihipStream_tbEUlmE_S5_EESC_NS0_8identityIvEEEESH_SK_SL_mSM_SO_bEUlT_E_NS1_11comp_targetILNS1_3genE2ELNS1_11target_archE906ELNS1_3gpuE6ELNS1_3repE0EEENS1_30default_config_static_selectorELNS0_4arch9wavefront6targetE1EEEvT1_,@function
_ZN7rocprim17ROCPRIM_400000_NS6detail17trampoline_kernelINS0_14default_configENS1_25transform_config_selectorI14custom_numericLb0EEEZNS1_14transform_implILb0ES3_S6_NS0_18transform_iteratorINS0_17counting_iteratorImlEEZNS1_24adjacent_difference_implIS3_Lb1ELb0EPS5_SC_N6thrust23THRUST_200600_302600_NS5minusIS5_EEEE10hipError_tPvRmT2_T3_mT4_P12ihipStream_tbEUlmE_S5_EESC_NS0_8identityIvEEEESH_SK_SL_mSM_SO_bEUlT_E_NS1_11comp_targetILNS1_3genE2ELNS1_11target_archE906ELNS1_3gpuE6ELNS1_3repE0EEENS1_30default_config_static_selectorELNS0_4arch9wavefront6targetE1EEEvT1_: ; @_ZN7rocprim17ROCPRIM_400000_NS6detail17trampoline_kernelINS0_14default_configENS1_25transform_config_selectorI14custom_numericLb0EEEZNS1_14transform_implILb0ES3_S6_NS0_18transform_iteratorINS0_17counting_iteratorImlEEZNS1_24adjacent_difference_implIS3_Lb1ELb0EPS5_SC_N6thrust23THRUST_200600_302600_NS5minusIS5_EEEE10hipError_tPvRmT2_T3_mT4_P12ihipStream_tbEUlmE_S5_EESC_NS0_8identityIvEEEESH_SK_SL_mSM_SO_bEUlT_E_NS1_11comp_targetILNS1_3genE2ELNS1_11target_archE906ELNS1_3gpuE6ELNS1_3repE0EEENS1_30default_config_static_selectorELNS0_4arch9wavefront6targetE1EEEvT1_
; %bb.0:
	.section	.rodata,"a",@progbits
	.p2align	6, 0x0
	.amdhsa_kernel _ZN7rocprim17ROCPRIM_400000_NS6detail17trampoline_kernelINS0_14default_configENS1_25transform_config_selectorI14custom_numericLb0EEEZNS1_14transform_implILb0ES3_S6_NS0_18transform_iteratorINS0_17counting_iteratorImlEEZNS1_24adjacent_difference_implIS3_Lb1ELb0EPS5_SC_N6thrust23THRUST_200600_302600_NS5minusIS5_EEEE10hipError_tPvRmT2_T3_mT4_P12ihipStream_tbEUlmE_S5_EESC_NS0_8identityIvEEEESH_SK_SL_mSM_SO_bEUlT_E_NS1_11comp_targetILNS1_3genE2ELNS1_11target_archE906ELNS1_3gpuE6ELNS1_3repE0EEENS1_30default_config_static_selectorELNS0_4arch9wavefront6targetE1EEEvT1_
		.amdhsa_group_segment_fixed_size 0
		.amdhsa_private_segment_fixed_size 0
		.amdhsa_kernarg_size 56
		.amdhsa_user_sgpr_count 2
		.amdhsa_user_sgpr_dispatch_ptr 0
		.amdhsa_user_sgpr_queue_ptr 0
		.amdhsa_user_sgpr_kernarg_segment_ptr 1
		.amdhsa_user_sgpr_dispatch_id 0
		.amdhsa_user_sgpr_kernarg_preload_length 0
		.amdhsa_user_sgpr_kernarg_preload_offset 0
		.amdhsa_user_sgpr_private_segment_size 0
		.amdhsa_uses_dynamic_stack 0
		.amdhsa_enable_private_segment 0
		.amdhsa_system_sgpr_workgroup_id_x 1
		.amdhsa_system_sgpr_workgroup_id_y 0
		.amdhsa_system_sgpr_workgroup_id_z 0
		.amdhsa_system_sgpr_workgroup_info 0
		.amdhsa_system_vgpr_workitem_id 0
		.amdhsa_next_free_vgpr 1
		.amdhsa_next_free_sgpr 0
		.amdhsa_accum_offset 4
		.amdhsa_reserve_vcc 0
		.amdhsa_float_round_mode_32 0
		.amdhsa_float_round_mode_16_64 0
		.amdhsa_float_denorm_mode_32 3
		.amdhsa_float_denorm_mode_16_64 3
		.amdhsa_dx10_clamp 1
		.amdhsa_ieee_mode 1
		.amdhsa_fp16_overflow 0
		.amdhsa_tg_split 0
		.amdhsa_exception_fp_ieee_invalid_op 0
		.amdhsa_exception_fp_denorm_src 0
		.amdhsa_exception_fp_ieee_div_zero 0
		.amdhsa_exception_fp_ieee_overflow 0
		.amdhsa_exception_fp_ieee_underflow 0
		.amdhsa_exception_fp_ieee_inexact 0
		.amdhsa_exception_int_div_zero 0
	.end_amdhsa_kernel
	.section	.text._ZN7rocprim17ROCPRIM_400000_NS6detail17trampoline_kernelINS0_14default_configENS1_25transform_config_selectorI14custom_numericLb0EEEZNS1_14transform_implILb0ES3_S6_NS0_18transform_iteratorINS0_17counting_iteratorImlEEZNS1_24adjacent_difference_implIS3_Lb1ELb0EPS5_SC_N6thrust23THRUST_200600_302600_NS5minusIS5_EEEE10hipError_tPvRmT2_T3_mT4_P12ihipStream_tbEUlmE_S5_EESC_NS0_8identityIvEEEESH_SK_SL_mSM_SO_bEUlT_E_NS1_11comp_targetILNS1_3genE2ELNS1_11target_archE906ELNS1_3gpuE6ELNS1_3repE0EEENS1_30default_config_static_selectorELNS0_4arch9wavefront6targetE1EEEvT1_,"axG",@progbits,_ZN7rocprim17ROCPRIM_400000_NS6detail17trampoline_kernelINS0_14default_configENS1_25transform_config_selectorI14custom_numericLb0EEEZNS1_14transform_implILb0ES3_S6_NS0_18transform_iteratorINS0_17counting_iteratorImlEEZNS1_24adjacent_difference_implIS3_Lb1ELb0EPS5_SC_N6thrust23THRUST_200600_302600_NS5minusIS5_EEEE10hipError_tPvRmT2_T3_mT4_P12ihipStream_tbEUlmE_S5_EESC_NS0_8identityIvEEEESH_SK_SL_mSM_SO_bEUlT_E_NS1_11comp_targetILNS1_3genE2ELNS1_11target_archE906ELNS1_3gpuE6ELNS1_3repE0EEENS1_30default_config_static_selectorELNS0_4arch9wavefront6targetE1EEEvT1_,comdat
.Lfunc_end221:
	.size	_ZN7rocprim17ROCPRIM_400000_NS6detail17trampoline_kernelINS0_14default_configENS1_25transform_config_selectorI14custom_numericLb0EEEZNS1_14transform_implILb0ES3_S6_NS0_18transform_iteratorINS0_17counting_iteratorImlEEZNS1_24adjacent_difference_implIS3_Lb1ELb0EPS5_SC_N6thrust23THRUST_200600_302600_NS5minusIS5_EEEE10hipError_tPvRmT2_T3_mT4_P12ihipStream_tbEUlmE_S5_EESC_NS0_8identityIvEEEESH_SK_SL_mSM_SO_bEUlT_E_NS1_11comp_targetILNS1_3genE2ELNS1_11target_archE906ELNS1_3gpuE6ELNS1_3repE0EEENS1_30default_config_static_selectorELNS0_4arch9wavefront6targetE1EEEvT1_, .Lfunc_end221-_ZN7rocprim17ROCPRIM_400000_NS6detail17trampoline_kernelINS0_14default_configENS1_25transform_config_selectorI14custom_numericLb0EEEZNS1_14transform_implILb0ES3_S6_NS0_18transform_iteratorINS0_17counting_iteratorImlEEZNS1_24adjacent_difference_implIS3_Lb1ELb0EPS5_SC_N6thrust23THRUST_200600_302600_NS5minusIS5_EEEE10hipError_tPvRmT2_T3_mT4_P12ihipStream_tbEUlmE_S5_EESC_NS0_8identityIvEEEESH_SK_SL_mSM_SO_bEUlT_E_NS1_11comp_targetILNS1_3genE2ELNS1_11target_archE906ELNS1_3gpuE6ELNS1_3repE0EEENS1_30default_config_static_selectorELNS0_4arch9wavefront6targetE1EEEvT1_
                                        ; -- End function
	.section	.AMDGPU.csdata,"",@progbits
; Kernel info:
; codeLenInByte = 0
; NumSgprs: 6
; NumVgprs: 0
; NumAgprs: 0
; TotalNumVgprs: 0
; ScratchSize: 0
; MemoryBound: 0
; FloatMode: 240
; IeeeMode: 1
; LDSByteSize: 0 bytes/workgroup (compile time only)
; SGPRBlocks: 0
; VGPRBlocks: 0
; NumSGPRsForWavesPerEU: 6
; NumVGPRsForWavesPerEU: 1
; AccumOffset: 4
; Occupancy: 8
; WaveLimiterHint : 0
; COMPUTE_PGM_RSRC2:SCRATCH_EN: 0
; COMPUTE_PGM_RSRC2:USER_SGPR: 2
; COMPUTE_PGM_RSRC2:TRAP_HANDLER: 0
; COMPUTE_PGM_RSRC2:TGID_X_EN: 1
; COMPUTE_PGM_RSRC2:TGID_Y_EN: 0
; COMPUTE_PGM_RSRC2:TGID_Z_EN: 0
; COMPUTE_PGM_RSRC2:TIDIG_COMP_CNT: 0
; COMPUTE_PGM_RSRC3_GFX90A:ACCUM_OFFSET: 0
; COMPUTE_PGM_RSRC3_GFX90A:TG_SPLIT: 0
	.section	.text._ZN7rocprim17ROCPRIM_400000_NS6detail17trampoline_kernelINS0_14default_configENS1_25transform_config_selectorI14custom_numericLb0EEEZNS1_14transform_implILb0ES3_S6_NS0_18transform_iteratorINS0_17counting_iteratorImlEEZNS1_24adjacent_difference_implIS3_Lb1ELb0EPS5_SC_N6thrust23THRUST_200600_302600_NS5minusIS5_EEEE10hipError_tPvRmT2_T3_mT4_P12ihipStream_tbEUlmE_S5_EESC_NS0_8identityIvEEEESH_SK_SL_mSM_SO_bEUlT_E_NS1_11comp_targetILNS1_3genE10ELNS1_11target_archE1201ELNS1_3gpuE5ELNS1_3repE0EEENS1_30default_config_static_selectorELNS0_4arch9wavefront6targetE1EEEvT1_,"axG",@progbits,_ZN7rocprim17ROCPRIM_400000_NS6detail17trampoline_kernelINS0_14default_configENS1_25transform_config_selectorI14custom_numericLb0EEEZNS1_14transform_implILb0ES3_S6_NS0_18transform_iteratorINS0_17counting_iteratorImlEEZNS1_24adjacent_difference_implIS3_Lb1ELb0EPS5_SC_N6thrust23THRUST_200600_302600_NS5minusIS5_EEEE10hipError_tPvRmT2_T3_mT4_P12ihipStream_tbEUlmE_S5_EESC_NS0_8identityIvEEEESH_SK_SL_mSM_SO_bEUlT_E_NS1_11comp_targetILNS1_3genE10ELNS1_11target_archE1201ELNS1_3gpuE5ELNS1_3repE0EEENS1_30default_config_static_selectorELNS0_4arch9wavefront6targetE1EEEvT1_,comdat
	.protected	_ZN7rocprim17ROCPRIM_400000_NS6detail17trampoline_kernelINS0_14default_configENS1_25transform_config_selectorI14custom_numericLb0EEEZNS1_14transform_implILb0ES3_S6_NS0_18transform_iteratorINS0_17counting_iteratorImlEEZNS1_24adjacent_difference_implIS3_Lb1ELb0EPS5_SC_N6thrust23THRUST_200600_302600_NS5minusIS5_EEEE10hipError_tPvRmT2_T3_mT4_P12ihipStream_tbEUlmE_S5_EESC_NS0_8identityIvEEEESH_SK_SL_mSM_SO_bEUlT_E_NS1_11comp_targetILNS1_3genE10ELNS1_11target_archE1201ELNS1_3gpuE5ELNS1_3repE0EEENS1_30default_config_static_selectorELNS0_4arch9wavefront6targetE1EEEvT1_ ; -- Begin function _ZN7rocprim17ROCPRIM_400000_NS6detail17trampoline_kernelINS0_14default_configENS1_25transform_config_selectorI14custom_numericLb0EEEZNS1_14transform_implILb0ES3_S6_NS0_18transform_iteratorINS0_17counting_iteratorImlEEZNS1_24adjacent_difference_implIS3_Lb1ELb0EPS5_SC_N6thrust23THRUST_200600_302600_NS5minusIS5_EEEE10hipError_tPvRmT2_T3_mT4_P12ihipStream_tbEUlmE_S5_EESC_NS0_8identityIvEEEESH_SK_SL_mSM_SO_bEUlT_E_NS1_11comp_targetILNS1_3genE10ELNS1_11target_archE1201ELNS1_3gpuE5ELNS1_3repE0EEENS1_30default_config_static_selectorELNS0_4arch9wavefront6targetE1EEEvT1_
	.globl	_ZN7rocprim17ROCPRIM_400000_NS6detail17trampoline_kernelINS0_14default_configENS1_25transform_config_selectorI14custom_numericLb0EEEZNS1_14transform_implILb0ES3_S6_NS0_18transform_iteratorINS0_17counting_iteratorImlEEZNS1_24adjacent_difference_implIS3_Lb1ELb0EPS5_SC_N6thrust23THRUST_200600_302600_NS5minusIS5_EEEE10hipError_tPvRmT2_T3_mT4_P12ihipStream_tbEUlmE_S5_EESC_NS0_8identityIvEEEESH_SK_SL_mSM_SO_bEUlT_E_NS1_11comp_targetILNS1_3genE10ELNS1_11target_archE1201ELNS1_3gpuE5ELNS1_3repE0EEENS1_30default_config_static_selectorELNS0_4arch9wavefront6targetE1EEEvT1_
	.p2align	8
	.type	_ZN7rocprim17ROCPRIM_400000_NS6detail17trampoline_kernelINS0_14default_configENS1_25transform_config_selectorI14custom_numericLb0EEEZNS1_14transform_implILb0ES3_S6_NS0_18transform_iteratorINS0_17counting_iteratorImlEEZNS1_24adjacent_difference_implIS3_Lb1ELb0EPS5_SC_N6thrust23THRUST_200600_302600_NS5minusIS5_EEEE10hipError_tPvRmT2_T3_mT4_P12ihipStream_tbEUlmE_S5_EESC_NS0_8identityIvEEEESH_SK_SL_mSM_SO_bEUlT_E_NS1_11comp_targetILNS1_3genE10ELNS1_11target_archE1201ELNS1_3gpuE5ELNS1_3repE0EEENS1_30default_config_static_selectorELNS0_4arch9wavefront6targetE1EEEvT1_,@function
_ZN7rocprim17ROCPRIM_400000_NS6detail17trampoline_kernelINS0_14default_configENS1_25transform_config_selectorI14custom_numericLb0EEEZNS1_14transform_implILb0ES3_S6_NS0_18transform_iteratorINS0_17counting_iteratorImlEEZNS1_24adjacent_difference_implIS3_Lb1ELb0EPS5_SC_N6thrust23THRUST_200600_302600_NS5minusIS5_EEEE10hipError_tPvRmT2_T3_mT4_P12ihipStream_tbEUlmE_S5_EESC_NS0_8identityIvEEEESH_SK_SL_mSM_SO_bEUlT_E_NS1_11comp_targetILNS1_3genE10ELNS1_11target_archE1201ELNS1_3gpuE5ELNS1_3repE0EEENS1_30default_config_static_selectorELNS0_4arch9wavefront6targetE1EEEvT1_: ; @_ZN7rocprim17ROCPRIM_400000_NS6detail17trampoline_kernelINS0_14default_configENS1_25transform_config_selectorI14custom_numericLb0EEEZNS1_14transform_implILb0ES3_S6_NS0_18transform_iteratorINS0_17counting_iteratorImlEEZNS1_24adjacent_difference_implIS3_Lb1ELb0EPS5_SC_N6thrust23THRUST_200600_302600_NS5minusIS5_EEEE10hipError_tPvRmT2_T3_mT4_P12ihipStream_tbEUlmE_S5_EESC_NS0_8identityIvEEEESH_SK_SL_mSM_SO_bEUlT_E_NS1_11comp_targetILNS1_3genE10ELNS1_11target_archE1201ELNS1_3gpuE5ELNS1_3repE0EEENS1_30default_config_static_selectorELNS0_4arch9wavefront6targetE1EEEvT1_
; %bb.0:
	.section	.rodata,"a",@progbits
	.p2align	6, 0x0
	.amdhsa_kernel _ZN7rocprim17ROCPRIM_400000_NS6detail17trampoline_kernelINS0_14default_configENS1_25transform_config_selectorI14custom_numericLb0EEEZNS1_14transform_implILb0ES3_S6_NS0_18transform_iteratorINS0_17counting_iteratorImlEEZNS1_24adjacent_difference_implIS3_Lb1ELb0EPS5_SC_N6thrust23THRUST_200600_302600_NS5minusIS5_EEEE10hipError_tPvRmT2_T3_mT4_P12ihipStream_tbEUlmE_S5_EESC_NS0_8identityIvEEEESH_SK_SL_mSM_SO_bEUlT_E_NS1_11comp_targetILNS1_3genE10ELNS1_11target_archE1201ELNS1_3gpuE5ELNS1_3repE0EEENS1_30default_config_static_selectorELNS0_4arch9wavefront6targetE1EEEvT1_
		.amdhsa_group_segment_fixed_size 0
		.amdhsa_private_segment_fixed_size 0
		.amdhsa_kernarg_size 56
		.amdhsa_user_sgpr_count 2
		.amdhsa_user_sgpr_dispatch_ptr 0
		.amdhsa_user_sgpr_queue_ptr 0
		.amdhsa_user_sgpr_kernarg_segment_ptr 1
		.amdhsa_user_sgpr_dispatch_id 0
		.amdhsa_user_sgpr_kernarg_preload_length 0
		.amdhsa_user_sgpr_kernarg_preload_offset 0
		.amdhsa_user_sgpr_private_segment_size 0
		.amdhsa_uses_dynamic_stack 0
		.amdhsa_enable_private_segment 0
		.amdhsa_system_sgpr_workgroup_id_x 1
		.amdhsa_system_sgpr_workgroup_id_y 0
		.amdhsa_system_sgpr_workgroup_id_z 0
		.amdhsa_system_sgpr_workgroup_info 0
		.amdhsa_system_vgpr_workitem_id 0
		.amdhsa_next_free_vgpr 1
		.amdhsa_next_free_sgpr 0
		.amdhsa_accum_offset 4
		.amdhsa_reserve_vcc 0
		.amdhsa_float_round_mode_32 0
		.amdhsa_float_round_mode_16_64 0
		.amdhsa_float_denorm_mode_32 3
		.amdhsa_float_denorm_mode_16_64 3
		.amdhsa_dx10_clamp 1
		.amdhsa_ieee_mode 1
		.amdhsa_fp16_overflow 0
		.amdhsa_tg_split 0
		.amdhsa_exception_fp_ieee_invalid_op 0
		.amdhsa_exception_fp_denorm_src 0
		.amdhsa_exception_fp_ieee_div_zero 0
		.amdhsa_exception_fp_ieee_overflow 0
		.amdhsa_exception_fp_ieee_underflow 0
		.amdhsa_exception_fp_ieee_inexact 0
		.amdhsa_exception_int_div_zero 0
	.end_amdhsa_kernel
	.section	.text._ZN7rocprim17ROCPRIM_400000_NS6detail17trampoline_kernelINS0_14default_configENS1_25transform_config_selectorI14custom_numericLb0EEEZNS1_14transform_implILb0ES3_S6_NS0_18transform_iteratorINS0_17counting_iteratorImlEEZNS1_24adjacent_difference_implIS3_Lb1ELb0EPS5_SC_N6thrust23THRUST_200600_302600_NS5minusIS5_EEEE10hipError_tPvRmT2_T3_mT4_P12ihipStream_tbEUlmE_S5_EESC_NS0_8identityIvEEEESH_SK_SL_mSM_SO_bEUlT_E_NS1_11comp_targetILNS1_3genE10ELNS1_11target_archE1201ELNS1_3gpuE5ELNS1_3repE0EEENS1_30default_config_static_selectorELNS0_4arch9wavefront6targetE1EEEvT1_,"axG",@progbits,_ZN7rocprim17ROCPRIM_400000_NS6detail17trampoline_kernelINS0_14default_configENS1_25transform_config_selectorI14custom_numericLb0EEEZNS1_14transform_implILb0ES3_S6_NS0_18transform_iteratorINS0_17counting_iteratorImlEEZNS1_24adjacent_difference_implIS3_Lb1ELb0EPS5_SC_N6thrust23THRUST_200600_302600_NS5minusIS5_EEEE10hipError_tPvRmT2_T3_mT4_P12ihipStream_tbEUlmE_S5_EESC_NS0_8identityIvEEEESH_SK_SL_mSM_SO_bEUlT_E_NS1_11comp_targetILNS1_3genE10ELNS1_11target_archE1201ELNS1_3gpuE5ELNS1_3repE0EEENS1_30default_config_static_selectorELNS0_4arch9wavefront6targetE1EEEvT1_,comdat
.Lfunc_end222:
	.size	_ZN7rocprim17ROCPRIM_400000_NS6detail17trampoline_kernelINS0_14default_configENS1_25transform_config_selectorI14custom_numericLb0EEEZNS1_14transform_implILb0ES3_S6_NS0_18transform_iteratorINS0_17counting_iteratorImlEEZNS1_24adjacent_difference_implIS3_Lb1ELb0EPS5_SC_N6thrust23THRUST_200600_302600_NS5minusIS5_EEEE10hipError_tPvRmT2_T3_mT4_P12ihipStream_tbEUlmE_S5_EESC_NS0_8identityIvEEEESH_SK_SL_mSM_SO_bEUlT_E_NS1_11comp_targetILNS1_3genE10ELNS1_11target_archE1201ELNS1_3gpuE5ELNS1_3repE0EEENS1_30default_config_static_selectorELNS0_4arch9wavefront6targetE1EEEvT1_, .Lfunc_end222-_ZN7rocprim17ROCPRIM_400000_NS6detail17trampoline_kernelINS0_14default_configENS1_25transform_config_selectorI14custom_numericLb0EEEZNS1_14transform_implILb0ES3_S6_NS0_18transform_iteratorINS0_17counting_iteratorImlEEZNS1_24adjacent_difference_implIS3_Lb1ELb0EPS5_SC_N6thrust23THRUST_200600_302600_NS5minusIS5_EEEE10hipError_tPvRmT2_T3_mT4_P12ihipStream_tbEUlmE_S5_EESC_NS0_8identityIvEEEESH_SK_SL_mSM_SO_bEUlT_E_NS1_11comp_targetILNS1_3genE10ELNS1_11target_archE1201ELNS1_3gpuE5ELNS1_3repE0EEENS1_30default_config_static_selectorELNS0_4arch9wavefront6targetE1EEEvT1_
                                        ; -- End function
	.section	.AMDGPU.csdata,"",@progbits
; Kernel info:
; codeLenInByte = 0
; NumSgprs: 6
; NumVgprs: 0
; NumAgprs: 0
; TotalNumVgprs: 0
; ScratchSize: 0
; MemoryBound: 0
; FloatMode: 240
; IeeeMode: 1
; LDSByteSize: 0 bytes/workgroup (compile time only)
; SGPRBlocks: 0
; VGPRBlocks: 0
; NumSGPRsForWavesPerEU: 6
; NumVGPRsForWavesPerEU: 1
; AccumOffset: 4
; Occupancy: 8
; WaveLimiterHint : 0
; COMPUTE_PGM_RSRC2:SCRATCH_EN: 0
; COMPUTE_PGM_RSRC2:USER_SGPR: 2
; COMPUTE_PGM_RSRC2:TRAP_HANDLER: 0
; COMPUTE_PGM_RSRC2:TGID_X_EN: 1
; COMPUTE_PGM_RSRC2:TGID_Y_EN: 0
; COMPUTE_PGM_RSRC2:TGID_Z_EN: 0
; COMPUTE_PGM_RSRC2:TIDIG_COMP_CNT: 0
; COMPUTE_PGM_RSRC3_GFX90A:ACCUM_OFFSET: 0
; COMPUTE_PGM_RSRC3_GFX90A:TG_SPLIT: 0
	.section	.text._ZN7rocprim17ROCPRIM_400000_NS6detail17trampoline_kernelINS0_14default_configENS1_25transform_config_selectorI14custom_numericLb0EEEZNS1_14transform_implILb0ES3_S6_NS0_18transform_iteratorINS0_17counting_iteratorImlEEZNS1_24adjacent_difference_implIS3_Lb1ELb0EPS5_SC_N6thrust23THRUST_200600_302600_NS5minusIS5_EEEE10hipError_tPvRmT2_T3_mT4_P12ihipStream_tbEUlmE_S5_EESC_NS0_8identityIvEEEESH_SK_SL_mSM_SO_bEUlT_E_NS1_11comp_targetILNS1_3genE10ELNS1_11target_archE1200ELNS1_3gpuE4ELNS1_3repE0EEENS1_30default_config_static_selectorELNS0_4arch9wavefront6targetE1EEEvT1_,"axG",@progbits,_ZN7rocprim17ROCPRIM_400000_NS6detail17trampoline_kernelINS0_14default_configENS1_25transform_config_selectorI14custom_numericLb0EEEZNS1_14transform_implILb0ES3_S6_NS0_18transform_iteratorINS0_17counting_iteratorImlEEZNS1_24adjacent_difference_implIS3_Lb1ELb0EPS5_SC_N6thrust23THRUST_200600_302600_NS5minusIS5_EEEE10hipError_tPvRmT2_T3_mT4_P12ihipStream_tbEUlmE_S5_EESC_NS0_8identityIvEEEESH_SK_SL_mSM_SO_bEUlT_E_NS1_11comp_targetILNS1_3genE10ELNS1_11target_archE1200ELNS1_3gpuE4ELNS1_3repE0EEENS1_30default_config_static_selectorELNS0_4arch9wavefront6targetE1EEEvT1_,comdat
	.protected	_ZN7rocprim17ROCPRIM_400000_NS6detail17trampoline_kernelINS0_14default_configENS1_25transform_config_selectorI14custom_numericLb0EEEZNS1_14transform_implILb0ES3_S6_NS0_18transform_iteratorINS0_17counting_iteratorImlEEZNS1_24adjacent_difference_implIS3_Lb1ELb0EPS5_SC_N6thrust23THRUST_200600_302600_NS5minusIS5_EEEE10hipError_tPvRmT2_T3_mT4_P12ihipStream_tbEUlmE_S5_EESC_NS0_8identityIvEEEESH_SK_SL_mSM_SO_bEUlT_E_NS1_11comp_targetILNS1_3genE10ELNS1_11target_archE1200ELNS1_3gpuE4ELNS1_3repE0EEENS1_30default_config_static_selectorELNS0_4arch9wavefront6targetE1EEEvT1_ ; -- Begin function _ZN7rocprim17ROCPRIM_400000_NS6detail17trampoline_kernelINS0_14default_configENS1_25transform_config_selectorI14custom_numericLb0EEEZNS1_14transform_implILb0ES3_S6_NS0_18transform_iteratorINS0_17counting_iteratorImlEEZNS1_24adjacent_difference_implIS3_Lb1ELb0EPS5_SC_N6thrust23THRUST_200600_302600_NS5minusIS5_EEEE10hipError_tPvRmT2_T3_mT4_P12ihipStream_tbEUlmE_S5_EESC_NS0_8identityIvEEEESH_SK_SL_mSM_SO_bEUlT_E_NS1_11comp_targetILNS1_3genE10ELNS1_11target_archE1200ELNS1_3gpuE4ELNS1_3repE0EEENS1_30default_config_static_selectorELNS0_4arch9wavefront6targetE1EEEvT1_
	.globl	_ZN7rocprim17ROCPRIM_400000_NS6detail17trampoline_kernelINS0_14default_configENS1_25transform_config_selectorI14custom_numericLb0EEEZNS1_14transform_implILb0ES3_S6_NS0_18transform_iteratorINS0_17counting_iteratorImlEEZNS1_24adjacent_difference_implIS3_Lb1ELb0EPS5_SC_N6thrust23THRUST_200600_302600_NS5minusIS5_EEEE10hipError_tPvRmT2_T3_mT4_P12ihipStream_tbEUlmE_S5_EESC_NS0_8identityIvEEEESH_SK_SL_mSM_SO_bEUlT_E_NS1_11comp_targetILNS1_3genE10ELNS1_11target_archE1200ELNS1_3gpuE4ELNS1_3repE0EEENS1_30default_config_static_selectorELNS0_4arch9wavefront6targetE1EEEvT1_
	.p2align	8
	.type	_ZN7rocprim17ROCPRIM_400000_NS6detail17trampoline_kernelINS0_14default_configENS1_25transform_config_selectorI14custom_numericLb0EEEZNS1_14transform_implILb0ES3_S6_NS0_18transform_iteratorINS0_17counting_iteratorImlEEZNS1_24adjacent_difference_implIS3_Lb1ELb0EPS5_SC_N6thrust23THRUST_200600_302600_NS5minusIS5_EEEE10hipError_tPvRmT2_T3_mT4_P12ihipStream_tbEUlmE_S5_EESC_NS0_8identityIvEEEESH_SK_SL_mSM_SO_bEUlT_E_NS1_11comp_targetILNS1_3genE10ELNS1_11target_archE1200ELNS1_3gpuE4ELNS1_3repE0EEENS1_30default_config_static_selectorELNS0_4arch9wavefront6targetE1EEEvT1_,@function
_ZN7rocprim17ROCPRIM_400000_NS6detail17trampoline_kernelINS0_14default_configENS1_25transform_config_selectorI14custom_numericLb0EEEZNS1_14transform_implILb0ES3_S6_NS0_18transform_iteratorINS0_17counting_iteratorImlEEZNS1_24adjacent_difference_implIS3_Lb1ELb0EPS5_SC_N6thrust23THRUST_200600_302600_NS5minusIS5_EEEE10hipError_tPvRmT2_T3_mT4_P12ihipStream_tbEUlmE_S5_EESC_NS0_8identityIvEEEESH_SK_SL_mSM_SO_bEUlT_E_NS1_11comp_targetILNS1_3genE10ELNS1_11target_archE1200ELNS1_3gpuE4ELNS1_3repE0EEENS1_30default_config_static_selectorELNS0_4arch9wavefront6targetE1EEEvT1_: ; @_ZN7rocprim17ROCPRIM_400000_NS6detail17trampoline_kernelINS0_14default_configENS1_25transform_config_selectorI14custom_numericLb0EEEZNS1_14transform_implILb0ES3_S6_NS0_18transform_iteratorINS0_17counting_iteratorImlEEZNS1_24adjacent_difference_implIS3_Lb1ELb0EPS5_SC_N6thrust23THRUST_200600_302600_NS5minusIS5_EEEE10hipError_tPvRmT2_T3_mT4_P12ihipStream_tbEUlmE_S5_EESC_NS0_8identityIvEEEESH_SK_SL_mSM_SO_bEUlT_E_NS1_11comp_targetILNS1_3genE10ELNS1_11target_archE1200ELNS1_3gpuE4ELNS1_3repE0EEENS1_30default_config_static_selectorELNS0_4arch9wavefront6targetE1EEEvT1_
; %bb.0:
	.section	.rodata,"a",@progbits
	.p2align	6, 0x0
	.amdhsa_kernel _ZN7rocprim17ROCPRIM_400000_NS6detail17trampoline_kernelINS0_14default_configENS1_25transform_config_selectorI14custom_numericLb0EEEZNS1_14transform_implILb0ES3_S6_NS0_18transform_iteratorINS0_17counting_iteratorImlEEZNS1_24adjacent_difference_implIS3_Lb1ELb0EPS5_SC_N6thrust23THRUST_200600_302600_NS5minusIS5_EEEE10hipError_tPvRmT2_T3_mT4_P12ihipStream_tbEUlmE_S5_EESC_NS0_8identityIvEEEESH_SK_SL_mSM_SO_bEUlT_E_NS1_11comp_targetILNS1_3genE10ELNS1_11target_archE1200ELNS1_3gpuE4ELNS1_3repE0EEENS1_30default_config_static_selectorELNS0_4arch9wavefront6targetE1EEEvT1_
		.amdhsa_group_segment_fixed_size 0
		.amdhsa_private_segment_fixed_size 0
		.amdhsa_kernarg_size 56
		.amdhsa_user_sgpr_count 2
		.amdhsa_user_sgpr_dispatch_ptr 0
		.amdhsa_user_sgpr_queue_ptr 0
		.amdhsa_user_sgpr_kernarg_segment_ptr 1
		.amdhsa_user_sgpr_dispatch_id 0
		.amdhsa_user_sgpr_kernarg_preload_length 0
		.amdhsa_user_sgpr_kernarg_preload_offset 0
		.amdhsa_user_sgpr_private_segment_size 0
		.amdhsa_uses_dynamic_stack 0
		.amdhsa_enable_private_segment 0
		.amdhsa_system_sgpr_workgroup_id_x 1
		.amdhsa_system_sgpr_workgroup_id_y 0
		.amdhsa_system_sgpr_workgroup_id_z 0
		.amdhsa_system_sgpr_workgroup_info 0
		.amdhsa_system_vgpr_workitem_id 0
		.amdhsa_next_free_vgpr 1
		.amdhsa_next_free_sgpr 0
		.amdhsa_accum_offset 4
		.amdhsa_reserve_vcc 0
		.amdhsa_float_round_mode_32 0
		.amdhsa_float_round_mode_16_64 0
		.amdhsa_float_denorm_mode_32 3
		.amdhsa_float_denorm_mode_16_64 3
		.amdhsa_dx10_clamp 1
		.amdhsa_ieee_mode 1
		.amdhsa_fp16_overflow 0
		.amdhsa_tg_split 0
		.amdhsa_exception_fp_ieee_invalid_op 0
		.amdhsa_exception_fp_denorm_src 0
		.amdhsa_exception_fp_ieee_div_zero 0
		.amdhsa_exception_fp_ieee_overflow 0
		.amdhsa_exception_fp_ieee_underflow 0
		.amdhsa_exception_fp_ieee_inexact 0
		.amdhsa_exception_int_div_zero 0
	.end_amdhsa_kernel
	.section	.text._ZN7rocprim17ROCPRIM_400000_NS6detail17trampoline_kernelINS0_14default_configENS1_25transform_config_selectorI14custom_numericLb0EEEZNS1_14transform_implILb0ES3_S6_NS0_18transform_iteratorINS0_17counting_iteratorImlEEZNS1_24adjacent_difference_implIS3_Lb1ELb0EPS5_SC_N6thrust23THRUST_200600_302600_NS5minusIS5_EEEE10hipError_tPvRmT2_T3_mT4_P12ihipStream_tbEUlmE_S5_EESC_NS0_8identityIvEEEESH_SK_SL_mSM_SO_bEUlT_E_NS1_11comp_targetILNS1_3genE10ELNS1_11target_archE1200ELNS1_3gpuE4ELNS1_3repE0EEENS1_30default_config_static_selectorELNS0_4arch9wavefront6targetE1EEEvT1_,"axG",@progbits,_ZN7rocprim17ROCPRIM_400000_NS6detail17trampoline_kernelINS0_14default_configENS1_25transform_config_selectorI14custom_numericLb0EEEZNS1_14transform_implILb0ES3_S6_NS0_18transform_iteratorINS0_17counting_iteratorImlEEZNS1_24adjacent_difference_implIS3_Lb1ELb0EPS5_SC_N6thrust23THRUST_200600_302600_NS5minusIS5_EEEE10hipError_tPvRmT2_T3_mT4_P12ihipStream_tbEUlmE_S5_EESC_NS0_8identityIvEEEESH_SK_SL_mSM_SO_bEUlT_E_NS1_11comp_targetILNS1_3genE10ELNS1_11target_archE1200ELNS1_3gpuE4ELNS1_3repE0EEENS1_30default_config_static_selectorELNS0_4arch9wavefront6targetE1EEEvT1_,comdat
.Lfunc_end223:
	.size	_ZN7rocprim17ROCPRIM_400000_NS6detail17trampoline_kernelINS0_14default_configENS1_25transform_config_selectorI14custom_numericLb0EEEZNS1_14transform_implILb0ES3_S6_NS0_18transform_iteratorINS0_17counting_iteratorImlEEZNS1_24adjacent_difference_implIS3_Lb1ELb0EPS5_SC_N6thrust23THRUST_200600_302600_NS5minusIS5_EEEE10hipError_tPvRmT2_T3_mT4_P12ihipStream_tbEUlmE_S5_EESC_NS0_8identityIvEEEESH_SK_SL_mSM_SO_bEUlT_E_NS1_11comp_targetILNS1_3genE10ELNS1_11target_archE1200ELNS1_3gpuE4ELNS1_3repE0EEENS1_30default_config_static_selectorELNS0_4arch9wavefront6targetE1EEEvT1_, .Lfunc_end223-_ZN7rocprim17ROCPRIM_400000_NS6detail17trampoline_kernelINS0_14default_configENS1_25transform_config_selectorI14custom_numericLb0EEEZNS1_14transform_implILb0ES3_S6_NS0_18transform_iteratorINS0_17counting_iteratorImlEEZNS1_24adjacent_difference_implIS3_Lb1ELb0EPS5_SC_N6thrust23THRUST_200600_302600_NS5minusIS5_EEEE10hipError_tPvRmT2_T3_mT4_P12ihipStream_tbEUlmE_S5_EESC_NS0_8identityIvEEEESH_SK_SL_mSM_SO_bEUlT_E_NS1_11comp_targetILNS1_3genE10ELNS1_11target_archE1200ELNS1_3gpuE4ELNS1_3repE0EEENS1_30default_config_static_selectorELNS0_4arch9wavefront6targetE1EEEvT1_
                                        ; -- End function
	.section	.AMDGPU.csdata,"",@progbits
; Kernel info:
; codeLenInByte = 0
; NumSgprs: 6
; NumVgprs: 0
; NumAgprs: 0
; TotalNumVgprs: 0
; ScratchSize: 0
; MemoryBound: 0
; FloatMode: 240
; IeeeMode: 1
; LDSByteSize: 0 bytes/workgroup (compile time only)
; SGPRBlocks: 0
; VGPRBlocks: 0
; NumSGPRsForWavesPerEU: 6
; NumVGPRsForWavesPerEU: 1
; AccumOffset: 4
; Occupancy: 8
; WaveLimiterHint : 0
; COMPUTE_PGM_RSRC2:SCRATCH_EN: 0
; COMPUTE_PGM_RSRC2:USER_SGPR: 2
; COMPUTE_PGM_RSRC2:TRAP_HANDLER: 0
; COMPUTE_PGM_RSRC2:TGID_X_EN: 1
; COMPUTE_PGM_RSRC2:TGID_Y_EN: 0
; COMPUTE_PGM_RSRC2:TGID_Z_EN: 0
; COMPUTE_PGM_RSRC2:TIDIG_COMP_CNT: 0
; COMPUTE_PGM_RSRC3_GFX90A:ACCUM_OFFSET: 0
; COMPUTE_PGM_RSRC3_GFX90A:TG_SPLIT: 0
	.section	.text._ZN7rocprim17ROCPRIM_400000_NS6detail17trampoline_kernelINS0_14default_configENS1_25transform_config_selectorI14custom_numericLb0EEEZNS1_14transform_implILb0ES3_S6_NS0_18transform_iteratorINS0_17counting_iteratorImlEEZNS1_24adjacent_difference_implIS3_Lb1ELb0EPS5_SC_N6thrust23THRUST_200600_302600_NS5minusIS5_EEEE10hipError_tPvRmT2_T3_mT4_P12ihipStream_tbEUlmE_S5_EESC_NS0_8identityIvEEEESH_SK_SL_mSM_SO_bEUlT_E_NS1_11comp_targetILNS1_3genE9ELNS1_11target_archE1100ELNS1_3gpuE3ELNS1_3repE0EEENS1_30default_config_static_selectorELNS0_4arch9wavefront6targetE1EEEvT1_,"axG",@progbits,_ZN7rocprim17ROCPRIM_400000_NS6detail17trampoline_kernelINS0_14default_configENS1_25transform_config_selectorI14custom_numericLb0EEEZNS1_14transform_implILb0ES3_S6_NS0_18transform_iteratorINS0_17counting_iteratorImlEEZNS1_24adjacent_difference_implIS3_Lb1ELb0EPS5_SC_N6thrust23THRUST_200600_302600_NS5minusIS5_EEEE10hipError_tPvRmT2_T3_mT4_P12ihipStream_tbEUlmE_S5_EESC_NS0_8identityIvEEEESH_SK_SL_mSM_SO_bEUlT_E_NS1_11comp_targetILNS1_3genE9ELNS1_11target_archE1100ELNS1_3gpuE3ELNS1_3repE0EEENS1_30default_config_static_selectorELNS0_4arch9wavefront6targetE1EEEvT1_,comdat
	.protected	_ZN7rocprim17ROCPRIM_400000_NS6detail17trampoline_kernelINS0_14default_configENS1_25transform_config_selectorI14custom_numericLb0EEEZNS1_14transform_implILb0ES3_S6_NS0_18transform_iteratorINS0_17counting_iteratorImlEEZNS1_24adjacent_difference_implIS3_Lb1ELb0EPS5_SC_N6thrust23THRUST_200600_302600_NS5minusIS5_EEEE10hipError_tPvRmT2_T3_mT4_P12ihipStream_tbEUlmE_S5_EESC_NS0_8identityIvEEEESH_SK_SL_mSM_SO_bEUlT_E_NS1_11comp_targetILNS1_3genE9ELNS1_11target_archE1100ELNS1_3gpuE3ELNS1_3repE0EEENS1_30default_config_static_selectorELNS0_4arch9wavefront6targetE1EEEvT1_ ; -- Begin function _ZN7rocprim17ROCPRIM_400000_NS6detail17trampoline_kernelINS0_14default_configENS1_25transform_config_selectorI14custom_numericLb0EEEZNS1_14transform_implILb0ES3_S6_NS0_18transform_iteratorINS0_17counting_iteratorImlEEZNS1_24adjacent_difference_implIS3_Lb1ELb0EPS5_SC_N6thrust23THRUST_200600_302600_NS5minusIS5_EEEE10hipError_tPvRmT2_T3_mT4_P12ihipStream_tbEUlmE_S5_EESC_NS0_8identityIvEEEESH_SK_SL_mSM_SO_bEUlT_E_NS1_11comp_targetILNS1_3genE9ELNS1_11target_archE1100ELNS1_3gpuE3ELNS1_3repE0EEENS1_30default_config_static_selectorELNS0_4arch9wavefront6targetE1EEEvT1_
	.globl	_ZN7rocprim17ROCPRIM_400000_NS6detail17trampoline_kernelINS0_14default_configENS1_25transform_config_selectorI14custom_numericLb0EEEZNS1_14transform_implILb0ES3_S6_NS0_18transform_iteratorINS0_17counting_iteratorImlEEZNS1_24adjacent_difference_implIS3_Lb1ELb0EPS5_SC_N6thrust23THRUST_200600_302600_NS5minusIS5_EEEE10hipError_tPvRmT2_T3_mT4_P12ihipStream_tbEUlmE_S5_EESC_NS0_8identityIvEEEESH_SK_SL_mSM_SO_bEUlT_E_NS1_11comp_targetILNS1_3genE9ELNS1_11target_archE1100ELNS1_3gpuE3ELNS1_3repE0EEENS1_30default_config_static_selectorELNS0_4arch9wavefront6targetE1EEEvT1_
	.p2align	8
	.type	_ZN7rocprim17ROCPRIM_400000_NS6detail17trampoline_kernelINS0_14default_configENS1_25transform_config_selectorI14custom_numericLb0EEEZNS1_14transform_implILb0ES3_S6_NS0_18transform_iteratorINS0_17counting_iteratorImlEEZNS1_24adjacent_difference_implIS3_Lb1ELb0EPS5_SC_N6thrust23THRUST_200600_302600_NS5minusIS5_EEEE10hipError_tPvRmT2_T3_mT4_P12ihipStream_tbEUlmE_S5_EESC_NS0_8identityIvEEEESH_SK_SL_mSM_SO_bEUlT_E_NS1_11comp_targetILNS1_3genE9ELNS1_11target_archE1100ELNS1_3gpuE3ELNS1_3repE0EEENS1_30default_config_static_selectorELNS0_4arch9wavefront6targetE1EEEvT1_,@function
_ZN7rocprim17ROCPRIM_400000_NS6detail17trampoline_kernelINS0_14default_configENS1_25transform_config_selectorI14custom_numericLb0EEEZNS1_14transform_implILb0ES3_S6_NS0_18transform_iteratorINS0_17counting_iteratorImlEEZNS1_24adjacent_difference_implIS3_Lb1ELb0EPS5_SC_N6thrust23THRUST_200600_302600_NS5minusIS5_EEEE10hipError_tPvRmT2_T3_mT4_P12ihipStream_tbEUlmE_S5_EESC_NS0_8identityIvEEEESH_SK_SL_mSM_SO_bEUlT_E_NS1_11comp_targetILNS1_3genE9ELNS1_11target_archE1100ELNS1_3gpuE3ELNS1_3repE0EEENS1_30default_config_static_selectorELNS0_4arch9wavefront6targetE1EEEvT1_: ; @_ZN7rocprim17ROCPRIM_400000_NS6detail17trampoline_kernelINS0_14default_configENS1_25transform_config_selectorI14custom_numericLb0EEEZNS1_14transform_implILb0ES3_S6_NS0_18transform_iteratorINS0_17counting_iteratorImlEEZNS1_24adjacent_difference_implIS3_Lb1ELb0EPS5_SC_N6thrust23THRUST_200600_302600_NS5minusIS5_EEEE10hipError_tPvRmT2_T3_mT4_P12ihipStream_tbEUlmE_S5_EESC_NS0_8identityIvEEEESH_SK_SL_mSM_SO_bEUlT_E_NS1_11comp_targetILNS1_3genE9ELNS1_11target_archE1100ELNS1_3gpuE3ELNS1_3repE0EEENS1_30default_config_static_selectorELNS0_4arch9wavefront6targetE1EEEvT1_
; %bb.0:
	.section	.rodata,"a",@progbits
	.p2align	6, 0x0
	.amdhsa_kernel _ZN7rocprim17ROCPRIM_400000_NS6detail17trampoline_kernelINS0_14default_configENS1_25transform_config_selectorI14custom_numericLb0EEEZNS1_14transform_implILb0ES3_S6_NS0_18transform_iteratorINS0_17counting_iteratorImlEEZNS1_24adjacent_difference_implIS3_Lb1ELb0EPS5_SC_N6thrust23THRUST_200600_302600_NS5minusIS5_EEEE10hipError_tPvRmT2_T3_mT4_P12ihipStream_tbEUlmE_S5_EESC_NS0_8identityIvEEEESH_SK_SL_mSM_SO_bEUlT_E_NS1_11comp_targetILNS1_3genE9ELNS1_11target_archE1100ELNS1_3gpuE3ELNS1_3repE0EEENS1_30default_config_static_selectorELNS0_4arch9wavefront6targetE1EEEvT1_
		.amdhsa_group_segment_fixed_size 0
		.amdhsa_private_segment_fixed_size 0
		.amdhsa_kernarg_size 56
		.amdhsa_user_sgpr_count 2
		.amdhsa_user_sgpr_dispatch_ptr 0
		.amdhsa_user_sgpr_queue_ptr 0
		.amdhsa_user_sgpr_kernarg_segment_ptr 1
		.amdhsa_user_sgpr_dispatch_id 0
		.amdhsa_user_sgpr_kernarg_preload_length 0
		.amdhsa_user_sgpr_kernarg_preload_offset 0
		.amdhsa_user_sgpr_private_segment_size 0
		.amdhsa_uses_dynamic_stack 0
		.amdhsa_enable_private_segment 0
		.amdhsa_system_sgpr_workgroup_id_x 1
		.amdhsa_system_sgpr_workgroup_id_y 0
		.amdhsa_system_sgpr_workgroup_id_z 0
		.amdhsa_system_sgpr_workgroup_info 0
		.amdhsa_system_vgpr_workitem_id 0
		.amdhsa_next_free_vgpr 1
		.amdhsa_next_free_sgpr 0
		.amdhsa_accum_offset 4
		.amdhsa_reserve_vcc 0
		.amdhsa_float_round_mode_32 0
		.amdhsa_float_round_mode_16_64 0
		.amdhsa_float_denorm_mode_32 3
		.amdhsa_float_denorm_mode_16_64 3
		.amdhsa_dx10_clamp 1
		.amdhsa_ieee_mode 1
		.amdhsa_fp16_overflow 0
		.amdhsa_tg_split 0
		.amdhsa_exception_fp_ieee_invalid_op 0
		.amdhsa_exception_fp_denorm_src 0
		.amdhsa_exception_fp_ieee_div_zero 0
		.amdhsa_exception_fp_ieee_overflow 0
		.amdhsa_exception_fp_ieee_underflow 0
		.amdhsa_exception_fp_ieee_inexact 0
		.amdhsa_exception_int_div_zero 0
	.end_amdhsa_kernel
	.section	.text._ZN7rocprim17ROCPRIM_400000_NS6detail17trampoline_kernelINS0_14default_configENS1_25transform_config_selectorI14custom_numericLb0EEEZNS1_14transform_implILb0ES3_S6_NS0_18transform_iteratorINS0_17counting_iteratorImlEEZNS1_24adjacent_difference_implIS3_Lb1ELb0EPS5_SC_N6thrust23THRUST_200600_302600_NS5minusIS5_EEEE10hipError_tPvRmT2_T3_mT4_P12ihipStream_tbEUlmE_S5_EESC_NS0_8identityIvEEEESH_SK_SL_mSM_SO_bEUlT_E_NS1_11comp_targetILNS1_3genE9ELNS1_11target_archE1100ELNS1_3gpuE3ELNS1_3repE0EEENS1_30default_config_static_selectorELNS0_4arch9wavefront6targetE1EEEvT1_,"axG",@progbits,_ZN7rocprim17ROCPRIM_400000_NS6detail17trampoline_kernelINS0_14default_configENS1_25transform_config_selectorI14custom_numericLb0EEEZNS1_14transform_implILb0ES3_S6_NS0_18transform_iteratorINS0_17counting_iteratorImlEEZNS1_24adjacent_difference_implIS3_Lb1ELb0EPS5_SC_N6thrust23THRUST_200600_302600_NS5minusIS5_EEEE10hipError_tPvRmT2_T3_mT4_P12ihipStream_tbEUlmE_S5_EESC_NS0_8identityIvEEEESH_SK_SL_mSM_SO_bEUlT_E_NS1_11comp_targetILNS1_3genE9ELNS1_11target_archE1100ELNS1_3gpuE3ELNS1_3repE0EEENS1_30default_config_static_selectorELNS0_4arch9wavefront6targetE1EEEvT1_,comdat
.Lfunc_end224:
	.size	_ZN7rocprim17ROCPRIM_400000_NS6detail17trampoline_kernelINS0_14default_configENS1_25transform_config_selectorI14custom_numericLb0EEEZNS1_14transform_implILb0ES3_S6_NS0_18transform_iteratorINS0_17counting_iteratorImlEEZNS1_24adjacent_difference_implIS3_Lb1ELb0EPS5_SC_N6thrust23THRUST_200600_302600_NS5minusIS5_EEEE10hipError_tPvRmT2_T3_mT4_P12ihipStream_tbEUlmE_S5_EESC_NS0_8identityIvEEEESH_SK_SL_mSM_SO_bEUlT_E_NS1_11comp_targetILNS1_3genE9ELNS1_11target_archE1100ELNS1_3gpuE3ELNS1_3repE0EEENS1_30default_config_static_selectorELNS0_4arch9wavefront6targetE1EEEvT1_, .Lfunc_end224-_ZN7rocprim17ROCPRIM_400000_NS6detail17trampoline_kernelINS0_14default_configENS1_25transform_config_selectorI14custom_numericLb0EEEZNS1_14transform_implILb0ES3_S6_NS0_18transform_iteratorINS0_17counting_iteratorImlEEZNS1_24adjacent_difference_implIS3_Lb1ELb0EPS5_SC_N6thrust23THRUST_200600_302600_NS5minusIS5_EEEE10hipError_tPvRmT2_T3_mT4_P12ihipStream_tbEUlmE_S5_EESC_NS0_8identityIvEEEESH_SK_SL_mSM_SO_bEUlT_E_NS1_11comp_targetILNS1_3genE9ELNS1_11target_archE1100ELNS1_3gpuE3ELNS1_3repE0EEENS1_30default_config_static_selectorELNS0_4arch9wavefront6targetE1EEEvT1_
                                        ; -- End function
	.section	.AMDGPU.csdata,"",@progbits
; Kernel info:
; codeLenInByte = 0
; NumSgprs: 6
; NumVgprs: 0
; NumAgprs: 0
; TotalNumVgprs: 0
; ScratchSize: 0
; MemoryBound: 0
; FloatMode: 240
; IeeeMode: 1
; LDSByteSize: 0 bytes/workgroup (compile time only)
; SGPRBlocks: 0
; VGPRBlocks: 0
; NumSGPRsForWavesPerEU: 6
; NumVGPRsForWavesPerEU: 1
; AccumOffset: 4
; Occupancy: 8
; WaveLimiterHint : 0
; COMPUTE_PGM_RSRC2:SCRATCH_EN: 0
; COMPUTE_PGM_RSRC2:USER_SGPR: 2
; COMPUTE_PGM_RSRC2:TRAP_HANDLER: 0
; COMPUTE_PGM_RSRC2:TGID_X_EN: 1
; COMPUTE_PGM_RSRC2:TGID_Y_EN: 0
; COMPUTE_PGM_RSRC2:TGID_Z_EN: 0
; COMPUTE_PGM_RSRC2:TIDIG_COMP_CNT: 0
; COMPUTE_PGM_RSRC3_GFX90A:ACCUM_OFFSET: 0
; COMPUTE_PGM_RSRC3_GFX90A:TG_SPLIT: 0
	.section	.text._ZN7rocprim17ROCPRIM_400000_NS6detail17trampoline_kernelINS0_14default_configENS1_25transform_config_selectorI14custom_numericLb0EEEZNS1_14transform_implILb0ES3_S6_NS0_18transform_iteratorINS0_17counting_iteratorImlEEZNS1_24adjacent_difference_implIS3_Lb1ELb0EPS5_SC_N6thrust23THRUST_200600_302600_NS5minusIS5_EEEE10hipError_tPvRmT2_T3_mT4_P12ihipStream_tbEUlmE_S5_EESC_NS0_8identityIvEEEESH_SK_SL_mSM_SO_bEUlT_E_NS1_11comp_targetILNS1_3genE8ELNS1_11target_archE1030ELNS1_3gpuE2ELNS1_3repE0EEENS1_30default_config_static_selectorELNS0_4arch9wavefront6targetE1EEEvT1_,"axG",@progbits,_ZN7rocprim17ROCPRIM_400000_NS6detail17trampoline_kernelINS0_14default_configENS1_25transform_config_selectorI14custom_numericLb0EEEZNS1_14transform_implILb0ES3_S6_NS0_18transform_iteratorINS0_17counting_iteratorImlEEZNS1_24adjacent_difference_implIS3_Lb1ELb0EPS5_SC_N6thrust23THRUST_200600_302600_NS5minusIS5_EEEE10hipError_tPvRmT2_T3_mT4_P12ihipStream_tbEUlmE_S5_EESC_NS0_8identityIvEEEESH_SK_SL_mSM_SO_bEUlT_E_NS1_11comp_targetILNS1_3genE8ELNS1_11target_archE1030ELNS1_3gpuE2ELNS1_3repE0EEENS1_30default_config_static_selectorELNS0_4arch9wavefront6targetE1EEEvT1_,comdat
	.protected	_ZN7rocprim17ROCPRIM_400000_NS6detail17trampoline_kernelINS0_14default_configENS1_25transform_config_selectorI14custom_numericLb0EEEZNS1_14transform_implILb0ES3_S6_NS0_18transform_iteratorINS0_17counting_iteratorImlEEZNS1_24adjacent_difference_implIS3_Lb1ELb0EPS5_SC_N6thrust23THRUST_200600_302600_NS5minusIS5_EEEE10hipError_tPvRmT2_T3_mT4_P12ihipStream_tbEUlmE_S5_EESC_NS0_8identityIvEEEESH_SK_SL_mSM_SO_bEUlT_E_NS1_11comp_targetILNS1_3genE8ELNS1_11target_archE1030ELNS1_3gpuE2ELNS1_3repE0EEENS1_30default_config_static_selectorELNS0_4arch9wavefront6targetE1EEEvT1_ ; -- Begin function _ZN7rocprim17ROCPRIM_400000_NS6detail17trampoline_kernelINS0_14default_configENS1_25transform_config_selectorI14custom_numericLb0EEEZNS1_14transform_implILb0ES3_S6_NS0_18transform_iteratorINS0_17counting_iteratorImlEEZNS1_24adjacent_difference_implIS3_Lb1ELb0EPS5_SC_N6thrust23THRUST_200600_302600_NS5minusIS5_EEEE10hipError_tPvRmT2_T3_mT4_P12ihipStream_tbEUlmE_S5_EESC_NS0_8identityIvEEEESH_SK_SL_mSM_SO_bEUlT_E_NS1_11comp_targetILNS1_3genE8ELNS1_11target_archE1030ELNS1_3gpuE2ELNS1_3repE0EEENS1_30default_config_static_selectorELNS0_4arch9wavefront6targetE1EEEvT1_
	.globl	_ZN7rocprim17ROCPRIM_400000_NS6detail17trampoline_kernelINS0_14default_configENS1_25transform_config_selectorI14custom_numericLb0EEEZNS1_14transform_implILb0ES3_S6_NS0_18transform_iteratorINS0_17counting_iteratorImlEEZNS1_24adjacent_difference_implIS3_Lb1ELb0EPS5_SC_N6thrust23THRUST_200600_302600_NS5minusIS5_EEEE10hipError_tPvRmT2_T3_mT4_P12ihipStream_tbEUlmE_S5_EESC_NS0_8identityIvEEEESH_SK_SL_mSM_SO_bEUlT_E_NS1_11comp_targetILNS1_3genE8ELNS1_11target_archE1030ELNS1_3gpuE2ELNS1_3repE0EEENS1_30default_config_static_selectorELNS0_4arch9wavefront6targetE1EEEvT1_
	.p2align	8
	.type	_ZN7rocprim17ROCPRIM_400000_NS6detail17trampoline_kernelINS0_14default_configENS1_25transform_config_selectorI14custom_numericLb0EEEZNS1_14transform_implILb0ES3_S6_NS0_18transform_iteratorINS0_17counting_iteratorImlEEZNS1_24adjacent_difference_implIS3_Lb1ELb0EPS5_SC_N6thrust23THRUST_200600_302600_NS5minusIS5_EEEE10hipError_tPvRmT2_T3_mT4_P12ihipStream_tbEUlmE_S5_EESC_NS0_8identityIvEEEESH_SK_SL_mSM_SO_bEUlT_E_NS1_11comp_targetILNS1_3genE8ELNS1_11target_archE1030ELNS1_3gpuE2ELNS1_3repE0EEENS1_30default_config_static_selectorELNS0_4arch9wavefront6targetE1EEEvT1_,@function
_ZN7rocprim17ROCPRIM_400000_NS6detail17trampoline_kernelINS0_14default_configENS1_25transform_config_selectorI14custom_numericLb0EEEZNS1_14transform_implILb0ES3_S6_NS0_18transform_iteratorINS0_17counting_iteratorImlEEZNS1_24adjacent_difference_implIS3_Lb1ELb0EPS5_SC_N6thrust23THRUST_200600_302600_NS5minusIS5_EEEE10hipError_tPvRmT2_T3_mT4_P12ihipStream_tbEUlmE_S5_EESC_NS0_8identityIvEEEESH_SK_SL_mSM_SO_bEUlT_E_NS1_11comp_targetILNS1_3genE8ELNS1_11target_archE1030ELNS1_3gpuE2ELNS1_3repE0EEENS1_30default_config_static_selectorELNS0_4arch9wavefront6targetE1EEEvT1_: ; @_ZN7rocprim17ROCPRIM_400000_NS6detail17trampoline_kernelINS0_14default_configENS1_25transform_config_selectorI14custom_numericLb0EEEZNS1_14transform_implILb0ES3_S6_NS0_18transform_iteratorINS0_17counting_iteratorImlEEZNS1_24adjacent_difference_implIS3_Lb1ELb0EPS5_SC_N6thrust23THRUST_200600_302600_NS5minusIS5_EEEE10hipError_tPvRmT2_T3_mT4_P12ihipStream_tbEUlmE_S5_EESC_NS0_8identityIvEEEESH_SK_SL_mSM_SO_bEUlT_E_NS1_11comp_targetILNS1_3genE8ELNS1_11target_archE1030ELNS1_3gpuE2ELNS1_3repE0EEENS1_30default_config_static_selectorELNS0_4arch9wavefront6targetE1EEEvT1_
; %bb.0:
	.section	.rodata,"a",@progbits
	.p2align	6, 0x0
	.amdhsa_kernel _ZN7rocprim17ROCPRIM_400000_NS6detail17trampoline_kernelINS0_14default_configENS1_25transform_config_selectorI14custom_numericLb0EEEZNS1_14transform_implILb0ES3_S6_NS0_18transform_iteratorINS0_17counting_iteratorImlEEZNS1_24adjacent_difference_implIS3_Lb1ELb0EPS5_SC_N6thrust23THRUST_200600_302600_NS5minusIS5_EEEE10hipError_tPvRmT2_T3_mT4_P12ihipStream_tbEUlmE_S5_EESC_NS0_8identityIvEEEESH_SK_SL_mSM_SO_bEUlT_E_NS1_11comp_targetILNS1_3genE8ELNS1_11target_archE1030ELNS1_3gpuE2ELNS1_3repE0EEENS1_30default_config_static_selectorELNS0_4arch9wavefront6targetE1EEEvT1_
		.amdhsa_group_segment_fixed_size 0
		.amdhsa_private_segment_fixed_size 0
		.amdhsa_kernarg_size 56
		.amdhsa_user_sgpr_count 2
		.amdhsa_user_sgpr_dispatch_ptr 0
		.amdhsa_user_sgpr_queue_ptr 0
		.amdhsa_user_sgpr_kernarg_segment_ptr 1
		.amdhsa_user_sgpr_dispatch_id 0
		.amdhsa_user_sgpr_kernarg_preload_length 0
		.amdhsa_user_sgpr_kernarg_preload_offset 0
		.amdhsa_user_sgpr_private_segment_size 0
		.amdhsa_uses_dynamic_stack 0
		.amdhsa_enable_private_segment 0
		.amdhsa_system_sgpr_workgroup_id_x 1
		.amdhsa_system_sgpr_workgroup_id_y 0
		.amdhsa_system_sgpr_workgroup_id_z 0
		.amdhsa_system_sgpr_workgroup_info 0
		.amdhsa_system_vgpr_workitem_id 0
		.amdhsa_next_free_vgpr 1
		.amdhsa_next_free_sgpr 0
		.amdhsa_accum_offset 4
		.amdhsa_reserve_vcc 0
		.amdhsa_float_round_mode_32 0
		.amdhsa_float_round_mode_16_64 0
		.amdhsa_float_denorm_mode_32 3
		.amdhsa_float_denorm_mode_16_64 3
		.amdhsa_dx10_clamp 1
		.amdhsa_ieee_mode 1
		.amdhsa_fp16_overflow 0
		.amdhsa_tg_split 0
		.amdhsa_exception_fp_ieee_invalid_op 0
		.amdhsa_exception_fp_denorm_src 0
		.amdhsa_exception_fp_ieee_div_zero 0
		.amdhsa_exception_fp_ieee_overflow 0
		.amdhsa_exception_fp_ieee_underflow 0
		.amdhsa_exception_fp_ieee_inexact 0
		.amdhsa_exception_int_div_zero 0
	.end_amdhsa_kernel
	.section	.text._ZN7rocprim17ROCPRIM_400000_NS6detail17trampoline_kernelINS0_14default_configENS1_25transform_config_selectorI14custom_numericLb0EEEZNS1_14transform_implILb0ES3_S6_NS0_18transform_iteratorINS0_17counting_iteratorImlEEZNS1_24adjacent_difference_implIS3_Lb1ELb0EPS5_SC_N6thrust23THRUST_200600_302600_NS5minusIS5_EEEE10hipError_tPvRmT2_T3_mT4_P12ihipStream_tbEUlmE_S5_EESC_NS0_8identityIvEEEESH_SK_SL_mSM_SO_bEUlT_E_NS1_11comp_targetILNS1_3genE8ELNS1_11target_archE1030ELNS1_3gpuE2ELNS1_3repE0EEENS1_30default_config_static_selectorELNS0_4arch9wavefront6targetE1EEEvT1_,"axG",@progbits,_ZN7rocprim17ROCPRIM_400000_NS6detail17trampoline_kernelINS0_14default_configENS1_25transform_config_selectorI14custom_numericLb0EEEZNS1_14transform_implILb0ES3_S6_NS0_18transform_iteratorINS0_17counting_iteratorImlEEZNS1_24adjacent_difference_implIS3_Lb1ELb0EPS5_SC_N6thrust23THRUST_200600_302600_NS5minusIS5_EEEE10hipError_tPvRmT2_T3_mT4_P12ihipStream_tbEUlmE_S5_EESC_NS0_8identityIvEEEESH_SK_SL_mSM_SO_bEUlT_E_NS1_11comp_targetILNS1_3genE8ELNS1_11target_archE1030ELNS1_3gpuE2ELNS1_3repE0EEENS1_30default_config_static_selectorELNS0_4arch9wavefront6targetE1EEEvT1_,comdat
.Lfunc_end225:
	.size	_ZN7rocprim17ROCPRIM_400000_NS6detail17trampoline_kernelINS0_14default_configENS1_25transform_config_selectorI14custom_numericLb0EEEZNS1_14transform_implILb0ES3_S6_NS0_18transform_iteratorINS0_17counting_iteratorImlEEZNS1_24adjacent_difference_implIS3_Lb1ELb0EPS5_SC_N6thrust23THRUST_200600_302600_NS5minusIS5_EEEE10hipError_tPvRmT2_T3_mT4_P12ihipStream_tbEUlmE_S5_EESC_NS0_8identityIvEEEESH_SK_SL_mSM_SO_bEUlT_E_NS1_11comp_targetILNS1_3genE8ELNS1_11target_archE1030ELNS1_3gpuE2ELNS1_3repE0EEENS1_30default_config_static_selectorELNS0_4arch9wavefront6targetE1EEEvT1_, .Lfunc_end225-_ZN7rocprim17ROCPRIM_400000_NS6detail17trampoline_kernelINS0_14default_configENS1_25transform_config_selectorI14custom_numericLb0EEEZNS1_14transform_implILb0ES3_S6_NS0_18transform_iteratorINS0_17counting_iteratorImlEEZNS1_24adjacent_difference_implIS3_Lb1ELb0EPS5_SC_N6thrust23THRUST_200600_302600_NS5minusIS5_EEEE10hipError_tPvRmT2_T3_mT4_P12ihipStream_tbEUlmE_S5_EESC_NS0_8identityIvEEEESH_SK_SL_mSM_SO_bEUlT_E_NS1_11comp_targetILNS1_3genE8ELNS1_11target_archE1030ELNS1_3gpuE2ELNS1_3repE0EEENS1_30default_config_static_selectorELNS0_4arch9wavefront6targetE1EEEvT1_
                                        ; -- End function
	.section	.AMDGPU.csdata,"",@progbits
; Kernel info:
; codeLenInByte = 0
; NumSgprs: 6
; NumVgprs: 0
; NumAgprs: 0
; TotalNumVgprs: 0
; ScratchSize: 0
; MemoryBound: 0
; FloatMode: 240
; IeeeMode: 1
; LDSByteSize: 0 bytes/workgroup (compile time only)
; SGPRBlocks: 0
; VGPRBlocks: 0
; NumSGPRsForWavesPerEU: 6
; NumVGPRsForWavesPerEU: 1
; AccumOffset: 4
; Occupancy: 8
; WaveLimiterHint : 0
; COMPUTE_PGM_RSRC2:SCRATCH_EN: 0
; COMPUTE_PGM_RSRC2:USER_SGPR: 2
; COMPUTE_PGM_RSRC2:TRAP_HANDLER: 0
; COMPUTE_PGM_RSRC2:TGID_X_EN: 1
; COMPUTE_PGM_RSRC2:TGID_Y_EN: 0
; COMPUTE_PGM_RSRC2:TGID_Z_EN: 0
; COMPUTE_PGM_RSRC2:TIDIG_COMP_CNT: 0
; COMPUTE_PGM_RSRC3_GFX90A:ACCUM_OFFSET: 0
; COMPUTE_PGM_RSRC3_GFX90A:TG_SPLIT: 0
	.section	.text._ZN7rocprim17ROCPRIM_400000_NS6detail17trampoline_kernelINS0_14default_configENS1_35adjacent_difference_config_selectorILb1E14custom_numericEEZNS1_24adjacent_difference_implIS3_Lb1ELb0EPS5_S8_N6thrust23THRUST_200600_302600_NS5minusIS5_EEEE10hipError_tPvRmT2_T3_mT4_P12ihipStream_tbEUlT_E_NS1_11comp_targetILNS1_3genE0ELNS1_11target_archE4294967295ELNS1_3gpuE0ELNS1_3repE0EEENS1_30default_config_static_selectorELNS0_4arch9wavefront6targetE1EEEvT1_,"axG",@progbits,_ZN7rocprim17ROCPRIM_400000_NS6detail17trampoline_kernelINS0_14default_configENS1_35adjacent_difference_config_selectorILb1E14custom_numericEEZNS1_24adjacent_difference_implIS3_Lb1ELb0EPS5_S8_N6thrust23THRUST_200600_302600_NS5minusIS5_EEEE10hipError_tPvRmT2_T3_mT4_P12ihipStream_tbEUlT_E_NS1_11comp_targetILNS1_3genE0ELNS1_11target_archE4294967295ELNS1_3gpuE0ELNS1_3repE0EEENS1_30default_config_static_selectorELNS0_4arch9wavefront6targetE1EEEvT1_,comdat
	.protected	_ZN7rocprim17ROCPRIM_400000_NS6detail17trampoline_kernelINS0_14default_configENS1_35adjacent_difference_config_selectorILb1E14custom_numericEEZNS1_24adjacent_difference_implIS3_Lb1ELb0EPS5_S8_N6thrust23THRUST_200600_302600_NS5minusIS5_EEEE10hipError_tPvRmT2_T3_mT4_P12ihipStream_tbEUlT_E_NS1_11comp_targetILNS1_3genE0ELNS1_11target_archE4294967295ELNS1_3gpuE0ELNS1_3repE0EEENS1_30default_config_static_selectorELNS0_4arch9wavefront6targetE1EEEvT1_ ; -- Begin function _ZN7rocprim17ROCPRIM_400000_NS6detail17trampoline_kernelINS0_14default_configENS1_35adjacent_difference_config_selectorILb1E14custom_numericEEZNS1_24adjacent_difference_implIS3_Lb1ELb0EPS5_S8_N6thrust23THRUST_200600_302600_NS5minusIS5_EEEE10hipError_tPvRmT2_T3_mT4_P12ihipStream_tbEUlT_E_NS1_11comp_targetILNS1_3genE0ELNS1_11target_archE4294967295ELNS1_3gpuE0ELNS1_3repE0EEENS1_30default_config_static_selectorELNS0_4arch9wavefront6targetE1EEEvT1_
	.globl	_ZN7rocprim17ROCPRIM_400000_NS6detail17trampoline_kernelINS0_14default_configENS1_35adjacent_difference_config_selectorILb1E14custom_numericEEZNS1_24adjacent_difference_implIS3_Lb1ELb0EPS5_S8_N6thrust23THRUST_200600_302600_NS5minusIS5_EEEE10hipError_tPvRmT2_T3_mT4_P12ihipStream_tbEUlT_E_NS1_11comp_targetILNS1_3genE0ELNS1_11target_archE4294967295ELNS1_3gpuE0ELNS1_3repE0EEENS1_30default_config_static_selectorELNS0_4arch9wavefront6targetE1EEEvT1_
	.p2align	8
	.type	_ZN7rocprim17ROCPRIM_400000_NS6detail17trampoline_kernelINS0_14default_configENS1_35adjacent_difference_config_selectorILb1E14custom_numericEEZNS1_24adjacent_difference_implIS3_Lb1ELb0EPS5_S8_N6thrust23THRUST_200600_302600_NS5minusIS5_EEEE10hipError_tPvRmT2_T3_mT4_P12ihipStream_tbEUlT_E_NS1_11comp_targetILNS1_3genE0ELNS1_11target_archE4294967295ELNS1_3gpuE0ELNS1_3repE0EEENS1_30default_config_static_selectorELNS0_4arch9wavefront6targetE1EEEvT1_,@function
_ZN7rocprim17ROCPRIM_400000_NS6detail17trampoline_kernelINS0_14default_configENS1_35adjacent_difference_config_selectorILb1E14custom_numericEEZNS1_24adjacent_difference_implIS3_Lb1ELb0EPS5_S8_N6thrust23THRUST_200600_302600_NS5minusIS5_EEEE10hipError_tPvRmT2_T3_mT4_P12ihipStream_tbEUlT_E_NS1_11comp_targetILNS1_3genE0ELNS1_11target_archE4294967295ELNS1_3gpuE0ELNS1_3repE0EEENS1_30default_config_static_selectorELNS0_4arch9wavefront6targetE1EEEvT1_: ; @_ZN7rocprim17ROCPRIM_400000_NS6detail17trampoline_kernelINS0_14default_configENS1_35adjacent_difference_config_selectorILb1E14custom_numericEEZNS1_24adjacent_difference_implIS3_Lb1ELb0EPS5_S8_N6thrust23THRUST_200600_302600_NS5minusIS5_EEEE10hipError_tPvRmT2_T3_mT4_P12ihipStream_tbEUlT_E_NS1_11comp_targetILNS1_3genE0ELNS1_11target_archE4294967295ELNS1_3gpuE0ELNS1_3repE0EEENS1_30default_config_static_selectorELNS0_4arch9wavefront6targetE1EEEvT1_
; %bb.0:
	.section	.rodata,"a",@progbits
	.p2align	6, 0x0
	.amdhsa_kernel _ZN7rocprim17ROCPRIM_400000_NS6detail17trampoline_kernelINS0_14default_configENS1_35adjacent_difference_config_selectorILb1E14custom_numericEEZNS1_24adjacent_difference_implIS3_Lb1ELb0EPS5_S8_N6thrust23THRUST_200600_302600_NS5minusIS5_EEEE10hipError_tPvRmT2_T3_mT4_P12ihipStream_tbEUlT_E_NS1_11comp_targetILNS1_3genE0ELNS1_11target_archE4294967295ELNS1_3gpuE0ELNS1_3repE0EEENS1_30default_config_static_selectorELNS0_4arch9wavefront6targetE1EEEvT1_
		.amdhsa_group_segment_fixed_size 0
		.amdhsa_private_segment_fixed_size 0
		.amdhsa_kernarg_size 56
		.amdhsa_user_sgpr_count 2
		.amdhsa_user_sgpr_dispatch_ptr 0
		.amdhsa_user_sgpr_queue_ptr 0
		.amdhsa_user_sgpr_kernarg_segment_ptr 1
		.amdhsa_user_sgpr_dispatch_id 0
		.amdhsa_user_sgpr_kernarg_preload_length 0
		.amdhsa_user_sgpr_kernarg_preload_offset 0
		.amdhsa_user_sgpr_private_segment_size 0
		.amdhsa_uses_dynamic_stack 0
		.amdhsa_enable_private_segment 0
		.amdhsa_system_sgpr_workgroup_id_x 1
		.amdhsa_system_sgpr_workgroup_id_y 0
		.amdhsa_system_sgpr_workgroup_id_z 0
		.amdhsa_system_sgpr_workgroup_info 0
		.amdhsa_system_vgpr_workitem_id 0
		.amdhsa_next_free_vgpr 1
		.amdhsa_next_free_sgpr 0
		.amdhsa_accum_offset 4
		.amdhsa_reserve_vcc 0
		.amdhsa_float_round_mode_32 0
		.amdhsa_float_round_mode_16_64 0
		.amdhsa_float_denorm_mode_32 3
		.amdhsa_float_denorm_mode_16_64 3
		.amdhsa_dx10_clamp 1
		.amdhsa_ieee_mode 1
		.amdhsa_fp16_overflow 0
		.amdhsa_tg_split 0
		.amdhsa_exception_fp_ieee_invalid_op 0
		.amdhsa_exception_fp_denorm_src 0
		.amdhsa_exception_fp_ieee_div_zero 0
		.amdhsa_exception_fp_ieee_overflow 0
		.amdhsa_exception_fp_ieee_underflow 0
		.amdhsa_exception_fp_ieee_inexact 0
		.amdhsa_exception_int_div_zero 0
	.end_amdhsa_kernel
	.section	.text._ZN7rocprim17ROCPRIM_400000_NS6detail17trampoline_kernelINS0_14default_configENS1_35adjacent_difference_config_selectorILb1E14custom_numericEEZNS1_24adjacent_difference_implIS3_Lb1ELb0EPS5_S8_N6thrust23THRUST_200600_302600_NS5minusIS5_EEEE10hipError_tPvRmT2_T3_mT4_P12ihipStream_tbEUlT_E_NS1_11comp_targetILNS1_3genE0ELNS1_11target_archE4294967295ELNS1_3gpuE0ELNS1_3repE0EEENS1_30default_config_static_selectorELNS0_4arch9wavefront6targetE1EEEvT1_,"axG",@progbits,_ZN7rocprim17ROCPRIM_400000_NS6detail17trampoline_kernelINS0_14default_configENS1_35adjacent_difference_config_selectorILb1E14custom_numericEEZNS1_24adjacent_difference_implIS3_Lb1ELb0EPS5_S8_N6thrust23THRUST_200600_302600_NS5minusIS5_EEEE10hipError_tPvRmT2_T3_mT4_P12ihipStream_tbEUlT_E_NS1_11comp_targetILNS1_3genE0ELNS1_11target_archE4294967295ELNS1_3gpuE0ELNS1_3repE0EEENS1_30default_config_static_selectorELNS0_4arch9wavefront6targetE1EEEvT1_,comdat
.Lfunc_end226:
	.size	_ZN7rocprim17ROCPRIM_400000_NS6detail17trampoline_kernelINS0_14default_configENS1_35adjacent_difference_config_selectorILb1E14custom_numericEEZNS1_24adjacent_difference_implIS3_Lb1ELb0EPS5_S8_N6thrust23THRUST_200600_302600_NS5minusIS5_EEEE10hipError_tPvRmT2_T3_mT4_P12ihipStream_tbEUlT_E_NS1_11comp_targetILNS1_3genE0ELNS1_11target_archE4294967295ELNS1_3gpuE0ELNS1_3repE0EEENS1_30default_config_static_selectorELNS0_4arch9wavefront6targetE1EEEvT1_, .Lfunc_end226-_ZN7rocprim17ROCPRIM_400000_NS6detail17trampoline_kernelINS0_14default_configENS1_35adjacent_difference_config_selectorILb1E14custom_numericEEZNS1_24adjacent_difference_implIS3_Lb1ELb0EPS5_S8_N6thrust23THRUST_200600_302600_NS5minusIS5_EEEE10hipError_tPvRmT2_T3_mT4_P12ihipStream_tbEUlT_E_NS1_11comp_targetILNS1_3genE0ELNS1_11target_archE4294967295ELNS1_3gpuE0ELNS1_3repE0EEENS1_30default_config_static_selectorELNS0_4arch9wavefront6targetE1EEEvT1_
                                        ; -- End function
	.section	.AMDGPU.csdata,"",@progbits
; Kernel info:
; codeLenInByte = 0
; NumSgprs: 6
; NumVgprs: 0
; NumAgprs: 0
; TotalNumVgprs: 0
; ScratchSize: 0
; MemoryBound: 0
; FloatMode: 240
; IeeeMode: 1
; LDSByteSize: 0 bytes/workgroup (compile time only)
; SGPRBlocks: 0
; VGPRBlocks: 0
; NumSGPRsForWavesPerEU: 6
; NumVGPRsForWavesPerEU: 1
; AccumOffset: 4
; Occupancy: 8
; WaveLimiterHint : 0
; COMPUTE_PGM_RSRC2:SCRATCH_EN: 0
; COMPUTE_PGM_RSRC2:USER_SGPR: 2
; COMPUTE_PGM_RSRC2:TRAP_HANDLER: 0
; COMPUTE_PGM_RSRC2:TGID_X_EN: 1
; COMPUTE_PGM_RSRC2:TGID_Y_EN: 0
; COMPUTE_PGM_RSRC2:TGID_Z_EN: 0
; COMPUTE_PGM_RSRC2:TIDIG_COMP_CNT: 0
; COMPUTE_PGM_RSRC3_GFX90A:ACCUM_OFFSET: 0
; COMPUTE_PGM_RSRC3_GFX90A:TG_SPLIT: 0
	.section	.text._ZN7rocprim17ROCPRIM_400000_NS6detail17trampoline_kernelINS0_14default_configENS1_35adjacent_difference_config_selectorILb1E14custom_numericEEZNS1_24adjacent_difference_implIS3_Lb1ELb0EPS5_S8_N6thrust23THRUST_200600_302600_NS5minusIS5_EEEE10hipError_tPvRmT2_T3_mT4_P12ihipStream_tbEUlT_E_NS1_11comp_targetILNS1_3genE10ELNS1_11target_archE1201ELNS1_3gpuE5ELNS1_3repE0EEENS1_30default_config_static_selectorELNS0_4arch9wavefront6targetE1EEEvT1_,"axG",@progbits,_ZN7rocprim17ROCPRIM_400000_NS6detail17trampoline_kernelINS0_14default_configENS1_35adjacent_difference_config_selectorILb1E14custom_numericEEZNS1_24adjacent_difference_implIS3_Lb1ELb0EPS5_S8_N6thrust23THRUST_200600_302600_NS5minusIS5_EEEE10hipError_tPvRmT2_T3_mT4_P12ihipStream_tbEUlT_E_NS1_11comp_targetILNS1_3genE10ELNS1_11target_archE1201ELNS1_3gpuE5ELNS1_3repE0EEENS1_30default_config_static_selectorELNS0_4arch9wavefront6targetE1EEEvT1_,comdat
	.protected	_ZN7rocprim17ROCPRIM_400000_NS6detail17trampoline_kernelINS0_14default_configENS1_35adjacent_difference_config_selectorILb1E14custom_numericEEZNS1_24adjacent_difference_implIS3_Lb1ELb0EPS5_S8_N6thrust23THRUST_200600_302600_NS5minusIS5_EEEE10hipError_tPvRmT2_T3_mT4_P12ihipStream_tbEUlT_E_NS1_11comp_targetILNS1_3genE10ELNS1_11target_archE1201ELNS1_3gpuE5ELNS1_3repE0EEENS1_30default_config_static_selectorELNS0_4arch9wavefront6targetE1EEEvT1_ ; -- Begin function _ZN7rocprim17ROCPRIM_400000_NS6detail17trampoline_kernelINS0_14default_configENS1_35adjacent_difference_config_selectorILb1E14custom_numericEEZNS1_24adjacent_difference_implIS3_Lb1ELb0EPS5_S8_N6thrust23THRUST_200600_302600_NS5minusIS5_EEEE10hipError_tPvRmT2_T3_mT4_P12ihipStream_tbEUlT_E_NS1_11comp_targetILNS1_3genE10ELNS1_11target_archE1201ELNS1_3gpuE5ELNS1_3repE0EEENS1_30default_config_static_selectorELNS0_4arch9wavefront6targetE1EEEvT1_
	.globl	_ZN7rocprim17ROCPRIM_400000_NS6detail17trampoline_kernelINS0_14default_configENS1_35adjacent_difference_config_selectorILb1E14custom_numericEEZNS1_24adjacent_difference_implIS3_Lb1ELb0EPS5_S8_N6thrust23THRUST_200600_302600_NS5minusIS5_EEEE10hipError_tPvRmT2_T3_mT4_P12ihipStream_tbEUlT_E_NS1_11comp_targetILNS1_3genE10ELNS1_11target_archE1201ELNS1_3gpuE5ELNS1_3repE0EEENS1_30default_config_static_selectorELNS0_4arch9wavefront6targetE1EEEvT1_
	.p2align	8
	.type	_ZN7rocprim17ROCPRIM_400000_NS6detail17trampoline_kernelINS0_14default_configENS1_35adjacent_difference_config_selectorILb1E14custom_numericEEZNS1_24adjacent_difference_implIS3_Lb1ELb0EPS5_S8_N6thrust23THRUST_200600_302600_NS5minusIS5_EEEE10hipError_tPvRmT2_T3_mT4_P12ihipStream_tbEUlT_E_NS1_11comp_targetILNS1_3genE10ELNS1_11target_archE1201ELNS1_3gpuE5ELNS1_3repE0EEENS1_30default_config_static_selectorELNS0_4arch9wavefront6targetE1EEEvT1_,@function
_ZN7rocprim17ROCPRIM_400000_NS6detail17trampoline_kernelINS0_14default_configENS1_35adjacent_difference_config_selectorILb1E14custom_numericEEZNS1_24adjacent_difference_implIS3_Lb1ELb0EPS5_S8_N6thrust23THRUST_200600_302600_NS5minusIS5_EEEE10hipError_tPvRmT2_T3_mT4_P12ihipStream_tbEUlT_E_NS1_11comp_targetILNS1_3genE10ELNS1_11target_archE1201ELNS1_3gpuE5ELNS1_3repE0EEENS1_30default_config_static_selectorELNS0_4arch9wavefront6targetE1EEEvT1_: ; @_ZN7rocprim17ROCPRIM_400000_NS6detail17trampoline_kernelINS0_14default_configENS1_35adjacent_difference_config_selectorILb1E14custom_numericEEZNS1_24adjacent_difference_implIS3_Lb1ELb0EPS5_S8_N6thrust23THRUST_200600_302600_NS5minusIS5_EEEE10hipError_tPvRmT2_T3_mT4_P12ihipStream_tbEUlT_E_NS1_11comp_targetILNS1_3genE10ELNS1_11target_archE1201ELNS1_3gpuE5ELNS1_3repE0EEENS1_30default_config_static_selectorELNS0_4arch9wavefront6targetE1EEEvT1_
; %bb.0:
	.section	.rodata,"a",@progbits
	.p2align	6, 0x0
	.amdhsa_kernel _ZN7rocprim17ROCPRIM_400000_NS6detail17trampoline_kernelINS0_14default_configENS1_35adjacent_difference_config_selectorILb1E14custom_numericEEZNS1_24adjacent_difference_implIS3_Lb1ELb0EPS5_S8_N6thrust23THRUST_200600_302600_NS5minusIS5_EEEE10hipError_tPvRmT2_T3_mT4_P12ihipStream_tbEUlT_E_NS1_11comp_targetILNS1_3genE10ELNS1_11target_archE1201ELNS1_3gpuE5ELNS1_3repE0EEENS1_30default_config_static_selectorELNS0_4arch9wavefront6targetE1EEEvT1_
		.amdhsa_group_segment_fixed_size 0
		.amdhsa_private_segment_fixed_size 0
		.amdhsa_kernarg_size 56
		.amdhsa_user_sgpr_count 2
		.amdhsa_user_sgpr_dispatch_ptr 0
		.amdhsa_user_sgpr_queue_ptr 0
		.amdhsa_user_sgpr_kernarg_segment_ptr 1
		.amdhsa_user_sgpr_dispatch_id 0
		.amdhsa_user_sgpr_kernarg_preload_length 0
		.amdhsa_user_sgpr_kernarg_preload_offset 0
		.amdhsa_user_sgpr_private_segment_size 0
		.amdhsa_uses_dynamic_stack 0
		.amdhsa_enable_private_segment 0
		.amdhsa_system_sgpr_workgroup_id_x 1
		.amdhsa_system_sgpr_workgroup_id_y 0
		.amdhsa_system_sgpr_workgroup_id_z 0
		.amdhsa_system_sgpr_workgroup_info 0
		.amdhsa_system_vgpr_workitem_id 0
		.amdhsa_next_free_vgpr 1
		.amdhsa_next_free_sgpr 0
		.amdhsa_accum_offset 4
		.amdhsa_reserve_vcc 0
		.amdhsa_float_round_mode_32 0
		.amdhsa_float_round_mode_16_64 0
		.amdhsa_float_denorm_mode_32 3
		.amdhsa_float_denorm_mode_16_64 3
		.amdhsa_dx10_clamp 1
		.amdhsa_ieee_mode 1
		.amdhsa_fp16_overflow 0
		.amdhsa_tg_split 0
		.amdhsa_exception_fp_ieee_invalid_op 0
		.amdhsa_exception_fp_denorm_src 0
		.amdhsa_exception_fp_ieee_div_zero 0
		.amdhsa_exception_fp_ieee_overflow 0
		.amdhsa_exception_fp_ieee_underflow 0
		.amdhsa_exception_fp_ieee_inexact 0
		.amdhsa_exception_int_div_zero 0
	.end_amdhsa_kernel
	.section	.text._ZN7rocprim17ROCPRIM_400000_NS6detail17trampoline_kernelINS0_14default_configENS1_35adjacent_difference_config_selectorILb1E14custom_numericEEZNS1_24adjacent_difference_implIS3_Lb1ELb0EPS5_S8_N6thrust23THRUST_200600_302600_NS5minusIS5_EEEE10hipError_tPvRmT2_T3_mT4_P12ihipStream_tbEUlT_E_NS1_11comp_targetILNS1_3genE10ELNS1_11target_archE1201ELNS1_3gpuE5ELNS1_3repE0EEENS1_30default_config_static_selectorELNS0_4arch9wavefront6targetE1EEEvT1_,"axG",@progbits,_ZN7rocprim17ROCPRIM_400000_NS6detail17trampoline_kernelINS0_14default_configENS1_35adjacent_difference_config_selectorILb1E14custom_numericEEZNS1_24adjacent_difference_implIS3_Lb1ELb0EPS5_S8_N6thrust23THRUST_200600_302600_NS5minusIS5_EEEE10hipError_tPvRmT2_T3_mT4_P12ihipStream_tbEUlT_E_NS1_11comp_targetILNS1_3genE10ELNS1_11target_archE1201ELNS1_3gpuE5ELNS1_3repE0EEENS1_30default_config_static_selectorELNS0_4arch9wavefront6targetE1EEEvT1_,comdat
.Lfunc_end227:
	.size	_ZN7rocprim17ROCPRIM_400000_NS6detail17trampoline_kernelINS0_14default_configENS1_35adjacent_difference_config_selectorILb1E14custom_numericEEZNS1_24adjacent_difference_implIS3_Lb1ELb0EPS5_S8_N6thrust23THRUST_200600_302600_NS5minusIS5_EEEE10hipError_tPvRmT2_T3_mT4_P12ihipStream_tbEUlT_E_NS1_11comp_targetILNS1_3genE10ELNS1_11target_archE1201ELNS1_3gpuE5ELNS1_3repE0EEENS1_30default_config_static_selectorELNS0_4arch9wavefront6targetE1EEEvT1_, .Lfunc_end227-_ZN7rocprim17ROCPRIM_400000_NS6detail17trampoline_kernelINS0_14default_configENS1_35adjacent_difference_config_selectorILb1E14custom_numericEEZNS1_24adjacent_difference_implIS3_Lb1ELb0EPS5_S8_N6thrust23THRUST_200600_302600_NS5minusIS5_EEEE10hipError_tPvRmT2_T3_mT4_P12ihipStream_tbEUlT_E_NS1_11comp_targetILNS1_3genE10ELNS1_11target_archE1201ELNS1_3gpuE5ELNS1_3repE0EEENS1_30default_config_static_selectorELNS0_4arch9wavefront6targetE1EEEvT1_
                                        ; -- End function
	.section	.AMDGPU.csdata,"",@progbits
; Kernel info:
; codeLenInByte = 0
; NumSgprs: 6
; NumVgprs: 0
; NumAgprs: 0
; TotalNumVgprs: 0
; ScratchSize: 0
; MemoryBound: 0
; FloatMode: 240
; IeeeMode: 1
; LDSByteSize: 0 bytes/workgroup (compile time only)
; SGPRBlocks: 0
; VGPRBlocks: 0
; NumSGPRsForWavesPerEU: 6
; NumVGPRsForWavesPerEU: 1
; AccumOffset: 4
; Occupancy: 8
; WaveLimiterHint : 0
; COMPUTE_PGM_RSRC2:SCRATCH_EN: 0
; COMPUTE_PGM_RSRC2:USER_SGPR: 2
; COMPUTE_PGM_RSRC2:TRAP_HANDLER: 0
; COMPUTE_PGM_RSRC2:TGID_X_EN: 1
; COMPUTE_PGM_RSRC2:TGID_Y_EN: 0
; COMPUTE_PGM_RSRC2:TGID_Z_EN: 0
; COMPUTE_PGM_RSRC2:TIDIG_COMP_CNT: 0
; COMPUTE_PGM_RSRC3_GFX90A:ACCUM_OFFSET: 0
; COMPUTE_PGM_RSRC3_GFX90A:TG_SPLIT: 0
	.section	.text._ZN7rocprim17ROCPRIM_400000_NS6detail17trampoline_kernelINS0_14default_configENS1_35adjacent_difference_config_selectorILb1E14custom_numericEEZNS1_24adjacent_difference_implIS3_Lb1ELb0EPS5_S8_N6thrust23THRUST_200600_302600_NS5minusIS5_EEEE10hipError_tPvRmT2_T3_mT4_P12ihipStream_tbEUlT_E_NS1_11comp_targetILNS1_3genE5ELNS1_11target_archE942ELNS1_3gpuE9ELNS1_3repE0EEENS1_30default_config_static_selectorELNS0_4arch9wavefront6targetE1EEEvT1_,"axG",@progbits,_ZN7rocprim17ROCPRIM_400000_NS6detail17trampoline_kernelINS0_14default_configENS1_35adjacent_difference_config_selectorILb1E14custom_numericEEZNS1_24adjacent_difference_implIS3_Lb1ELb0EPS5_S8_N6thrust23THRUST_200600_302600_NS5minusIS5_EEEE10hipError_tPvRmT2_T3_mT4_P12ihipStream_tbEUlT_E_NS1_11comp_targetILNS1_3genE5ELNS1_11target_archE942ELNS1_3gpuE9ELNS1_3repE0EEENS1_30default_config_static_selectorELNS0_4arch9wavefront6targetE1EEEvT1_,comdat
	.protected	_ZN7rocprim17ROCPRIM_400000_NS6detail17trampoline_kernelINS0_14default_configENS1_35adjacent_difference_config_selectorILb1E14custom_numericEEZNS1_24adjacent_difference_implIS3_Lb1ELb0EPS5_S8_N6thrust23THRUST_200600_302600_NS5minusIS5_EEEE10hipError_tPvRmT2_T3_mT4_P12ihipStream_tbEUlT_E_NS1_11comp_targetILNS1_3genE5ELNS1_11target_archE942ELNS1_3gpuE9ELNS1_3repE0EEENS1_30default_config_static_selectorELNS0_4arch9wavefront6targetE1EEEvT1_ ; -- Begin function _ZN7rocprim17ROCPRIM_400000_NS6detail17trampoline_kernelINS0_14default_configENS1_35adjacent_difference_config_selectorILb1E14custom_numericEEZNS1_24adjacent_difference_implIS3_Lb1ELb0EPS5_S8_N6thrust23THRUST_200600_302600_NS5minusIS5_EEEE10hipError_tPvRmT2_T3_mT4_P12ihipStream_tbEUlT_E_NS1_11comp_targetILNS1_3genE5ELNS1_11target_archE942ELNS1_3gpuE9ELNS1_3repE0EEENS1_30default_config_static_selectorELNS0_4arch9wavefront6targetE1EEEvT1_
	.globl	_ZN7rocprim17ROCPRIM_400000_NS6detail17trampoline_kernelINS0_14default_configENS1_35adjacent_difference_config_selectorILb1E14custom_numericEEZNS1_24adjacent_difference_implIS3_Lb1ELb0EPS5_S8_N6thrust23THRUST_200600_302600_NS5minusIS5_EEEE10hipError_tPvRmT2_T3_mT4_P12ihipStream_tbEUlT_E_NS1_11comp_targetILNS1_3genE5ELNS1_11target_archE942ELNS1_3gpuE9ELNS1_3repE0EEENS1_30default_config_static_selectorELNS0_4arch9wavefront6targetE1EEEvT1_
	.p2align	8
	.type	_ZN7rocprim17ROCPRIM_400000_NS6detail17trampoline_kernelINS0_14default_configENS1_35adjacent_difference_config_selectorILb1E14custom_numericEEZNS1_24adjacent_difference_implIS3_Lb1ELb0EPS5_S8_N6thrust23THRUST_200600_302600_NS5minusIS5_EEEE10hipError_tPvRmT2_T3_mT4_P12ihipStream_tbEUlT_E_NS1_11comp_targetILNS1_3genE5ELNS1_11target_archE942ELNS1_3gpuE9ELNS1_3repE0EEENS1_30default_config_static_selectorELNS0_4arch9wavefront6targetE1EEEvT1_,@function
_ZN7rocprim17ROCPRIM_400000_NS6detail17trampoline_kernelINS0_14default_configENS1_35adjacent_difference_config_selectorILb1E14custom_numericEEZNS1_24adjacent_difference_implIS3_Lb1ELb0EPS5_S8_N6thrust23THRUST_200600_302600_NS5minusIS5_EEEE10hipError_tPvRmT2_T3_mT4_P12ihipStream_tbEUlT_E_NS1_11comp_targetILNS1_3genE5ELNS1_11target_archE942ELNS1_3gpuE9ELNS1_3repE0EEENS1_30default_config_static_selectorELNS0_4arch9wavefront6targetE1EEEvT1_: ; @_ZN7rocprim17ROCPRIM_400000_NS6detail17trampoline_kernelINS0_14default_configENS1_35adjacent_difference_config_selectorILb1E14custom_numericEEZNS1_24adjacent_difference_implIS3_Lb1ELb0EPS5_S8_N6thrust23THRUST_200600_302600_NS5minusIS5_EEEE10hipError_tPvRmT2_T3_mT4_P12ihipStream_tbEUlT_E_NS1_11comp_targetILNS1_3genE5ELNS1_11target_archE942ELNS1_3gpuE9ELNS1_3repE0EEENS1_30default_config_static_selectorELNS0_4arch9wavefront6targetE1EEEvT1_
; %bb.0:
	s_load_dwordx8 s[4:11], s[0:1], 0x0
	s_load_dwordx4 s[12:15], s[0:1], 0x28
	s_mov_b32 s1, 0x55500000
	v_mov_b32_e32 v1, 0x55555000
	s_mul_i32 s22, s2, 0x300
	s_waitcnt lgkmcnt(0)
	s_mul_i32 s0, s7, 20
	s_mul_hi_u32 s23, s6, 20
	s_add_i32 s23, s23, s0
	s_mul_i32 s24, s6, 20
	s_add_u32 s3, s4, s24
	s_addc_u32 s26, s5, s23
	s_add_u32 s1, 0x55555, s1
	s_addc_u32 s1, 0, 0x555
	;; [unrolled: 2-line block ×3, first 2 shown]
	v_add_co_u32_e32 v1, vcc, s1, v1
	s_cmp_lg_u64 vcc, 0
	s_addc_u32 s1, s4, 0x555555
	v_readfirstlane_b32 s6, v1
	s_mul_i32 s5, s10, s1
	s_mul_hi_u32 s7, s10, s6
	s_mul_hi_u32 s4, s10, s1
	s_add_u32 s5, s7, s5
	s_addc_u32 s4, 0, s4
	s_mul_hi_u32 s16, s11, s6
	s_mul_i32 s6, s11, s6
	s_add_u32 s5, s5, s6
	s_mul_hi_u32 s7, s11, s1
	s_addc_u32 s4, s4, s16
	s_addc_u32 s5, s7, 0
	s_mul_i32 s1, s11, s1
	s_add_u32 s1, s4, s1
	s_addc_u32 s4, 0, s5
	s_add_u32 s5, s1, 1
	s_addc_u32 s6, s4, 0
	s_add_u32 s7, s1, 2
	s_mul_i32 s17, s4, 0x300
	s_mul_hi_u32 s18, s1, 0x300
	s_addc_u32 s16, s4, 0
	s_add_i32 s18, s18, s17
	s_mul_i32 s17, s1, 0x300
	v_mov_b32_e32 v1, s17
	v_sub_co_u32_e32 v1, vcc, s10, v1
	s_movk_i32 s0, 0x300
	s_cmp_lg_u64 vcc, 0
	s_subb_u32 s17, s11, s18
	v_subrev_co_u32_e32 v2, vcc, s0, v1
	s_cmp_lg_u64 vcc, 0
	s_subb_u32 s0, s17, 0
	v_readfirstlane_b32 s18, v2
	s_cmpk_gt_u32 s18, 0x2ff
	s_cselect_b32 s18, -1, 0
	s_cmp_eq_u32 s0, 0
	s_cselect_b32 s0, s18, -1
	s_cmp_lg_u32 s0, 0
	s_cselect_b32 s0, s7, s5
	s_cselect_b32 s5, s16, s6
	v_readfirstlane_b32 s6, v1
	s_cmpk_gt_u32 s6, 0x2ff
	s_cselect_b32 s6, -1, 0
	s_cmp_eq_u32 s17, 0
	s_cselect_b32 s6, s6, -1
	s_cmp_lg_u32 s6, 0
	s_cselect_b32 s5, s5, s4
	s_cselect_b32 s4, s0, s1
	s_mul_i32 s0, s5, 0x300
	s_mul_hi_u32 s1, s4, 0x300
	s_add_i32 s1, s1, s0
	s_mul_i32 s0, s4, 0x300
	s_sub_u32 s0, s10, s0
	s_subb_u32 s1, s11, s1
	s_cmp_lg_u64 s[0:1], 0
	s_cselect_b64 s[0:1], -1, 0
	v_cndmask_b32_e64 v1, 0, 1, s[0:1]
	s_mov_b64 s[18:19], -1
	v_readfirstlane_b32 s0, v1
	s_add_u32 s4, s4, s0
	s_addc_u32 s5, s5, 0
	s_add_u32 s6, s14, s2
	s_addc_u32 s7, s15, 0
	s_add_u32 s16, s4, -1
	s_addc_u32 s17, s5, -1
	v_mov_b64_e32 v[2:3], s[16:17]
	v_cmp_ge_u64_e64 s[0:1], s[6:7], v[2:3]
	s_and_b64 vcc, exec, s[0:1]
	s_mul_i32 s25, s16, 0xfffffd00
	s_mul_hi_u32 s11, s22, 20
	s_mul_i32 s22, s22, 20
	s_cbranch_vccz .LBB228_8
; %bb.1:
	s_add_i32 s27, s25, s10
	s_add_u32 s18, s3, s22
	s_addc_u32 s19, s26, s11
	v_cmp_gt_u32_e32 vcc, s27, v0
	v_mov_b32_e32 v1, 0
	v_mov_b32_e32 v2, 0
	s_and_saveexec_b64 s[20:21], vcc
	s_cbranch_execz .LBB228_3
; %bb.2:
	v_mad_u64_u32 v[2:3], s[28:29], v0, 20, s[18:19]
	global_load_dword v2, v[2:3], off
.LBB228_3:
	s_or_b64 exec, exec, s[20:21]
	v_or_b32_e32 v3, 0x100, v0
	v_cmp_gt_u32_e32 vcc, s27, v3
	s_and_saveexec_b64 s[20:21], vcc
	s_cbranch_execz .LBB228_5
; %bb.4:
	v_mad_u64_u32 v[4:5], s[28:29], v3, 20, s[18:19]
	global_load_dword v1, v[4:5], off
.LBB228_5:
	s_or_b64 exec, exec, s[20:21]
	v_or_b32_e32 v4, 0x200, v0
	v_cmp_gt_u32_e32 vcc, s27, v4
	v_mov_b32_e32 v3, 0
	s_and_saveexec_b64 s[20:21], vcc
	s_cbranch_execz .LBB228_7
; %bb.6:
	v_mad_u64_u32 v[4:5], s[18:19], v4, 20, s[18:19]
	global_load_dword v3, v[4:5], off
.LBB228_7:
	s_or_b64 exec, exec, s[20:21]
	v_mov_b32_e32 v5, 0x1400
	v_mul_u32_u24_e32 v4, 20, v0
	v_mad_u32_u24 v5, v0, 20, v5
	s_waitcnt vmcnt(0)
	ds_write2_b32 v4, v2, v2 offset1:1
	ds_write2_b32 v4, v2, v2 offset0:2 offset1:3
	ds_write2_b32 v5, v1, v1 offset1:1
	v_mov_b32_e32 v5, 0x1408
	v_mad_u32_u24 v5, v0, 20, v5
	ds_write2_b32 v5, v1, v1 offset1:1
	v_add_u32_e32 v5, 16, v4
	ds_write2st64_b32 v5, v2, v1 offset1:20
	v_mov_b32_e32 v1, 0x2800
	v_mad_u32_u24 v1, v0, 20, v1
	ds_write2_b32 v1, v3, v3 offset1:1
	v_mov_b32_e32 v1, 0x2808
	v_mad_u32_u24 v1, v0, 20, v1
	s_mov_b64 s[18:19], 0
	ds_write2_b32 v1, v3, v3 offset1:1
	ds_write_b32 v4, v3 offset:10256
	s_waitcnt lgkmcnt(0)
	s_barrier
.LBB228_8:
	s_and_b64 vcc, exec, s[18:19]
	v_mul_u32_u24_e32 v1, 20, v0
	s_cbranch_vccz .LBB228_10
; %bb.9:
	s_add_u32 s18, s3, s22
	s_addc_u32 s19, s26, s11
	v_mad_u64_u32 v[2:3], s[18:19], v0, 20, s[18:19]
	v_add_co_u32_e32 v4, vcc, 0x1000, v2
	v_mov_b32_e32 v8, 0x2800
	s_nop 0
	v_addc_co_u32_e32 v5, vcc, 0, v3, vcc
	global_load_dword v6, v[2:3], off
	global_load_dword v7, v[4:5], off offset:1024
	v_add_co_u32_e32 v2, vcc, 0x2000, v2
	v_mov_b32_e32 v4, 0x1408
	s_nop 0
	v_addc_co_u32_e32 v3, vcc, 0, v3, vcc
	global_load_dword v2, v[2:3], off offset:2048
	v_mov_b32_e32 v3, 0x1400
	v_mov_b32_e32 v9, 0x2808
	v_add_u32_e32 v5, 16, v1
	v_mad_u32_u24 v3, v0, 20, v3
	v_mad_u32_u24 v4, v0, 20, v4
	v_mad_u32_u24 v8, v0, 20, v8
	v_mad_u32_u24 v9, v0, 20, v9
	s_waitcnt vmcnt(2)
	ds_write2_b32 v1, v6, v6 offset1:1
	ds_write2_b32 v1, v6, v6 offset0:2 offset1:3
	s_waitcnt vmcnt(1)
	ds_write2_b32 v3, v7, v7 offset1:1
	ds_write2_b32 v4, v7, v7 offset1:1
	ds_write2st64_b32 v5, v6, v7 offset1:20
	s_waitcnt vmcnt(0)
	ds_write2_b32 v8, v2, v2 offset1:1
	ds_write2_b32 v9, v2, v2 offset1:1
	ds_write_b32 v1, v2 offset:10256
	s_waitcnt lgkmcnt(0)
	s_barrier
.LBB228_10:
	v_mul_u32_u24_e32 v2, 3, v0
	v_mul_lo_u32 v4, v2, 20
	ds_read2_b32 v[2:3], v4 offset1:5
	ds_read_b32 v4, v4 offset:40
	s_cmp_eq_u64 s[6:7], 0
	s_waitcnt lgkmcnt(0)
	s_barrier
	s_cbranch_scc1 .LBB228_15
; %bb.11:
	s_mul_i32 s3, s15, 20
	s_mul_hi_u32 s15, s14, 20
	s_add_i32 s15, s15, s3
	s_mul_i32 s3, s14, 20
	s_add_u32 s3, s12, s3
	s_addc_u32 s12, s13, s15
	s_mul_hi_u32 s13, s2, 20
	s_mul_i32 s2, s2, 20
	s_add_u32 s2, s3, s2
	s_addc_u32 s3, s12, s13
	s_add_u32 s2, s2, 0xffffffec
	s_addc_u32 s3, s3, -1
	s_load_dword s12, s[2:3], 0x0
	s_cmp_eq_u64 s[6:7], s[16:17]
	s_cbranch_scc1 .LBB228_16
; %bb.12:
	v_cmp_ne_u32_e32 vcc, 0, v0
	s_waitcnt lgkmcnt(0)
	v_mov_b32_e32 v5, s12
	ds_write2_b32 v1, v4, v4 offset1:1
	ds_write2_b32 v1, v4, v4 offset0:2 offset1:3
	ds_write_b32 v1, v4 offset:16
	s_waitcnt lgkmcnt(0)
	s_barrier
	s_and_saveexec_b64 s[2:3], vcc
	s_cbranch_execz .LBB228_14
; %bb.13:
	v_subrev_u32_e32 v5, 20, v1
	ds_read_b32 v5, v5
.LBB228_14:
	s_or_b64 exec, exec, s[2:3]
	s_waitcnt lgkmcnt(0)
	v_sub_u32_e32 v5, v2, v5
	v_mov_b32_e32 v6, v3
	v_mov_b32_e32 v7, v2
	s_branch .LBB228_20
.LBB228_15:
                                        ; implicit-def: $vgpr6
                                        ; implicit-def: $vgpr7
                                        ; implicit-def: $vgpr5
	s_branch .LBB228_21
.LBB228_16:
                                        ; implicit-def: $vgpr5
	v_mov_b32_e32 v6, v3
	v_mov_b32_e32 v7, v2
	s_cbranch_execz .LBB228_20
; %bb.17:
	v_mul_u32_u24_e32 v5, 3, v0
	v_cmp_ne_u32_e32 vcc, 0, v0
	s_waitcnt lgkmcnt(0)
	v_mov_b32_e32 v8, s12
	ds_write2_b32 v1, v4, v4 offset1:1
	ds_write2_b32 v1, v4, v4 offset0:2 offset1:3
	ds_write_b32 v1, v4 offset:16
	s_waitcnt lgkmcnt(0)
	s_barrier
	s_and_saveexec_b64 s[2:3], vcc
	s_cbranch_execz .LBB228_19
; %bb.18:
	v_subrev_u32_e32 v6, 20, v1
	ds_read_b32 v8, v6
.LBB228_19:
	s_or_b64 exec, exec, s[2:3]
	s_mul_i32 s2, s6, 0xfffffd00
	s_add_i32 s2, s2, s10
	v_add_u32_e32 v6, 1, v5
	v_add_u32_e32 v9, 2, v5
	v_cmp_gt_u32_e32 vcc, s2, v6
	s_nop 1
	v_cndmask_b32_e32 v7, 0, v2, vcc
	v_cmp_gt_u32_e32 vcc, s2, v9
	s_nop 1
	v_cndmask_b32_e32 v6, 0, v3, vcc
	v_cmp_gt_u32_e32 vcc, s2, v5
	s_waitcnt lgkmcnt(0)
	s_nop 0
	v_cndmask_b32_e32 v5, 0, v8, vcc
	v_sub_u32_e32 v5, v2, v5
.LBB228_20:
	s_cbranch_execnz .LBB228_30
.LBB228_21:
	s_cmp_eq_u64 s[4:5], 1
	v_cmp_ne_u32_e32 vcc, 0, v0
	s_cbranch_scc1 .LBB228_25
; %bb.22:
	v_mov_b32_e32 v5, v2
	ds_write2_b32 v1, v4, v4 offset1:1
	ds_write2_b32 v1, v4, v4 offset0:2 offset1:3
	ds_write_b32 v1, v4 offset:16
	s_waitcnt lgkmcnt(0)
	s_barrier
	s_and_saveexec_b64 s[2:3], vcc
	s_cbranch_execz .LBB228_24
; %bb.23:
	v_subrev_u32_e32 v5, 20, v1
	ds_read_b32 v5, v5
	s_waitcnt lgkmcnt(0)
	v_sub_u32_e32 v5, v2, v5
.LBB228_24:
	s_or_b64 exec, exec, s[2:3]
	v_mov_b32_e32 v6, v3
	s_cbranch_execz .LBB228_26
	s_branch .LBB228_29
.LBB228_25:
                                        ; implicit-def: $vgpr5
	v_mov_b32_e32 v6, v3
.LBB228_26:
	v_mul_u32_u24_e32 v5, 3, v0
	v_mad_u32_u24 v6, v0, 3, 1
	v_mad_u32_u24 v7, v0, 3, 2
	v_cmp_ne_u32_e64 s[4:5], 0, v0
	v_cmp_gt_u32_e64 s[6:7], s10, v5
	v_cmp_gt_u32_e32 vcc, s10, v7
	v_cmp_gt_u32_e64 s[2:3], s10, v6
	s_and_b64 s[6:7], s[4:5], s[6:7]
	v_mov_b32_e32 v5, v2
	ds_write2_b32 v1, v4, v4 offset1:1
	ds_write2_b32 v1, v4, v4 offset0:2 offset1:3
	ds_write_b32 v1, v4 offset:16
	s_waitcnt lgkmcnt(0)
	s_barrier
	s_and_saveexec_b64 s[4:5], s[6:7]
	s_cbranch_execz .LBB228_28
; %bb.27:
	v_subrev_u32_e32 v1, 20, v1
	ds_read_b32 v1, v1
	s_waitcnt lgkmcnt(0)
	v_sub_u32_e32 v5, v2, v1
.LBB228_28:
	s_or_b64 exec, exec, s[4:5]
	v_cndmask_b32_e64 v2, 0, v2, s[2:3]
	v_cndmask_b32_e32 v6, 0, v3, vcc
.LBB228_29:
	v_mov_b32_e32 v7, v2
.LBB228_30:
	s_add_u32 s5, s8, s24
	s_addc_u32 s4, s9, s23
	v_sub_u32_e32 v1, v4, v6
	v_sub_u32_e32 v4, v3, v7
	s_and_b64 vcc, exec, s[0:1]
	v_mul_u32_u24_e32 v8, 60, v0
	s_waitcnt lgkmcnt(0)
	s_barrier
	s_cbranch_vccz .LBB228_36
; %bb.31:
	v_mul_i32_i24_e32 v9, 0xffffffd8, v0
	v_mad_u32_u24 v2, v0, 60, v9
	ds_write2_b32 v8, v5, v5 offset1:1
	ds_write2_b32 v8, v5, v5 offset0:2 offset1:3
	ds_write_b32 v8, v5 offset:16
	ds_write2_b32 v8, v4, v4 offset0:5 offset1:6
	ds_write2_b32 v8, v4, v4 offset0:7 offset1:8
	;; [unrolled: 1-line block ×5, first 2 shown]
	s_waitcnt lgkmcnt(0)
	s_barrier
	ds_read2st64_b32 v[2:3], v2 offset0:20 offset1:40
	s_add_i32 s25, s25, s10
	s_add_u32 s0, s5, s22
	s_addc_u32 s1, s4, s11
	v_mad_u64_u32 v[6:7], s[0:1], v0, 20, s[0:1]
	v_cmp_gt_u32_e32 vcc, s25, v0
	s_and_saveexec_b64 s[0:1], vcc
	s_cbranch_execz .LBB228_33
; %bb.32:
	v_add_u32_e32 v9, v8, v9
	ds_read_b32 v10, v9
	s_waitcnt lgkmcnt(0)
	v_mov_b32_e32 v11, v10
	v_mov_b32_e32 v12, v10
	;; [unrolled: 1-line block ×3, first 2 shown]
	global_store_dwordx4 v[6:7], v[10:13], off
	global_store_dword v[6:7], v10, off offset:16
.LBB228_33:
	s_or_b64 exec, exec, s[0:1]
	v_or_b32_e32 v9, 0x100, v0
	v_cmp_gt_u32_e32 vcc, s25, v9
	s_and_saveexec_b64 s[0:1], vcc
	s_cbranch_execz .LBB228_35
; %bb.34:
	v_add_co_u32_e32 v14, vcc, 0x1000, v6
	s_waitcnt lgkmcnt(0)
	v_mov_b32_e32 v10, v2
	v_mov_b32_e32 v11, v2
	;; [unrolled: 1-line block ×4, first 2 shown]
	v_addc_co_u32_e32 v15, vcc, 0, v7, vcc
	global_store_dwordx4 v[14:15], v[10:13], off offset:1024
	global_store_dword v[14:15], v2, off offset:1040
.LBB228_35:
	s_or_b64 exec, exec, s[0:1]
	s_waitcnt lgkmcnt(0)
	v_or_b32_e32 v2, 0x200, v0
	v_cmp_gt_u32_e64 s[0:1], s25, v2
	s_branch .LBB228_38
.LBB228_36:
	s_mov_b64 s[0:1], 0
                                        ; implicit-def: $vgpr3
                                        ; implicit-def: $vgpr6_vgpr7
	s_cbranch_execz .LBB228_38
; %bb.37:
	ds_write2_b32 v8, v5, v5 offset1:1
	ds_write2_b32 v8, v5, v5 offset0:2 offset1:3
	ds_write_b32 v8, v5 offset:16
	ds_write2_b32 v8, v4, v4 offset0:5 offset1:6
	ds_write2_b32 v8, v4, v4 offset0:7 offset1:8
	;; [unrolled: 1-line block ×5, first 2 shown]
	v_mul_i32_i24_e32 v1, 0xffffffd8, v0
	v_mad_u32_u24 v1, v0, 60, v1
	s_waitcnt lgkmcnt(0)
	s_barrier
	ds_read2st64_b32 v[8:9], v1 offset1:20
	s_add_u32 s2, s5, s22
	ds_read_b32 v3, v1 offset:10240
	s_addc_u32 s3, s4, s11
	v_mad_u64_u32 v[6:7], s[2:3], v0, 20, s[2:3]
	s_waitcnt lgkmcnt(1)
	v_mov_b32_e32 v10, v8
	v_mov_b32_e32 v11, v8
	;; [unrolled: 1-line block ×4, first 2 shown]
	v_add_co_u32_e32 v0, vcc, 0x1000, v6
	global_store_dwordx4 v[6:7], v[10:13], off
	global_store_dword v[6:7], v8, off offset:16
	v_mov_b32_e32 v8, v9
	v_mov_b32_e32 v10, v9
	;; [unrolled: 1-line block ×3, first 2 shown]
	v_addc_co_u32_e32 v1, vcc, 0, v7, vcc
	s_or_b64 s[0:1], s[0:1], exec
	global_store_dwordx4 v[0:1], v[8:11], off offset:1024
	global_store_dword v[0:1], v9, off offset:1040
.LBB228_38:
	s_and_saveexec_b64 s[2:3], s[0:1]
	s_cbranch_execnz .LBB228_40
; %bb.39:
	s_endpgm
.LBB228_40:
	v_add_co_u32_e32 v0, vcc, 0x2000, v6
	s_waitcnt lgkmcnt(0)
	v_mov_b32_e32 v2, v3
	v_mov_b32_e32 v4, v3
	;; [unrolled: 1-line block ×3, first 2 shown]
	v_addc_co_u32_e32 v1, vcc, 0, v7, vcc
	global_store_dwordx4 v[0:1], v[2:5], off offset:2048
	global_store_dword v[0:1], v3, off offset:2064
	s_endpgm
	.section	.rodata,"a",@progbits
	.p2align	6, 0x0
	.amdhsa_kernel _ZN7rocprim17ROCPRIM_400000_NS6detail17trampoline_kernelINS0_14default_configENS1_35adjacent_difference_config_selectorILb1E14custom_numericEEZNS1_24adjacent_difference_implIS3_Lb1ELb0EPS5_S8_N6thrust23THRUST_200600_302600_NS5minusIS5_EEEE10hipError_tPvRmT2_T3_mT4_P12ihipStream_tbEUlT_E_NS1_11comp_targetILNS1_3genE5ELNS1_11target_archE942ELNS1_3gpuE9ELNS1_3repE0EEENS1_30default_config_static_selectorELNS0_4arch9wavefront6targetE1EEEvT1_
		.amdhsa_group_segment_fixed_size 15360
		.amdhsa_private_segment_fixed_size 0
		.amdhsa_kernarg_size 56
		.amdhsa_user_sgpr_count 2
		.amdhsa_user_sgpr_dispatch_ptr 0
		.amdhsa_user_sgpr_queue_ptr 0
		.amdhsa_user_sgpr_kernarg_segment_ptr 1
		.amdhsa_user_sgpr_dispatch_id 0
		.amdhsa_user_sgpr_kernarg_preload_length 0
		.amdhsa_user_sgpr_kernarg_preload_offset 0
		.amdhsa_user_sgpr_private_segment_size 0
		.amdhsa_uses_dynamic_stack 0
		.amdhsa_enable_private_segment 0
		.amdhsa_system_sgpr_workgroup_id_x 1
		.amdhsa_system_sgpr_workgroup_id_y 0
		.amdhsa_system_sgpr_workgroup_id_z 0
		.amdhsa_system_sgpr_workgroup_info 0
		.amdhsa_system_vgpr_workitem_id 0
		.amdhsa_next_free_vgpr 16
		.amdhsa_next_free_sgpr 30
		.amdhsa_accum_offset 16
		.amdhsa_reserve_vcc 1
		.amdhsa_float_round_mode_32 0
		.amdhsa_float_round_mode_16_64 0
		.amdhsa_float_denorm_mode_32 3
		.amdhsa_float_denorm_mode_16_64 3
		.amdhsa_dx10_clamp 1
		.amdhsa_ieee_mode 1
		.amdhsa_fp16_overflow 0
		.amdhsa_tg_split 0
		.amdhsa_exception_fp_ieee_invalid_op 0
		.amdhsa_exception_fp_denorm_src 0
		.amdhsa_exception_fp_ieee_div_zero 0
		.amdhsa_exception_fp_ieee_overflow 0
		.amdhsa_exception_fp_ieee_underflow 0
		.amdhsa_exception_fp_ieee_inexact 0
		.amdhsa_exception_int_div_zero 0
	.end_amdhsa_kernel
	.section	.text._ZN7rocprim17ROCPRIM_400000_NS6detail17trampoline_kernelINS0_14default_configENS1_35adjacent_difference_config_selectorILb1E14custom_numericEEZNS1_24adjacent_difference_implIS3_Lb1ELb0EPS5_S8_N6thrust23THRUST_200600_302600_NS5minusIS5_EEEE10hipError_tPvRmT2_T3_mT4_P12ihipStream_tbEUlT_E_NS1_11comp_targetILNS1_3genE5ELNS1_11target_archE942ELNS1_3gpuE9ELNS1_3repE0EEENS1_30default_config_static_selectorELNS0_4arch9wavefront6targetE1EEEvT1_,"axG",@progbits,_ZN7rocprim17ROCPRIM_400000_NS6detail17trampoline_kernelINS0_14default_configENS1_35adjacent_difference_config_selectorILb1E14custom_numericEEZNS1_24adjacent_difference_implIS3_Lb1ELb0EPS5_S8_N6thrust23THRUST_200600_302600_NS5minusIS5_EEEE10hipError_tPvRmT2_T3_mT4_P12ihipStream_tbEUlT_E_NS1_11comp_targetILNS1_3genE5ELNS1_11target_archE942ELNS1_3gpuE9ELNS1_3repE0EEENS1_30default_config_static_selectorELNS0_4arch9wavefront6targetE1EEEvT1_,comdat
.Lfunc_end228:
	.size	_ZN7rocprim17ROCPRIM_400000_NS6detail17trampoline_kernelINS0_14default_configENS1_35adjacent_difference_config_selectorILb1E14custom_numericEEZNS1_24adjacent_difference_implIS3_Lb1ELb0EPS5_S8_N6thrust23THRUST_200600_302600_NS5minusIS5_EEEE10hipError_tPvRmT2_T3_mT4_P12ihipStream_tbEUlT_E_NS1_11comp_targetILNS1_3genE5ELNS1_11target_archE942ELNS1_3gpuE9ELNS1_3repE0EEENS1_30default_config_static_selectorELNS0_4arch9wavefront6targetE1EEEvT1_, .Lfunc_end228-_ZN7rocprim17ROCPRIM_400000_NS6detail17trampoline_kernelINS0_14default_configENS1_35adjacent_difference_config_selectorILb1E14custom_numericEEZNS1_24adjacent_difference_implIS3_Lb1ELb0EPS5_S8_N6thrust23THRUST_200600_302600_NS5minusIS5_EEEE10hipError_tPvRmT2_T3_mT4_P12ihipStream_tbEUlT_E_NS1_11comp_targetILNS1_3genE5ELNS1_11target_archE942ELNS1_3gpuE9ELNS1_3repE0EEENS1_30default_config_static_selectorELNS0_4arch9wavefront6targetE1EEEvT1_
                                        ; -- End function
	.section	.AMDGPU.csdata,"",@progbits
; Kernel info:
; codeLenInByte = 2116
; NumSgprs: 36
; NumVgprs: 16
; NumAgprs: 0
; TotalNumVgprs: 16
; ScratchSize: 0
; MemoryBound: 0
; FloatMode: 240
; IeeeMode: 1
; LDSByteSize: 15360 bytes/workgroup (compile time only)
; SGPRBlocks: 4
; VGPRBlocks: 1
; NumSGPRsForWavesPerEU: 36
; NumVGPRsForWavesPerEU: 16
; AccumOffset: 16
; Occupancy: 4
; WaveLimiterHint : 1
; COMPUTE_PGM_RSRC2:SCRATCH_EN: 0
; COMPUTE_PGM_RSRC2:USER_SGPR: 2
; COMPUTE_PGM_RSRC2:TRAP_HANDLER: 0
; COMPUTE_PGM_RSRC2:TGID_X_EN: 1
; COMPUTE_PGM_RSRC2:TGID_Y_EN: 0
; COMPUTE_PGM_RSRC2:TGID_Z_EN: 0
; COMPUTE_PGM_RSRC2:TIDIG_COMP_CNT: 0
; COMPUTE_PGM_RSRC3_GFX90A:ACCUM_OFFSET: 3
; COMPUTE_PGM_RSRC3_GFX90A:TG_SPLIT: 0
	.section	.text._ZN7rocprim17ROCPRIM_400000_NS6detail17trampoline_kernelINS0_14default_configENS1_35adjacent_difference_config_selectorILb1E14custom_numericEEZNS1_24adjacent_difference_implIS3_Lb1ELb0EPS5_S8_N6thrust23THRUST_200600_302600_NS5minusIS5_EEEE10hipError_tPvRmT2_T3_mT4_P12ihipStream_tbEUlT_E_NS1_11comp_targetILNS1_3genE4ELNS1_11target_archE910ELNS1_3gpuE8ELNS1_3repE0EEENS1_30default_config_static_selectorELNS0_4arch9wavefront6targetE1EEEvT1_,"axG",@progbits,_ZN7rocprim17ROCPRIM_400000_NS6detail17trampoline_kernelINS0_14default_configENS1_35adjacent_difference_config_selectorILb1E14custom_numericEEZNS1_24adjacent_difference_implIS3_Lb1ELb0EPS5_S8_N6thrust23THRUST_200600_302600_NS5minusIS5_EEEE10hipError_tPvRmT2_T3_mT4_P12ihipStream_tbEUlT_E_NS1_11comp_targetILNS1_3genE4ELNS1_11target_archE910ELNS1_3gpuE8ELNS1_3repE0EEENS1_30default_config_static_selectorELNS0_4arch9wavefront6targetE1EEEvT1_,comdat
	.protected	_ZN7rocprim17ROCPRIM_400000_NS6detail17trampoline_kernelINS0_14default_configENS1_35adjacent_difference_config_selectorILb1E14custom_numericEEZNS1_24adjacent_difference_implIS3_Lb1ELb0EPS5_S8_N6thrust23THRUST_200600_302600_NS5minusIS5_EEEE10hipError_tPvRmT2_T3_mT4_P12ihipStream_tbEUlT_E_NS1_11comp_targetILNS1_3genE4ELNS1_11target_archE910ELNS1_3gpuE8ELNS1_3repE0EEENS1_30default_config_static_selectorELNS0_4arch9wavefront6targetE1EEEvT1_ ; -- Begin function _ZN7rocprim17ROCPRIM_400000_NS6detail17trampoline_kernelINS0_14default_configENS1_35adjacent_difference_config_selectorILb1E14custom_numericEEZNS1_24adjacent_difference_implIS3_Lb1ELb0EPS5_S8_N6thrust23THRUST_200600_302600_NS5minusIS5_EEEE10hipError_tPvRmT2_T3_mT4_P12ihipStream_tbEUlT_E_NS1_11comp_targetILNS1_3genE4ELNS1_11target_archE910ELNS1_3gpuE8ELNS1_3repE0EEENS1_30default_config_static_selectorELNS0_4arch9wavefront6targetE1EEEvT1_
	.globl	_ZN7rocprim17ROCPRIM_400000_NS6detail17trampoline_kernelINS0_14default_configENS1_35adjacent_difference_config_selectorILb1E14custom_numericEEZNS1_24adjacent_difference_implIS3_Lb1ELb0EPS5_S8_N6thrust23THRUST_200600_302600_NS5minusIS5_EEEE10hipError_tPvRmT2_T3_mT4_P12ihipStream_tbEUlT_E_NS1_11comp_targetILNS1_3genE4ELNS1_11target_archE910ELNS1_3gpuE8ELNS1_3repE0EEENS1_30default_config_static_selectorELNS0_4arch9wavefront6targetE1EEEvT1_
	.p2align	8
	.type	_ZN7rocprim17ROCPRIM_400000_NS6detail17trampoline_kernelINS0_14default_configENS1_35adjacent_difference_config_selectorILb1E14custom_numericEEZNS1_24adjacent_difference_implIS3_Lb1ELb0EPS5_S8_N6thrust23THRUST_200600_302600_NS5minusIS5_EEEE10hipError_tPvRmT2_T3_mT4_P12ihipStream_tbEUlT_E_NS1_11comp_targetILNS1_3genE4ELNS1_11target_archE910ELNS1_3gpuE8ELNS1_3repE0EEENS1_30default_config_static_selectorELNS0_4arch9wavefront6targetE1EEEvT1_,@function
_ZN7rocprim17ROCPRIM_400000_NS6detail17trampoline_kernelINS0_14default_configENS1_35adjacent_difference_config_selectorILb1E14custom_numericEEZNS1_24adjacent_difference_implIS3_Lb1ELb0EPS5_S8_N6thrust23THRUST_200600_302600_NS5minusIS5_EEEE10hipError_tPvRmT2_T3_mT4_P12ihipStream_tbEUlT_E_NS1_11comp_targetILNS1_3genE4ELNS1_11target_archE910ELNS1_3gpuE8ELNS1_3repE0EEENS1_30default_config_static_selectorELNS0_4arch9wavefront6targetE1EEEvT1_: ; @_ZN7rocprim17ROCPRIM_400000_NS6detail17trampoline_kernelINS0_14default_configENS1_35adjacent_difference_config_selectorILb1E14custom_numericEEZNS1_24adjacent_difference_implIS3_Lb1ELb0EPS5_S8_N6thrust23THRUST_200600_302600_NS5minusIS5_EEEE10hipError_tPvRmT2_T3_mT4_P12ihipStream_tbEUlT_E_NS1_11comp_targetILNS1_3genE4ELNS1_11target_archE910ELNS1_3gpuE8ELNS1_3repE0EEENS1_30default_config_static_selectorELNS0_4arch9wavefront6targetE1EEEvT1_
; %bb.0:
	.section	.rodata,"a",@progbits
	.p2align	6, 0x0
	.amdhsa_kernel _ZN7rocprim17ROCPRIM_400000_NS6detail17trampoline_kernelINS0_14default_configENS1_35adjacent_difference_config_selectorILb1E14custom_numericEEZNS1_24adjacent_difference_implIS3_Lb1ELb0EPS5_S8_N6thrust23THRUST_200600_302600_NS5minusIS5_EEEE10hipError_tPvRmT2_T3_mT4_P12ihipStream_tbEUlT_E_NS1_11comp_targetILNS1_3genE4ELNS1_11target_archE910ELNS1_3gpuE8ELNS1_3repE0EEENS1_30default_config_static_selectorELNS0_4arch9wavefront6targetE1EEEvT1_
		.amdhsa_group_segment_fixed_size 0
		.amdhsa_private_segment_fixed_size 0
		.amdhsa_kernarg_size 56
		.amdhsa_user_sgpr_count 2
		.amdhsa_user_sgpr_dispatch_ptr 0
		.amdhsa_user_sgpr_queue_ptr 0
		.amdhsa_user_sgpr_kernarg_segment_ptr 1
		.amdhsa_user_sgpr_dispatch_id 0
		.amdhsa_user_sgpr_kernarg_preload_length 0
		.amdhsa_user_sgpr_kernarg_preload_offset 0
		.amdhsa_user_sgpr_private_segment_size 0
		.amdhsa_uses_dynamic_stack 0
		.amdhsa_enable_private_segment 0
		.amdhsa_system_sgpr_workgroup_id_x 1
		.amdhsa_system_sgpr_workgroup_id_y 0
		.amdhsa_system_sgpr_workgroup_id_z 0
		.amdhsa_system_sgpr_workgroup_info 0
		.amdhsa_system_vgpr_workitem_id 0
		.amdhsa_next_free_vgpr 1
		.amdhsa_next_free_sgpr 0
		.amdhsa_accum_offset 4
		.amdhsa_reserve_vcc 0
		.amdhsa_float_round_mode_32 0
		.amdhsa_float_round_mode_16_64 0
		.amdhsa_float_denorm_mode_32 3
		.amdhsa_float_denorm_mode_16_64 3
		.amdhsa_dx10_clamp 1
		.amdhsa_ieee_mode 1
		.amdhsa_fp16_overflow 0
		.amdhsa_tg_split 0
		.amdhsa_exception_fp_ieee_invalid_op 0
		.amdhsa_exception_fp_denorm_src 0
		.amdhsa_exception_fp_ieee_div_zero 0
		.amdhsa_exception_fp_ieee_overflow 0
		.amdhsa_exception_fp_ieee_underflow 0
		.amdhsa_exception_fp_ieee_inexact 0
		.amdhsa_exception_int_div_zero 0
	.end_amdhsa_kernel
	.section	.text._ZN7rocprim17ROCPRIM_400000_NS6detail17trampoline_kernelINS0_14default_configENS1_35adjacent_difference_config_selectorILb1E14custom_numericEEZNS1_24adjacent_difference_implIS3_Lb1ELb0EPS5_S8_N6thrust23THRUST_200600_302600_NS5minusIS5_EEEE10hipError_tPvRmT2_T3_mT4_P12ihipStream_tbEUlT_E_NS1_11comp_targetILNS1_3genE4ELNS1_11target_archE910ELNS1_3gpuE8ELNS1_3repE0EEENS1_30default_config_static_selectorELNS0_4arch9wavefront6targetE1EEEvT1_,"axG",@progbits,_ZN7rocprim17ROCPRIM_400000_NS6detail17trampoline_kernelINS0_14default_configENS1_35adjacent_difference_config_selectorILb1E14custom_numericEEZNS1_24adjacent_difference_implIS3_Lb1ELb0EPS5_S8_N6thrust23THRUST_200600_302600_NS5minusIS5_EEEE10hipError_tPvRmT2_T3_mT4_P12ihipStream_tbEUlT_E_NS1_11comp_targetILNS1_3genE4ELNS1_11target_archE910ELNS1_3gpuE8ELNS1_3repE0EEENS1_30default_config_static_selectorELNS0_4arch9wavefront6targetE1EEEvT1_,comdat
.Lfunc_end229:
	.size	_ZN7rocprim17ROCPRIM_400000_NS6detail17trampoline_kernelINS0_14default_configENS1_35adjacent_difference_config_selectorILb1E14custom_numericEEZNS1_24adjacent_difference_implIS3_Lb1ELb0EPS5_S8_N6thrust23THRUST_200600_302600_NS5minusIS5_EEEE10hipError_tPvRmT2_T3_mT4_P12ihipStream_tbEUlT_E_NS1_11comp_targetILNS1_3genE4ELNS1_11target_archE910ELNS1_3gpuE8ELNS1_3repE0EEENS1_30default_config_static_selectorELNS0_4arch9wavefront6targetE1EEEvT1_, .Lfunc_end229-_ZN7rocprim17ROCPRIM_400000_NS6detail17trampoline_kernelINS0_14default_configENS1_35adjacent_difference_config_selectorILb1E14custom_numericEEZNS1_24adjacent_difference_implIS3_Lb1ELb0EPS5_S8_N6thrust23THRUST_200600_302600_NS5minusIS5_EEEE10hipError_tPvRmT2_T3_mT4_P12ihipStream_tbEUlT_E_NS1_11comp_targetILNS1_3genE4ELNS1_11target_archE910ELNS1_3gpuE8ELNS1_3repE0EEENS1_30default_config_static_selectorELNS0_4arch9wavefront6targetE1EEEvT1_
                                        ; -- End function
	.section	.AMDGPU.csdata,"",@progbits
; Kernel info:
; codeLenInByte = 0
; NumSgprs: 6
; NumVgprs: 0
; NumAgprs: 0
; TotalNumVgprs: 0
; ScratchSize: 0
; MemoryBound: 0
; FloatMode: 240
; IeeeMode: 1
; LDSByteSize: 0 bytes/workgroup (compile time only)
; SGPRBlocks: 0
; VGPRBlocks: 0
; NumSGPRsForWavesPerEU: 6
; NumVGPRsForWavesPerEU: 1
; AccumOffset: 4
; Occupancy: 8
; WaveLimiterHint : 0
; COMPUTE_PGM_RSRC2:SCRATCH_EN: 0
; COMPUTE_PGM_RSRC2:USER_SGPR: 2
; COMPUTE_PGM_RSRC2:TRAP_HANDLER: 0
; COMPUTE_PGM_RSRC2:TGID_X_EN: 1
; COMPUTE_PGM_RSRC2:TGID_Y_EN: 0
; COMPUTE_PGM_RSRC2:TGID_Z_EN: 0
; COMPUTE_PGM_RSRC2:TIDIG_COMP_CNT: 0
; COMPUTE_PGM_RSRC3_GFX90A:ACCUM_OFFSET: 0
; COMPUTE_PGM_RSRC3_GFX90A:TG_SPLIT: 0
	.section	.text._ZN7rocprim17ROCPRIM_400000_NS6detail17trampoline_kernelINS0_14default_configENS1_35adjacent_difference_config_selectorILb1E14custom_numericEEZNS1_24adjacent_difference_implIS3_Lb1ELb0EPS5_S8_N6thrust23THRUST_200600_302600_NS5minusIS5_EEEE10hipError_tPvRmT2_T3_mT4_P12ihipStream_tbEUlT_E_NS1_11comp_targetILNS1_3genE3ELNS1_11target_archE908ELNS1_3gpuE7ELNS1_3repE0EEENS1_30default_config_static_selectorELNS0_4arch9wavefront6targetE1EEEvT1_,"axG",@progbits,_ZN7rocprim17ROCPRIM_400000_NS6detail17trampoline_kernelINS0_14default_configENS1_35adjacent_difference_config_selectorILb1E14custom_numericEEZNS1_24adjacent_difference_implIS3_Lb1ELb0EPS5_S8_N6thrust23THRUST_200600_302600_NS5minusIS5_EEEE10hipError_tPvRmT2_T3_mT4_P12ihipStream_tbEUlT_E_NS1_11comp_targetILNS1_3genE3ELNS1_11target_archE908ELNS1_3gpuE7ELNS1_3repE0EEENS1_30default_config_static_selectorELNS0_4arch9wavefront6targetE1EEEvT1_,comdat
	.protected	_ZN7rocprim17ROCPRIM_400000_NS6detail17trampoline_kernelINS0_14default_configENS1_35adjacent_difference_config_selectorILb1E14custom_numericEEZNS1_24adjacent_difference_implIS3_Lb1ELb0EPS5_S8_N6thrust23THRUST_200600_302600_NS5minusIS5_EEEE10hipError_tPvRmT2_T3_mT4_P12ihipStream_tbEUlT_E_NS1_11comp_targetILNS1_3genE3ELNS1_11target_archE908ELNS1_3gpuE7ELNS1_3repE0EEENS1_30default_config_static_selectorELNS0_4arch9wavefront6targetE1EEEvT1_ ; -- Begin function _ZN7rocprim17ROCPRIM_400000_NS6detail17trampoline_kernelINS0_14default_configENS1_35adjacent_difference_config_selectorILb1E14custom_numericEEZNS1_24adjacent_difference_implIS3_Lb1ELb0EPS5_S8_N6thrust23THRUST_200600_302600_NS5minusIS5_EEEE10hipError_tPvRmT2_T3_mT4_P12ihipStream_tbEUlT_E_NS1_11comp_targetILNS1_3genE3ELNS1_11target_archE908ELNS1_3gpuE7ELNS1_3repE0EEENS1_30default_config_static_selectorELNS0_4arch9wavefront6targetE1EEEvT1_
	.globl	_ZN7rocprim17ROCPRIM_400000_NS6detail17trampoline_kernelINS0_14default_configENS1_35adjacent_difference_config_selectorILb1E14custom_numericEEZNS1_24adjacent_difference_implIS3_Lb1ELb0EPS5_S8_N6thrust23THRUST_200600_302600_NS5minusIS5_EEEE10hipError_tPvRmT2_T3_mT4_P12ihipStream_tbEUlT_E_NS1_11comp_targetILNS1_3genE3ELNS1_11target_archE908ELNS1_3gpuE7ELNS1_3repE0EEENS1_30default_config_static_selectorELNS0_4arch9wavefront6targetE1EEEvT1_
	.p2align	8
	.type	_ZN7rocprim17ROCPRIM_400000_NS6detail17trampoline_kernelINS0_14default_configENS1_35adjacent_difference_config_selectorILb1E14custom_numericEEZNS1_24adjacent_difference_implIS3_Lb1ELb0EPS5_S8_N6thrust23THRUST_200600_302600_NS5minusIS5_EEEE10hipError_tPvRmT2_T3_mT4_P12ihipStream_tbEUlT_E_NS1_11comp_targetILNS1_3genE3ELNS1_11target_archE908ELNS1_3gpuE7ELNS1_3repE0EEENS1_30default_config_static_selectorELNS0_4arch9wavefront6targetE1EEEvT1_,@function
_ZN7rocprim17ROCPRIM_400000_NS6detail17trampoline_kernelINS0_14default_configENS1_35adjacent_difference_config_selectorILb1E14custom_numericEEZNS1_24adjacent_difference_implIS3_Lb1ELb0EPS5_S8_N6thrust23THRUST_200600_302600_NS5minusIS5_EEEE10hipError_tPvRmT2_T3_mT4_P12ihipStream_tbEUlT_E_NS1_11comp_targetILNS1_3genE3ELNS1_11target_archE908ELNS1_3gpuE7ELNS1_3repE0EEENS1_30default_config_static_selectorELNS0_4arch9wavefront6targetE1EEEvT1_: ; @_ZN7rocprim17ROCPRIM_400000_NS6detail17trampoline_kernelINS0_14default_configENS1_35adjacent_difference_config_selectorILb1E14custom_numericEEZNS1_24adjacent_difference_implIS3_Lb1ELb0EPS5_S8_N6thrust23THRUST_200600_302600_NS5minusIS5_EEEE10hipError_tPvRmT2_T3_mT4_P12ihipStream_tbEUlT_E_NS1_11comp_targetILNS1_3genE3ELNS1_11target_archE908ELNS1_3gpuE7ELNS1_3repE0EEENS1_30default_config_static_selectorELNS0_4arch9wavefront6targetE1EEEvT1_
; %bb.0:
	.section	.rodata,"a",@progbits
	.p2align	6, 0x0
	.amdhsa_kernel _ZN7rocprim17ROCPRIM_400000_NS6detail17trampoline_kernelINS0_14default_configENS1_35adjacent_difference_config_selectorILb1E14custom_numericEEZNS1_24adjacent_difference_implIS3_Lb1ELb0EPS5_S8_N6thrust23THRUST_200600_302600_NS5minusIS5_EEEE10hipError_tPvRmT2_T3_mT4_P12ihipStream_tbEUlT_E_NS1_11comp_targetILNS1_3genE3ELNS1_11target_archE908ELNS1_3gpuE7ELNS1_3repE0EEENS1_30default_config_static_selectorELNS0_4arch9wavefront6targetE1EEEvT1_
		.amdhsa_group_segment_fixed_size 0
		.amdhsa_private_segment_fixed_size 0
		.amdhsa_kernarg_size 56
		.amdhsa_user_sgpr_count 2
		.amdhsa_user_sgpr_dispatch_ptr 0
		.amdhsa_user_sgpr_queue_ptr 0
		.amdhsa_user_sgpr_kernarg_segment_ptr 1
		.amdhsa_user_sgpr_dispatch_id 0
		.amdhsa_user_sgpr_kernarg_preload_length 0
		.amdhsa_user_sgpr_kernarg_preload_offset 0
		.amdhsa_user_sgpr_private_segment_size 0
		.amdhsa_uses_dynamic_stack 0
		.amdhsa_enable_private_segment 0
		.amdhsa_system_sgpr_workgroup_id_x 1
		.amdhsa_system_sgpr_workgroup_id_y 0
		.amdhsa_system_sgpr_workgroup_id_z 0
		.amdhsa_system_sgpr_workgroup_info 0
		.amdhsa_system_vgpr_workitem_id 0
		.amdhsa_next_free_vgpr 1
		.amdhsa_next_free_sgpr 0
		.amdhsa_accum_offset 4
		.amdhsa_reserve_vcc 0
		.amdhsa_float_round_mode_32 0
		.amdhsa_float_round_mode_16_64 0
		.amdhsa_float_denorm_mode_32 3
		.amdhsa_float_denorm_mode_16_64 3
		.amdhsa_dx10_clamp 1
		.amdhsa_ieee_mode 1
		.amdhsa_fp16_overflow 0
		.amdhsa_tg_split 0
		.amdhsa_exception_fp_ieee_invalid_op 0
		.amdhsa_exception_fp_denorm_src 0
		.amdhsa_exception_fp_ieee_div_zero 0
		.amdhsa_exception_fp_ieee_overflow 0
		.amdhsa_exception_fp_ieee_underflow 0
		.amdhsa_exception_fp_ieee_inexact 0
		.amdhsa_exception_int_div_zero 0
	.end_amdhsa_kernel
	.section	.text._ZN7rocprim17ROCPRIM_400000_NS6detail17trampoline_kernelINS0_14default_configENS1_35adjacent_difference_config_selectorILb1E14custom_numericEEZNS1_24adjacent_difference_implIS3_Lb1ELb0EPS5_S8_N6thrust23THRUST_200600_302600_NS5minusIS5_EEEE10hipError_tPvRmT2_T3_mT4_P12ihipStream_tbEUlT_E_NS1_11comp_targetILNS1_3genE3ELNS1_11target_archE908ELNS1_3gpuE7ELNS1_3repE0EEENS1_30default_config_static_selectorELNS0_4arch9wavefront6targetE1EEEvT1_,"axG",@progbits,_ZN7rocprim17ROCPRIM_400000_NS6detail17trampoline_kernelINS0_14default_configENS1_35adjacent_difference_config_selectorILb1E14custom_numericEEZNS1_24adjacent_difference_implIS3_Lb1ELb0EPS5_S8_N6thrust23THRUST_200600_302600_NS5minusIS5_EEEE10hipError_tPvRmT2_T3_mT4_P12ihipStream_tbEUlT_E_NS1_11comp_targetILNS1_3genE3ELNS1_11target_archE908ELNS1_3gpuE7ELNS1_3repE0EEENS1_30default_config_static_selectorELNS0_4arch9wavefront6targetE1EEEvT1_,comdat
.Lfunc_end230:
	.size	_ZN7rocprim17ROCPRIM_400000_NS6detail17trampoline_kernelINS0_14default_configENS1_35adjacent_difference_config_selectorILb1E14custom_numericEEZNS1_24adjacent_difference_implIS3_Lb1ELb0EPS5_S8_N6thrust23THRUST_200600_302600_NS5minusIS5_EEEE10hipError_tPvRmT2_T3_mT4_P12ihipStream_tbEUlT_E_NS1_11comp_targetILNS1_3genE3ELNS1_11target_archE908ELNS1_3gpuE7ELNS1_3repE0EEENS1_30default_config_static_selectorELNS0_4arch9wavefront6targetE1EEEvT1_, .Lfunc_end230-_ZN7rocprim17ROCPRIM_400000_NS6detail17trampoline_kernelINS0_14default_configENS1_35adjacent_difference_config_selectorILb1E14custom_numericEEZNS1_24adjacent_difference_implIS3_Lb1ELb0EPS5_S8_N6thrust23THRUST_200600_302600_NS5minusIS5_EEEE10hipError_tPvRmT2_T3_mT4_P12ihipStream_tbEUlT_E_NS1_11comp_targetILNS1_3genE3ELNS1_11target_archE908ELNS1_3gpuE7ELNS1_3repE0EEENS1_30default_config_static_selectorELNS0_4arch9wavefront6targetE1EEEvT1_
                                        ; -- End function
	.section	.AMDGPU.csdata,"",@progbits
; Kernel info:
; codeLenInByte = 0
; NumSgprs: 6
; NumVgprs: 0
; NumAgprs: 0
; TotalNumVgprs: 0
; ScratchSize: 0
; MemoryBound: 0
; FloatMode: 240
; IeeeMode: 1
; LDSByteSize: 0 bytes/workgroup (compile time only)
; SGPRBlocks: 0
; VGPRBlocks: 0
; NumSGPRsForWavesPerEU: 6
; NumVGPRsForWavesPerEU: 1
; AccumOffset: 4
; Occupancy: 8
; WaveLimiterHint : 0
; COMPUTE_PGM_RSRC2:SCRATCH_EN: 0
; COMPUTE_PGM_RSRC2:USER_SGPR: 2
; COMPUTE_PGM_RSRC2:TRAP_HANDLER: 0
; COMPUTE_PGM_RSRC2:TGID_X_EN: 1
; COMPUTE_PGM_RSRC2:TGID_Y_EN: 0
; COMPUTE_PGM_RSRC2:TGID_Z_EN: 0
; COMPUTE_PGM_RSRC2:TIDIG_COMP_CNT: 0
; COMPUTE_PGM_RSRC3_GFX90A:ACCUM_OFFSET: 0
; COMPUTE_PGM_RSRC3_GFX90A:TG_SPLIT: 0
	.section	.text._ZN7rocprim17ROCPRIM_400000_NS6detail17trampoline_kernelINS0_14default_configENS1_35adjacent_difference_config_selectorILb1E14custom_numericEEZNS1_24adjacent_difference_implIS3_Lb1ELb0EPS5_S8_N6thrust23THRUST_200600_302600_NS5minusIS5_EEEE10hipError_tPvRmT2_T3_mT4_P12ihipStream_tbEUlT_E_NS1_11comp_targetILNS1_3genE2ELNS1_11target_archE906ELNS1_3gpuE6ELNS1_3repE0EEENS1_30default_config_static_selectorELNS0_4arch9wavefront6targetE1EEEvT1_,"axG",@progbits,_ZN7rocprim17ROCPRIM_400000_NS6detail17trampoline_kernelINS0_14default_configENS1_35adjacent_difference_config_selectorILb1E14custom_numericEEZNS1_24adjacent_difference_implIS3_Lb1ELb0EPS5_S8_N6thrust23THRUST_200600_302600_NS5minusIS5_EEEE10hipError_tPvRmT2_T3_mT4_P12ihipStream_tbEUlT_E_NS1_11comp_targetILNS1_3genE2ELNS1_11target_archE906ELNS1_3gpuE6ELNS1_3repE0EEENS1_30default_config_static_selectorELNS0_4arch9wavefront6targetE1EEEvT1_,comdat
	.protected	_ZN7rocprim17ROCPRIM_400000_NS6detail17trampoline_kernelINS0_14default_configENS1_35adjacent_difference_config_selectorILb1E14custom_numericEEZNS1_24adjacent_difference_implIS3_Lb1ELb0EPS5_S8_N6thrust23THRUST_200600_302600_NS5minusIS5_EEEE10hipError_tPvRmT2_T3_mT4_P12ihipStream_tbEUlT_E_NS1_11comp_targetILNS1_3genE2ELNS1_11target_archE906ELNS1_3gpuE6ELNS1_3repE0EEENS1_30default_config_static_selectorELNS0_4arch9wavefront6targetE1EEEvT1_ ; -- Begin function _ZN7rocprim17ROCPRIM_400000_NS6detail17trampoline_kernelINS0_14default_configENS1_35adjacent_difference_config_selectorILb1E14custom_numericEEZNS1_24adjacent_difference_implIS3_Lb1ELb0EPS5_S8_N6thrust23THRUST_200600_302600_NS5minusIS5_EEEE10hipError_tPvRmT2_T3_mT4_P12ihipStream_tbEUlT_E_NS1_11comp_targetILNS1_3genE2ELNS1_11target_archE906ELNS1_3gpuE6ELNS1_3repE0EEENS1_30default_config_static_selectorELNS0_4arch9wavefront6targetE1EEEvT1_
	.globl	_ZN7rocprim17ROCPRIM_400000_NS6detail17trampoline_kernelINS0_14default_configENS1_35adjacent_difference_config_selectorILb1E14custom_numericEEZNS1_24adjacent_difference_implIS3_Lb1ELb0EPS5_S8_N6thrust23THRUST_200600_302600_NS5minusIS5_EEEE10hipError_tPvRmT2_T3_mT4_P12ihipStream_tbEUlT_E_NS1_11comp_targetILNS1_3genE2ELNS1_11target_archE906ELNS1_3gpuE6ELNS1_3repE0EEENS1_30default_config_static_selectorELNS0_4arch9wavefront6targetE1EEEvT1_
	.p2align	8
	.type	_ZN7rocprim17ROCPRIM_400000_NS6detail17trampoline_kernelINS0_14default_configENS1_35adjacent_difference_config_selectorILb1E14custom_numericEEZNS1_24adjacent_difference_implIS3_Lb1ELb0EPS5_S8_N6thrust23THRUST_200600_302600_NS5minusIS5_EEEE10hipError_tPvRmT2_T3_mT4_P12ihipStream_tbEUlT_E_NS1_11comp_targetILNS1_3genE2ELNS1_11target_archE906ELNS1_3gpuE6ELNS1_3repE0EEENS1_30default_config_static_selectorELNS0_4arch9wavefront6targetE1EEEvT1_,@function
_ZN7rocprim17ROCPRIM_400000_NS6detail17trampoline_kernelINS0_14default_configENS1_35adjacent_difference_config_selectorILb1E14custom_numericEEZNS1_24adjacent_difference_implIS3_Lb1ELb0EPS5_S8_N6thrust23THRUST_200600_302600_NS5minusIS5_EEEE10hipError_tPvRmT2_T3_mT4_P12ihipStream_tbEUlT_E_NS1_11comp_targetILNS1_3genE2ELNS1_11target_archE906ELNS1_3gpuE6ELNS1_3repE0EEENS1_30default_config_static_selectorELNS0_4arch9wavefront6targetE1EEEvT1_: ; @_ZN7rocprim17ROCPRIM_400000_NS6detail17trampoline_kernelINS0_14default_configENS1_35adjacent_difference_config_selectorILb1E14custom_numericEEZNS1_24adjacent_difference_implIS3_Lb1ELb0EPS5_S8_N6thrust23THRUST_200600_302600_NS5minusIS5_EEEE10hipError_tPvRmT2_T3_mT4_P12ihipStream_tbEUlT_E_NS1_11comp_targetILNS1_3genE2ELNS1_11target_archE906ELNS1_3gpuE6ELNS1_3repE0EEENS1_30default_config_static_selectorELNS0_4arch9wavefront6targetE1EEEvT1_
; %bb.0:
	.section	.rodata,"a",@progbits
	.p2align	6, 0x0
	.amdhsa_kernel _ZN7rocprim17ROCPRIM_400000_NS6detail17trampoline_kernelINS0_14default_configENS1_35adjacent_difference_config_selectorILb1E14custom_numericEEZNS1_24adjacent_difference_implIS3_Lb1ELb0EPS5_S8_N6thrust23THRUST_200600_302600_NS5minusIS5_EEEE10hipError_tPvRmT2_T3_mT4_P12ihipStream_tbEUlT_E_NS1_11comp_targetILNS1_3genE2ELNS1_11target_archE906ELNS1_3gpuE6ELNS1_3repE0EEENS1_30default_config_static_selectorELNS0_4arch9wavefront6targetE1EEEvT1_
		.amdhsa_group_segment_fixed_size 0
		.amdhsa_private_segment_fixed_size 0
		.amdhsa_kernarg_size 56
		.amdhsa_user_sgpr_count 2
		.amdhsa_user_sgpr_dispatch_ptr 0
		.amdhsa_user_sgpr_queue_ptr 0
		.amdhsa_user_sgpr_kernarg_segment_ptr 1
		.amdhsa_user_sgpr_dispatch_id 0
		.amdhsa_user_sgpr_kernarg_preload_length 0
		.amdhsa_user_sgpr_kernarg_preload_offset 0
		.amdhsa_user_sgpr_private_segment_size 0
		.amdhsa_uses_dynamic_stack 0
		.amdhsa_enable_private_segment 0
		.amdhsa_system_sgpr_workgroup_id_x 1
		.amdhsa_system_sgpr_workgroup_id_y 0
		.amdhsa_system_sgpr_workgroup_id_z 0
		.amdhsa_system_sgpr_workgroup_info 0
		.amdhsa_system_vgpr_workitem_id 0
		.amdhsa_next_free_vgpr 1
		.amdhsa_next_free_sgpr 0
		.amdhsa_accum_offset 4
		.amdhsa_reserve_vcc 0
		.amdhsa_float_round_mode_32 0
		.amdhsa_float_round_mode_16_64 0
		.amdhsa_float_denorm_mode_32 3
		.amdhsa_float_denorm_mode_16_64 3
		.amdhsa_dx10_clamp 1
		.amdhsa_ieee_mode 1
		.amdhsa_fp16_overflow 0
		.amdhsa_tg_split 0
		.amdhsa_exception_fp_ieee_invalid_op 0
		.amdhsa_exception_fp_denorm_src 0
		.amdhsa_exception_fp_ieee_div_zero 0
		.amdhsa_exception_fp_ieee_overflow 0
		.amdhsa_exception_fp_ieee_underflow 0
		.amdhsa_exception_fp_ieee_inexact 0
		.amdhsa_exception_int_div_zero 0
	.end_amdhsa_kernel
	.section	.text._ZN7rocprim17ROCPRIM_400000_NS6detail17trampoline_kernelINS0_14default_configENS1_35adjacent_difference_config_selectorILb1E14custom_numericEEZNS1_24adjacent_difference_implIS3_Lb1ELb0EPS5_S8_N6thrust23THRUST_200600_302600_NS5minusIS5_EEEE10hipError_tPvRmT2_T3_mT4_P12ihipStream_tbEUlT_E_NS1_11comp_targetILNS1_3genE2ELNS1_11target_archE906ELNS1_3gpuE6ELNS1_3repE0EEENS1_30default_config_static_selectorELNS0_4arch9wavefront6targetE1EEEvT1_,"axG",@progbits,_ZN7rocprim17ROCPRIM_400000_NS6detail17trampoline_kernelINS0_14default_configENS1_35adjacent_difference_config_selectorILb1E14custom_numericEEZNS1_24adjacent_difference_implIS3_Lb1ELb0EPS5_S8_N6thrust23THRUST_200600_302600_NS5minusIS5_EEEE10hipError_tPvRmT2_T3_mT4_P12ihipStream_tbEUlT_E_NS1_11comp_targetILNS1_3genE2ELNS1_11target_archE906ELNS1_3gpuE6ELNS1_3repE0EEENS1_30default_config_static_selectorELNS0_4arch9wavefront6targetE1EEEvT1_,comdat
.Lfunc_end231:
	.size	_ZN7rocprim17ROCPRIM_400000_NS6detail17trampoline_kernelINS0_14default_configENS1_35adjacent_difference_config_selectorILb1E14custom_numericEEZNS1_24adjacent_difference_implIS3_Lb1ELb0EPS5_S8_N6thrust23THRUST_200600_302600_NS5minusIS5_EEEE10hipError_tPvRmT2_T3_mT4_P12ihipStream_tbEUlT_E_NS1_11comp_targetILNS1_3genE2ELNS1_11target_archE906ELNS1_3gpuE6ELNS1_3repE0EEENS1_30default_config_static_selectorELNS0_4arch9wavefront6targetE1EEEvT1_, .Lfunc_end231-_ZN7rocprim17ROCPRIM_400000_NS6detail17trampoline_kernelINS0_14default_configENS1_35adjacent_difference_config_selectorILb1E14custom_numericEEZNS1_24adjacent_difference_implIS3_Lb1ELb0EPS5_S8_N6thrust23THRUST_200600_302600_NS5minusIS5_EEEE10hipError_tPvRmT2_T3_mT4_P12ihipStream_tbEUlT_E_NS1_11comp_targetILNS1_3genE2ELNS1_11target_archE906ELNS1_3gpuE6ELNS1_3repE0EEENS1_30default_config_static_selectorELNS0_4arch9wavefront6targetE1EEEvT1_
                                        ; -- End function
	.section	.AMDGPU.csdata,"",@progbits
; Kernel info:
; codeLenInByte = 0
; NumSgprs: 6
; NumVgprs: 0
; NumAgprs: 0
; TotalNumVgprs: 0
; ScratchSize: 0
; MemoryBound: 0
; FloatMode: 240
; IeeeMode: 1
; LDSByteSize: 0 bytes/workgroup (compile time only)
; SGPRBlocks: 0
; VGPRBlocks: 0
; NumSGPRsForWavesPerEU: 6
; NumVGPRsForWavesPerEU: 1
; AccumOffset: 4
; Occupancy: 8
; WaveLimiterHint : 0
; COMPUTE_PGM_RSRC2:SCRATCH_EN: 0
; COMPUTE_PGM_RSRC2:USER_SGPR: 2
; COMPUTE_PGM_RSRC2:TRAP_HANDLER: 0
; COMPUTE_PGM_RSRC2:TGID_X_EN: 1
; COMPUTE_PGM_RSRC2:TGID_Y_EN: 0
; COMPUTE_PGM_RSRC2:TGID_Z_EN: 0
; COMPUTE_PGM_RSRC2:TIDIG_COMP_CNT: 0
; COMPUTE_PGM_RSRC3_GFX90A:ACCUM_OFFSET: 0
; COMPUTE_PGM_RSRC3_GFX90A:TG_SPLIT: 0
	.section	.text._ZN7rocprim17ROCPRIM_400000_NS6detail17trampoline_kernelINS0_14default_configENS1_35adjacent_difference_config_selectorILb1E14custom_numericEEZNS1_24adjacent_difference_implIS3_Lb1ELb0EPS5_S8_N6thrust23THRUST_200600_302600_NS5minusIS5_EEEE10hipError_tPvRmT2_T3_mT4_P12ihipStream_tbEUlT_E_NS1_11comp_targetILNS1_3genE9ELNS1_11target_archE1100ELNS1_3gpuE3ELNS1_3repE0EEENS1_30default_config_static_selectorELNS0_4arch9wavefront6targetE1EEEvT1_,"axG",@progbits,_ZN7rocprim17ROCPRIM_400000_NS6detail17trampoline_kernelINS0_14default_configENS1_35adjacent_difference_config_selectorILb1E14custom_numericEEZNS1_24adjacent_difference_implIS3_Lb1ELb0EPS5_S8_N6thrust23THRUST_200600_302600_NS5minusIS5_EEEE10hipError_tPvRmT2_T3_mT4_P12ihipStream_tbEUlT_E_NS1_11comp_targetILNS1_3genE9ELNS1_11target_archE1100ELNS1_3gpuE3ELNS1_3repE0EEENS1_30default_config_static_selectorELNS0_4arch9wavefront6targetE1EEEvT1_,comdat
	.protected	_ZN7rocprim17ROCPRIM_400000_NS6detail17trampoline_kernelINS0_14default_configENS1_35adjacent_difference_config_selectorILb1E14custom_numericEEZNS1_24adjacent_difference_implIS3_Lb1ELb0EPS5_S8_N6thrust23THRUST_200600_302600_NS5minusIS5_EEEE10hipError_tPvRmT2_T3_mT4_P12ihipStream_tbEUlT_E_NS1_11comp_targetILNS1_3genE9ELNS1_11target_archE1100ELNS1_3gpuE3ELNS1_3repE0EEENS1_30default_config_static_selectorELNS0_4arch9wavefront6targetE1EEEvT1_ ; -- Begin function _ZN7rocprim17ROCPRIM_400000_NS6detail17trampoline_kernelINS0_14default_configENS1_35adjacent_difference_config_selectorILb1E14custom_numericEEZNS1_24adjacent_difference_implIS3_Lb1ELb0EPS5_S8_N6thrust23THRUST_200600_302600_NS5minusIS5_EEEE10hipError_tPvRmT2_T3_mT4_P12ihipStream_tbEUlT_E_NS1_11comp_targetILNS1_3genE9ELNS1_11target_archE1100ELNS1_3gpuE3ELNS1_3repE0EEENS1_30default_config_static_selectorELNS0_4arch9wavefront6targetE1EEEvT1_
	.globl	_ZN7rocprim17ROCPRIM_400000_NS6detail17trampoline_kernelINS0_14default_configENS1_35adjacent_difference_config_selectorILb1E14custom_numericEEZNS1_24adjacent_difference_implIS3_Lb1ELb0EPS5_S8_N6thrust23THRUST_200600_302600_NS5minusIS5_EEEE10hipError_tPvRmT2_T3_mT4_P12ihipStream_tbEUlT_E_NS1_11comp_targetILNS1_3genE9ELNS1_11target_archE1100ELNS1_3gpuE3ELNS1_3repE0EEENS1_30default_config_static_selectorELNS0_4arch9wavefront6targetE1EEEvT1_
	.p2align	8
	.type	_ZN7rocprim17ROCPRIM_400000_NS6detail17trampoline_kernelINS0_14default_configENS1_35adjacent_difference_config_selectorILb1E14custom_numericEEZNS1_24adjacent_difference_implIS3_Lb1ELb0EPS5_S8_N6thrust23THRUST_200600_302600_NS5minusIS5_EEEE10hipError_tPvRmT2_T3_mT4_P12ihipStream_tbEUlT_E_NS1_11comp_targetILNS1_3genE9ELNS1_11target_archE1100ELNS1_3gpuE3ELNS1_3repE0EEENS1_30default_config_static_selectorELNS0_4arch9wavefront6targetE1EEEvT1_,@function
_ZN7rocprim17ROCPRIM_400000_NS6detail17trampoline_kernelINS0_14default_configENS1_35adjacent_difference_config_selectorILb1E14custom_numericEEZNS1_24adjacent_difference_implIS3_Lb1ELb0EPS5_S8_N6thrust23THRUST_200600_302600_NS5minusIS5_EEEE10hipError_tPvRmT2_T3_mT4_P12ihipStream_tbEUlT_E_NS1_11comp_targetILNS1_3genE9ELNS1_11target_archE1100ELNS1_3gpuE3ELNS1_3repE0EEENS1_30default_config_static_selectorELNS0_4arch9wavefront6targetE1EEEvT1_: ; @_ZN7rocprim17ROCPRIM_400000_NS6detail17trampoline_kernelINS0_14default_configENS1_35adjacent_difference_config_selectorILb1E14custom_numericEEZNS1_24adjacent_difference_implIS3_Lb1ELb0EPS5_S8_N6thrust23THRUST_200600_302600_NS5minusIS5_EEEE10hipError_tPvRmT2_T3_mT4_P12ihipStream_tbEUlT_E_NS1_11comp_targetILNS1_3genE9ELNS1_11target_archE1100ELNS1_3gpuE3ELNS1_3repE0EEENS1_30default_config_static_selectorELNS0_4arch9wavefront6targetE1EEEvT1_
; %bb.0:
	.section	.rodata,"a",@progbits
	.p2align	6, 0x0
	.amdhsa_kernel _ZN7rocprim17ROCPRIM_400000_NS6detail17trampoline_kernelINS0_14default_configENS1_35adjacent_difference_config_selectorILb1E14custom_numericEEZNS1_24adjacent_difference_implIS3_Lb1ELb0EPS5_S8_N6thrust23THRUST_200600_302600_NS5minusIS5_EEEE10hipError_tPvRmT2_T3_mT4_P12ihipStream_tbEUlT_E_NS1_11comp_targetILNS1_3genE9ELNS1_11target_archE1100ELNS1_3gpuE3ELNS1_3repE0EEENS1_30default_config_static_selectorELNS0_4arch9wavefront6targetE1EEEvT1_
		.amdhsa_group_segment_fixed_size 0
		.amdhsa_private_segment_fixed_size 0
		.amdhsa_kernarg_size 56
		.amdhsa_user_sgpr_count 2
		.amdhsa_user_sgpr_dispatch_ptr 0
		.amdhsa_user_sgpr_queue_ptr 0
		.amdhsa_user_sgpr_kernarg_segment_ptr 1
		.amdhsa_user_sgpr_dispatch_id 0
		.amdhsa_user_sgpr_kernarg_preload_length 0
		.amdhsa_user_sgpr_kernarg_preload_offset 0
		.amdhsa_user_sgpr_private_segment_size 0
		.amdhsa_uses_dynamic_stack 0
		.amdhsa_enable_private_segment 0
		.amdhsa_system_sgpr_workgroup_id_x 1
		.amdhsa_system_sgpr_workgroup_id_y 0
		.amdhsa_system_sgpr_workgroup_id_z 0
		.amdhsa_system_sgpr_workgroup_info 0
		.amdhsa_system_vgpr_workitem_id 0
		.amdhsa_next_free_vgpr 1
		.amdhsa_next_free_sgpr 0
		.amdhsa_accum_offset 4
		.amdhsa_reserve_vcc 0
		.amdhsa_float_round_mode_32 0
		.amdhsa_float_round_mode_16_64 0
		.amdhsa_float_denorm_mode_32 3
		.amdhsa_float_denorm_mode_16_64 3
		.amdhsa_dx10_clamp 1
		.amdhsa_ieee_mode 1
		.amdhsa_fp16_overflow 0
		.amdhsa_tg_split 0
		.amdhsa_exception_fp_ieee_invalid_op 0
		.amdhsa_exception_fp_denorm_src 0
		.amdhsa_exception_fp_ieee_div_zero 0
		.amdhsa_exception_fp_ieee_overflow 0
		.amdhsa_exception_fp_ieee_underflow 0
		.amdhsa_exception_fp_ieee_inexact 0
		.amdhsa_exception_int_div_zero 0
	.end_amdhsa_kernel
	.section	.text._ZN7rocprim17ROCPRIM_400000_NS6detail17trampoline_kernelINS0_14default_configENS1_35adjacent_difference_config_selectorILb1E14custom_numericEEZNS1_24adjacent_difference_implIS3_Lb1ELb0EPS5_S8_N6thrust23THRUST_200600_302600_NS5minusIS5_EEEE10hipError_tPvRmT2_T3_mT4_P12ihipStream_tbEUlT_E_NS1_11comp_targetILNS1_3genE9ELNS1_11target_archE1100ELNS1_3gpuE3ELNS1_3repE0EEENS1_30default_config_static_selectorELNS0_4arch9wavefront6targetE1EEEvT1_,"axG",@progbits,_ZN7rocprim17ROCPRIM_400000_NS6detail17trampoline_kernelINS0_14default_configENS1_35adjacent_difference_config_selectorILb1E14custom_numericEEZNS1_24adjacent_difference_implIS3_Lb1ELb0EPS5_S8_N6thrust23THRUST_200600_302600_NS5minusIS5_EEEE10hipError_tPvRmT2_T3_mT4_P12ihipStream_tbEUlT_E_NS1_11comp_targetILNS1_3genE9ELNS1_11target_archE1100ELNS1_3gpuE3ELNS1_3repE0EEENS1_30default_config_static_selectorELNS0_4arch9wavefront6targetE1EEEvT1_,comdat
.Lfunc_end232:
	.size	_ZN7rocprim17ROCPRIM_400000_NS6detail17trampoline_kernelINS0_14default_configENS1_35adjacent_difference_config_selectorILb1E14custom_numericEEZNS1_24adjacent_difference_implIS3_Lb1ELb0EPS5_S8_N6thrust23THRUST_200600_302600_NS5minusIS5_EEEE10hipError_tPvRmT2_T3_mT4_P12ihipStream_tbEUlT_E_NS1_11comp_targetILNS1_3genE9ELNS1_11target_archE1100ELNS1_3gpuE3ELNS1_3repE0EEENS1_30default_config_static_selectorELNS0_4arch9wavefront6targetE1EEEvT1_, .Lfunc_end232-_ZN7rocprim17ROCPRIM_400000_NS6detail17trampoline_kernelINS0_14default_configENS1_35adjacent_difference_config_selectorILb1E14custom_numericEEZNS1_24adjacent_difference_implIS3_Lb1ELb0EPS5_S8_N6thrust23THRUST_200600_302600_NS5minusIS5_EEEE10hipError_tPvRmT2_T3_mT4_P12ihipStream_tbEUlT_E_NS1_11comp_targetILNS1_3genE9ELNS1_11target_archE1100ELNS1_3gpuE3ELNS1_3repE0EEENS1_30default_config_static_selectorELNS0_4arch9wavefront6targetE1EEEvT1_
                                        ; -- End function
	.section	.AMDGPU.csdata,"",@progbits
; Kernel info:
; codeLenInByte = 0
; NumSgprs: 6
; NumVgprs: 0
; NumAgprs: 0
; TotalNumVgprs: 0
; ScratchSize: 0
; MemoryBound: 0
; FloatMode: 240
; IeeeMode: 1
; LDSByteSize: 0 bytes/workgroup (compile time only)
; SGPRBlocks: 0
; VGPRBlocks: 0
; NumSGPRsForWavesPerEU: 6
; NumVGPRsForWavesPerEU: 1
; AccumOffset: 4
; Occupancy: 8
; WaveLimiterHint : 0
; COMPUTE_PGM_RSRC2:SCRATCH_EN: 0
; COMPUTE_PGM_RSRC2:USER_SGPR: 2
; COMPUTE_PGM_RSRC2:TRAP_HANDLER: 0
; COMPUTE_PGM_RSRC2:TGID_X_EN: 1
; COMPUTE_PGM_RSRC2:TGID_Y_EN: 0
; COMPUTE_PGM_RSRC2:TGID_Z_EN: 0
; COMPUTE_PGM_RSRC2:TIDIG_COMP_CNT: 0
; COMPUTE_PGM_RSRC3_GFX90A:ACCUM_OFFSET: 0
; COMPUTE_PGM_RSRC3_GFX90A:TG_SPLIT: 0
	.section	.text._ZN7rocprim17ROCPRIM_400000_NS6detail17trampoline_kernelINS0_14default_configENS1_35adjacent_difference_config_selectorILb1E14custom_numericEEZNS1_24adjacent_difference_implIS3_Lb1ELb0EPS5_S8_N6thrust23THRUST_200600_302600_NS5minusIS5_EEEE10hipError_tPvRmT2_T3_mT4_P12ihipStream_tbEUlT_E_NS1_11comp_targetILNS1_3genE8ELNS1_11target_archE1030ELNS1_3gpuE2ELNS1_3repE0EEENS1_30default_config_static_selectorELNS0_4arch9wavefront6targetE1EEEvT1_,"axG",@progbits,_ZN7rocprim17ROCPRIM_400000_NS6detail17trampoline_kernelINS0_14default_configENS1_35adjacent_difference_config_selectorILb1E14custom_numericEEZNS1_24adjacent_difference_implIS3_Lb1ELb0EPS5_S8_N6thrust23THRUST_200600_302600_NS5minusIS5_EEEE10hipError_tPvRmT2_T3_mT4_P12ihipStream_tbEUlT_E_NS1_11comp_targetILNS1_3genE8ELNS1_11target_archE1030ELNS1_3gpuE2ELNS1_3repE0EEENS1_30default_config_static_selectorELNS0_4arch9wavefront6targetE1EEEvT1_,comdat
	.protected	_ZN7rocprim17ROCPRIM_400000_NS6detail17trampoline_kernelINS0_14default_configENS1_35adjacent_difference_config_selectorILb1E14custom_numericEEZNS1_24adjacent_difference_implIS3_Lb1ELb0EPS5_S8_N6thrust23THRUST_200600_302600_NS5minusIS5_EEEE10hipError_tPvRmT2_T3_mT4_P12ihipStream_tbEUlT_E_NS1_11comp_targetILNS1_3genE8ELNS1_11target_archE1030ELNS1_3gpuE2ELNS1_3repE0EEENS1_30default_config_static_selectorELNS0_4arch9wavefront6targetE1EEEvT1_ ; -- Begin function _ZN7rocprim17ROCPRIM_400000_NS6detail17trampoline_kernelINS0_14default_configENS1_35adjacent_difference_config_selectorILb1E14custom_numericEEZNS1_24adjacent_difference_implIS3_Lb1ELb0EPS5_S8_N6thrust23THRUST_200600_302600_NS5minusIS5_EEEE10hipError_tPvRmT2_T3_mT4_P12ihipStream_tbEUlT_E_NS1_11comp_targetILNS1_3genE8ELNS1_11target_archE1030ELNS1_3gpuE2ELNS1_3repE0EEENS1_30default_config_static_selectorELNS0_4arch9wavefront6targetE1EEEvT1_
	.globl	_ZN7rocprim17ROCPRIM_400000_NS6detail17trampoline_kernelINS0_14default_configENS1_35adjacent_difference_config_selectorILb1E14custom_numericEEZNS1_24adjacent_difference_implIS3_Lb1ELb0EPS5_S8_N6thrust23THRUST_200600_302600_NS5minusIS5_EEEE10hipError_tPvRmT2_T3_mT4_P12ihipStream_tbEUlT_E_NS1_11comp_targetILNS1_3genE8ELNS1_11target_archE1030ELNS1_3gpuE2ELNS1_3repE0EEENS1_30default_config_static_selectorELNS0_4arch9wavefront6targetE1EEEvT1_
	.p2align	8
	.type	_ZN7rocprim17ROCPRIM_400000_NS6detail17trampoline_kernelINS0_14default_configENS1_35adjacent_difference_config_selectorILb1E14custom_numericEEZNS1_24adjacent_difference_implIS3_Lb1ELb0EPS5_S8_N6thrust23THRUST_200600_302600_NS5minusIS5_EEEE10hipError_tPvRmT2_T3_mT4_P12ihipStream_tbEUlT_E_NS1_11comp_targetILNS1_3genE8ELNS1_11target_archE1030ELNS1_3gpuE2ELNS1_3repE0EEENS1_30default_config_static_selectorELNS0_4arch9wavefront6targetE1EEEvT1_,@function
_ZN7rocprim17ROCPRIM_400000_NS6detail17trampoline_kernelINS0_14default_configENS1_35adjacent_difference_config_selectorILb1E14custom_numericEEZNS1_24adjacent_difference_implIS3_Lb1ELb0EPS5_S8_N6thrust23THRUST_200600_302600_NS5minusIS5_EEEE10hipError_tPvRmT2_T3_mT4_P12ihipStream_tbEUlT_E_NS1_11comp_targetILNS1_3genE8ELNS1_11target_archE1030ELNS1_3gpuE2ELNS1_3repE0EEENS1_30default_config_static_selectorELNS0_4arch9wavefront6targetE1EEEvT1_: ; @_ZN7rocprim17ROCPRIM_400000_NS6detail17trampoline_kernelINS0_14default_configENS1_35adjacent_difference_config_selectorILb1E14custom_numericEEZNS1_24adjacent_difference_implIS3_Lb1ELb0EPS5_S8_N6thrust23THRUST_200600_302600_NS5minusIS5_EEEE10hipError_tPvRmT2_T3_mT4_P12ihipStream_tbEUlT_E_NS1_11comp_targetILNS1_3genE8ELNS1_11target_archE1030ELNS1_3gpuE2ELNS1_3repE0EEENS1_30default_config_static_selectorELNS0_4arch9wavefront6targetE1EEEvT1_
; %bb.0:
	.section	.rodata,"a",@progbits
	.p2align	6, 0x0
	.amdhsa_kernel _ZN7rocprim17ROCPRIM_400000_NS6detail17trampoline_kernelINS0_14default_configENS1_35adjacent_difference_config_selectorILb1E14custom_numericEEZNS1_24adjacent_difference_implIS3_Lb1ELb0EPS5_S8_N6thrust23THRUST_200600_302600_NS5minusIS5_EEEE10hipError_tPvRmT2_T3_mT4_P12ihipStream_tbEUlT_E_NS1_11comp_targetILNS1_3genE8ELNS1_11target_archE1030ELNS1_3gpuE2ELNS1_3repE0EEENS1_30default_config_static_selectorELNS0_4arch9wavefront6targetE1EEEvT1_
		.amdhsa_group_segment_fixed_size 0
		.amdhsa_private_segment_fixed_size 0
		.amdhsa_kernarg_size 56
		.amdhsa_user_sgpr_count 2
		.amdhsa_user_sgpr_dispatch_ptr 0
		.amdhsa_user_sgpr_queue_ptr 0
		.amdhsa_user_sgpr_kernarg_segment_ptr 1
		.amdhsa_user_sgpr_dispatch_id 0
		.amdhsa_user_sgpr_kernarg_preload_length 0
		.amdhsa_user_sgpr_kernarg_preload_offset 0
		.amdhsa_user_sgpr_private_segment_size 0
		.amdhsa_uses_dynamic_stack 0
		.amdhsa_enable_private_segment 0
		.amdhsa_system_sgpr_workgroup_id_x 1
		.amdhsa_system_sgpr_workgroup_id_y 0
		.amdhsa_system_sgpr_workgroup_id_z 0
		.amdhsa_system_sgpr_workgroup_info 0
		.amdhsa_system_vgpr_workitem_id 0
		.amdhsa_next_free_vgpr 1
		.amdhsa_next_free_sgpr 0
		.amdhsa_accum_offset 4
		.amdhsa_reserve_vcc 0
		.amdhsa_float_round_mode_32 0
		.amdhsa_float_round_mode_16_64 0
		.amdhsa_float_denorm_mode_32 3
		.amdhsa_float_denorm_mode_16_64 3
		.amdhsa_dx10_clamp 1
		.amdhsa_ieee_mode 1
		.amdhsa_fp16_overflow 0
		.amdhsa_tg_split 0
		.amdhsa_exception_fp_ieee_invalid_op 0
		.amdhsa_exception_fp_denorm_src 0
		.amdhsa_exception_fp_ieee_div_zero 0
		.amdhsa_exception_fp_ieee_overflow 0
		.amdhsa_exception_fp_ieee_underflow 0
		.amdhsa_exception_fp_ieee_inexact 0
		.amdhsa_exception_int_div_zero 0
	.end_amdhsa_kernel
	.section	.text._ZN7rocprim17ROCPRIM_400000_NS6detail17trampoline_kernelINS0_14default_configENS1_35adjacent_difference_config_selectorILb1E14custom_numericEEZNS1_24adjacent_difference_implIS3_Lb1ELb0EPS5_S8_N6thrust23THRUST_200600_302600_NS5minusIS5_EEEE10hipError_tPvRmT2_T3_mT4_P12ihipStream_tbEUlT_E_NS1_11comp_targetILNS1_3genE8ELNS1_11target_archE1030ELNS1_3gpuE2ELNS1_3repE0EEENS1_30default_config_static_selectorELNS0_4arch9wavefront6targetE1EEEvT1_,"axG",@progbits,_ZN7rocprim17ROCPRIM_400000_NS6detail17trampoline_kernelINS0_14default_configENS1_35adjacent_difference_config_selectorILb1E14custom_numericEEZNS1_24adjacent_difference_implIS3_Lb1ELb0EPS5_S8_N6thrust23THRUST_200600_302600_NS5minusIS5_EEEE10hipError_tPvRmT2_T3_mT4_P12ihipStream_tbEUlT_E_NS1_11comp_targetILNS1_3genE8ELNS1_11target_archE1030ELNS1_3gpuE2ELNS1_3repE0EEENS1_30default_config_static_selectorELNS0_4arch9wavefront6targetE1EEEvT1_,comdat
.Lfunc_end233:
	.size	_ZN7rocprim17ROCPRIM_400000_NS6detail17trampoline_kernelINS0_14default_configENS1_35adjacent_difference_config_selectorILb1E14custom_numericEEZNS1_24adjacent_difference_implIS3_Lb1ELb0EPS5_S8_N6thrust23THRUST_200600_302600_NS5minusIS5_EEEE10hipError_tPvRmT2_T3_mT4_P12ihipStream_tbEUlT_E_NS1_11comp_targetILNS1_3genE8ELNS1_11target_archE1030ELNS1_3gpuE2ELNS1_3repE0EEENS1_30default_config_static_selectorELNS0_4arch9wavefront6targetE1EEEvT1_, .Lfunc_end233-_ZN7rocprim17ROCPRIM_400000_NS6detail17trampoline_kernelINS0_14default_configENS1_35adjacent_difference_config_selectorILb1E14custom_numericEEZNS1_24adjacent_difference_implIS3_Lb1ELb0EPS5_S8_N6thrust23THRUST_200600_302600_NS5minusIS5_EEEE10hipError_tPvRmT2_T3_mT4_P12ihipStream_tbEUlT_E_NS1_11comp_targetILNS1_3genE8ELNS1_11target_archE1030ELNS1_3gpuE2ELNS1_3repE0EEENS1_30default_config_static_selectorELNS0_4arch9wavefront6targetE1EEEvT1_
                                        ; -- End function
	.section	.AMDGPU.csdata,"",@progbits
; Kernel info:
; codeLenInByte = 0
; NumSgprs: 6
; NumVgprs: 0
; NumAgprs: 0
; TotalNumVgprs: 0
; ScratchSize: 0
; MemoryBound: 0
; FloatMode: 240
; IeeeMode: 1
; LDSByteSize: 0 bytes/workgroup (compile time only)
; SGPRBlocks: 0
; VGPRBlocks: 0
; NumSGPRsForWavesPerEU: 6
; NumVGPRsForWavesPerEU: 1
; AccumOffset: 4
; Occupancy: 8
; WaveLimiterHint : 0
; COMPUTE_PGM_RSRC2:SCRATCH_EN: 0
; COMPUTE_PGM_RSRC2:USER_SGPR: 2
; COMPUTE_PGM_RSRC2:TRAP_HANDLER: 0
; COMPUTE_PGM_RSRC2:TGID_X_EN: 1
; COMPUTE_PGM_RSRC2:TGID_Y_EN: 0
; COMPUTE_PGM_RSRC2:TGID_Z_EN: 0
; COMPUTE_PGM_RSRC2:TIDIG_COMP_CNT: 0
; COMPUTE_PGM_RSRC3_GFX90A:ACCUM_OFFSET: 0
; COMPUTE_PGM_RSRC3_GFX90A:TG_SPLIT: 0
	.section	.text._ZN6thrust23THRUST_200600_302600_NS11hip_rocprim14__parallel_for6kernelILj256ENS1_20__uninitialized_copy7functorINS0_10device_ptrI14custom_numericEENS0_7pointerIS7_NS1_3tagENS0_11use_defaultESB_EEEEmLj1EEEvT0_T1_SF_,"axG",@progbits,_ZN6thrust23THRUST_200600_302600_NS11hip_rocprim14__parallel_for6kernelILj256ENS1_20__uninitialized_copy7functorINS0_10device_ptrI14custom_numericEENS0_7pointerIS7_NS1_3tagENS0_11use_defaultESB_EEEEmLj1EEEvT0_T1_SF_,comdat
	.protected	_ZN6thrust23THRUST_200600_302600_NS11hip_rocprim14__parallel_for6kernelILj256ENS1_20__uninitialized_copy7functorINS0_10device_ptrI14custom_numericEENS0_7pointerIS7_NS1_3tagENS0_11use_defaultESB_EEEEmLj1EEEvT0_T1_SF_ ; -- Begin function _ZN6thrust23THRUST_200600_302600_NS11hip_rocprim14__parallel_for6kernelILj256ENS1_20__uninitialized_copy7functorINS0_10device_ptrI14custom_numericEENS0_7pointerIS7_NS1_3tagENS0_11use_defaultESB_EEEEmLj1EEEvT0_T1_SF_
	.globl	_ZN6thrust23THRUST_200600_302600_NS11hip_rocprim14__parallel_for6kernelILj256ENS1_20__uninitialized_copy7functorINS0_10device_ptrI14custom_numericEENS0_7pointerIS7_NS1_3tagENS0_11use_defaultESB_EEEEmLj1EEEvT0_T1_SF_
	.p2align	8
	.type	_ZN6thrust23THRUST_200600_302600_NS11hip_rocprim14__parallel_for6kernelILj256ENS1_20__uninitialized_copy7functorINS0_10device_ptrI14custom_numericEENS0_7pointerIS7_NS1_3tagENS0_11use_defaultESB_EEEEmLj1EEEvT0_T1_SF_,@function
_ZN6thrust23THRUST_200600_302600_NS11hip_rocprim14__parallel_for6kernelILj256ENS1_20__uninitialized_copy7functorINS0_10device_ptrI14custom_numericEENS0_7pointerIS7_NS1_3tagENS0_11use_defaultESB_EEEEmLj1EEEvT0_T1_SF_: ; @_ZN6thrust23THRUST_200600_302600_NS11hip_rocprim14__parallel_for6kernelILj256ENS1_20__uninitialized_copy7functorINS0_10device_ptrI14custom_numericEENS0_7pointerIS7_NS1_3tagENS0_11use_defaultESB_EEEEmLj1EEEvT0_T1_SF_
; %bb.0:
	s_load_dwordx8 s[4:11], s[0:1], 0x0
	s_lshl_b32 s0, s2, 8
	v_mov_b64_e32 v[2:3], 0x100
	s_waitcnt lgkmcnt(0)
	s_add_u32 s0, s0, s10
	s_addc_u32 s1, 0, s11
	s_sub_u32 s2, s8, s0
	s_subb_u32 s3, s9, s1
	v_cmp_lt_u64_e32 vcc, s[2:3], v[2:3]
	s_cbranch_vccz .LBB234_2
; %bb.1:
	v_cmp_gt_u32_e32 vcc, s2, v0
	s_and_b64 s[2:3], vcc, exec
	s_cbranch_execz .LBB234_3
	s_branch .LBB234_4
.LBB234_2:
	s_mov_b64 s[2:3], 0
.LBB234_3:
	s_or_b64 s[2:3], s[2:3], exec
.LBB234_4:
	s_and_saveexec_b64 s[8:9], s[2:3]
	s_cbranch_execnz .LBB234_6
; %bb.5:
	s_endpgm
.LBB234_6:
	v_mov_b32_e32 v1, 0
	v_mov_b32_e32 v2, s4
	;; [unrolled: 1-line block ×3, first 2 shown]
	v_lshl_add_u64 v[4:5], s[0:1], 0, v[0:1]
	v_mad_u64_u32 v[0:1], s[0:1], v4, 20, v[2:3]
	v_mul_lo_u32 v6, v5, 20
	v_add_u32_e32 v1, v6, v1
	flat_load_dword v0, v[0:1]
	v_mov_b32_e32 v2, s6
	v_mov_b32_e32 v3, s7
	v_mad_u64_u32 v[4:5], s[0:1], v4, 20, v[2:3]
	v_add_u32_e32 v5, v6, v5
	s_waitcnt vmcnt(0) lgkmcnt(0)
	v_mov_b32_e32 v1, v0
	v_mov_b32_e32 v2, v0
	;; [unrolled: 1-line block ×3, first 2 shown]
	flat_store_dwordx4 v[4:5], v[0:3]
	flat_store_dword v[4:5], v0 offset:16
	s_endpgm
	.section	.rodata,"a",@progbits
	.p2align	6, 0x0
	.amdhsa_kernel _ZN6thrust23THRUST_200600_302600_NS11hip_rocprim14__parallel_for6kernelILj256ENS1_20__uninitialized_copy7functorINS0_10device_ptrI14custom_numericEENS0_7pointerIS7_NS1_3tagENS0_11use_defaultESB_EEEEmLj1EEEvT0_T1_SF_
		.amdhsa_group_segment_fixed_size 0
		.amdhsa_private_segment_fixed_size 0
		.amdhsa_kernarg_size 32
		.amdhsa_user_sgpr_count 2
		.amdhsa_user_sgpr_dispatch_ptr 0
		.amdhsa_user_sgpr_queue_ptr 0
		.amdhsa_user_sgpr_kernarg_segment_ptr 1
		.amdhsa_user_sgpr_dispatch_id 0
		.amdhsa_user_sgpr_kernarg_preload_length 0
		.amdhsa_user_sgpr_kernarg_preload_offset 0
		.amdhsa_user_sgpr_private_segment_size 0
		.amdhsa_uses_dynamic_stack 0
		.amdhsa_enable_private_segment 0
		.amdhsa_system_sgpr_workgroup_id_x 1
		.amdhsa_system_sgpr_workgroup_id_y 0
		.amdhsa_system_sgpr_workgroup_id_z 0
		.amdhsa_system_sgpr_workgroup_info 0
		.amdhsa_system_vgpr_workitem_id 0
		.amdhsa_next_free_vgpr 7
		.amdhsa_next_free_sgpr 12
		.amdhsa_accum_offset 8
		.amdhsa_reserve_vcc 1
		.amdhsa_float_round_mode_32 0
		.amdhsa_float_round_mode_16_64 0
		.amdhsa_float_denorm_mode_32 3
		.amdhsa_float_denorm_mode_16_64 3
		.amdhsa_dx10_clamp 1
		.amdhsa_ieee_mode 1
		.amdhsa_fp16_overflow 0
		.amdhsa_tg_split 0
		.amdhsa_exception_fp_ieee_invalid_op 0
		.amdhsa_exception_fp_denorm_src 0
		.amdhsa_exception_fp_ieee_div_zero 0
		.amdhsa_exception_fp_ieee_overflow 0
		.amdhsa_exception_fp_ieee_underflow 0
		.amdhsa_exception_fp_ieee_inexact 0
		.amdhsa_exception_int_div_zero 0
	.end_amdhsa_kernel
	.section	.text._ZN6thrust23THRUST_200600_302600_NS11hip_rocprim14__parallel_for6kernelILj256ENS1_20__uninitialized_copy7functorINS0_10device_ptrI14custom_numericEENS0_7pointerIS7_NS1_3tagENS0_11use_defaultESB_EEEEmLj1EEEvT0_T1_SF_,"axG",@progbits,_ZN6thrust23THRUST_200600_302600_NS11hip_rocprim14__parallel_for6kernelILj256ENS1_20__uninitialized_copy7functorINS0_10device_ptrI14custom_numericEENS0_7pointerIS7_NS1_3tagENS0_11use_defaultESB_EEEEmLj1EEEvT0_T1_SF_,comdat
.Lfunc_end234:
	.size	_ZN6thrust23THRUST_200600_302600_NS11hip_rocprim14__parallel_for6kernelILj256ENS1_20__uninitialized_copy7functorINS0_10device_ptrI14custom_numericEENS0_7pointerIS7_NS1_3tagENS0_11use_defaultESB_EEEEmLj1EEEvT0_T1_SF_, .Lfunc_end234-_ZN6thrust23THRUST_200600_302600_NS11hip_rocprim14__parallel_for6kernelILj256ENS1_20__uninitialized_copy7functorINS0_10device_ptrI14custom_numericEENS0_7pointerIS7_NS1_3tagENS0_11use_defaultESB_EEEEmLj1EEEvT0_T1_SF_
                                        ; -- End function
	.section	.AMDGPU.csdata,"",@progbits
; Kernel info:
; codeLenInByte = 188
; NumSgprs: 18
; NumVgprs: 7
; NumAgprs: 0
; TotalNumVgprs: 7
; ScratchSize: 0
; MemoryBound: 0
; FloatMode: 240
; IeeeMode: 1
; LDSByteSize: 0 bytes/workgroup (compile time only)
; SGPRBlocks: 2
; VGPRBlocks: 0
; NumSGPRsForWavesPerEU: 18
; NumVGPRsForWavesPerEU: 7
; AccumOffset: 8
; Occupancy: 8
; WaveLimiterHint : 0
; COMPUTE_PGM_RSRC2:SCRATCH_EN: 0
; COMPUTE_PGM_RSRC2:USER_SGPR: 2
; COMPUTE_PGM_RSRC2:TRAP_HANDLER: 0
; COMPUTE_PGM_RSRC2:TGID_X_EN: 1
; COMPUTE_PGM_RSRC2:TGID_Y_EN: 0
; COMPUTE_PGM_RSRC2:TGID_Z_EN: 0
; COMPUTE_PGM_RSRC2:TIDIG_COMP_CNT: 0
; COMPUTE_PGM_RSRC3_GFX90A:ACCUM_OFFSET: 1
; COMPUTE_PGM_RSRC3_GFX90A:TG_SPLIT: 0
	.section	.text._ZN7rocprim17ROCPRIM_400000_NS6detail17trampoline_kernelINS0_14default_configENS1_35adjacent_difference_config_selectorILb0E14custom_numericEEZNS1_24adjacent_difference_implIS3_Lb0ELb0EPS5_S8_N6thrust23THRUST_200600_302600_NS4plusIS5_EEEE10hipError_tPvRmT2_T3_mT4_P12ihipStream_tbEUlT_E_NS1_11comp_targetILNS1_3genE0ELNS1_11target_archE4294967295ELNS1_3gpuE0ELNS1_3repE0EEENS1_30default_config_static_selectorELNS0_4arch9wavefront6targetE1EEEvT1_,"axG",@progbits,_ZN7rocprim17ROCPRIM_400000_NS6detail17trampoline_kernelINS0_14default_configENS1_35adjacent_difference_config_selectorILb0E14custom_numericEEZNS1_24adjacent_difference_implIS3_Lb0ELb0EPS5_S8_N6thrust23THRUST_200600_302600_NS4plusIS5_EEEE10hipError_tPvRmT2_T3_mT4_P12ihipStream_tbEUlT_E_NS1_11comp_targetILNS1_3genE0ELNS1_11target_archE4294967295ELNS1_3gpuE0ELNS1_3repE0EEENS1_30default_config_static_selectorELNS0_4arch9wavefront6targetE1EEEvT1_,comdat
	.protected	_ZN7rocprim17ROCPRIM_400000_NS6detail17trampoline_kernelINS0_14default_configENS1_35adjacent_difference_config_selectorILb0E14custom_numericEEZNS1_24adjacent_difference_implIS3_Lb0ELb0EPS5_S8_N6thrust23THRUST_200600_302600_NS4plusIS5_EEEE10hipError_tPvRmT2_T3_mT4_P12ihipStream_tbEUlT_E_NS1_11comp_targetILNS1_3genE0ELNS1_11target_archE4294967295ELNS1_3gpuE0ELNS1_3repE0EEENS1_30default_config_static_selectorELNS0_4arch9wavefront6targetE1EEEvT1_ ; -- Begin function _ZN7rocprim17ROCPRIM_400000_NS6detail17trampoline_kernelINS0_14default_configENS1_35adjacent_difference_config_selectorILb0E14custom_numericEEZNS1_24adjacent_difference_implIS3_Lb0ELb0EPS5_S8_N6thrust23THRUST_200600_302600_NS4plusIS5_EEEE10hipError_tPvRmT2_T3_mT4_P12ihipStream_tbEUlT_E_NS1_11comp_targetILNS1_3genE0ELNS1_11target_archE4294967295ELNS1_3gpuE0ELNS1_3repE0EEENS1_30default_config_static_selectorELNS0_4arch9wavefront6targetE1EEEvT1_
	.globl	_ZN7rocprim17ROCPRIM_400000_NS6detail17trampoline_kernelINS0_14default_configENS1_35adjacent_difference_config_selectorILb0E14custom_numericEEZNS1_24adjacent_difference_implIS3_Lb0ELb0EPS5_S8_N6thrust23THRUST_200600_302600_NS4plusIS5_EEEE10hipError_tPvRmT2_T3_mT4_P12ihipStream_tbEUlT_E_NS1_11comp_targetILNS1_3genE0ELNS1_11target_archE4294967295ELNS1_3gpuE0ELNS1_3repE0EEENS1_30default_config_static_selectorELNS0_4arch9wavefront6targetE1EEEvT1_
	.p2align	8
	.type	_ZN7rocprim17ROCPRIM_400000_NS6detail17trampoline_kernelINS0_14default_configENS1_35adjacent_difference_config_selectorILb0E14custom_numericEEZNS1_24adjacent_difference_implIS3_Lb0ELb0EPS5_S8_N6thrust23THRUST_200600_302600_NS4plusIS5_EEEE10hipError_tPvRmT2_T3_mT4_P12ihipStream_tbEUlT_E_NS1_11comp_targetILNS1_3genE0ELNS1_11target_archE4294967295ELNS1_3gpuE0ELNS1_3repE0EEENS1_30default_config_static_selectorELNS0_4arch9wavefront6targetE1EEEvT1_,@function
_ZN7rocprim17ROCPRIM_400000_NS6detail17trampoline_kernelINS0_14default_configENS1_35adjacent_difference_config_selectorILb0E14custom_numericEEZNS1_24adjacent_difference_implIS3_Lb0ELb0EPS5_S8_N6thrust23THRUST_200600_302600_NS4plusIS5_EEEE10hipError_tPvRmT2_T3_mT4_P12ihipStream_tbEUlT_E_NS1_11comp_targetILNS1_3genE0ELNS1_11target_archE4294967295ELNS1_3gpuE0ELNS1_3repE0EEENS1_30default_config_static_selectorELNS0_4arch9wavefront6targetE1EEEvT1_: ; @_ZN7rocprim17ROCPRIM_400000_NS6detail17trampoline_kernelINS0_14default_configENS1_35adjacent_difference_config_selectorILb0E14custom_numericEEZNS1_24adjacent_difference_implIS3_Lb0ELb0EPS5_S8_N6thrust23THRUST_200600_302600_NS4plusIS5_EEEE10hipError_tPvRmT2_T3_mT4_P12ihipStream_tbEUlT_E_NS1_11comp_targetILNS1_3genE0ELNS1_11target_archE4294967295ELNS1_3gpuE0ELNS1_3repE0EEENS1_30default_config_static_selectorELNS0_4arch9wavefront6targetE1EEEvT1_
; %bb.0:
	.section	.rodata,"a",@progbits
	.p2align	6, 0x0
	.amdhsa_kernel _ZN7rocprim17ROCPRIM_400000_NS6detail17trampoline_kernelINS0_14default_configENS1_35adjacent_difference_config_selectorILb0E14custom_numericEEZNS1_24adjacent_difference_implIS3_Lb0ELb0EPS5_S8_N6thrust23THRUST_200600_302600_NS4plusIS5_EEEE10hipError_tPvRmT2_T3_mT4_P12ihipStream_tbEUlT_E_NS1_11comp_targetILNS1_3genE0ELNS1_11target_archE4294967295ELNS1_3gpuE0ELNS1_3repE0EEENS1_30default_config_static_selectorELNS0_4arch9wavefront6targetE1EEEvT1_
		.amdhsa_group_segment_fixed_size 0
		.amdhsa_private_segment_fixed_size 0
		.amdhsa_kernarg_size 56
		.amdhsa_user_sgpr_count 2
		.amdhsa_user_sgpr_dispatch_ptr 0
		.amdhsa_user_sgpr_queue_ptr 0
		.amdhsa_user_sgpr_kernarg_segment_ptr 1
		.amdhsa_user_sgpr_dispatch_id 0
		.amdhsa_user_sgpr_kernarg_preload_length 0
		.amdhsa_user_sgpr_kernarg_preload_offset 0
		.amdhsa_user_sgpr_private_segment_size 0
		.amdhsa_uses_dynamic_stack 0
		.amdhsa_enable_private_segment 0
		.amdhsa_system_sgpr_workgroup_id_x 1
		.amdhsa_system_sgpr_workgroup_id_y 0
		.amdhsa_system_sgpr_workgroup_id_z 0
		.amdhsa_system_sgpr_workgroup_info 0
		.amdhsa_system_vgpr_workitem_id 0
		.amdhsa_next_free_vgpr 1
		.amdhsa_next_free_sgpr 0
		.amdhsa_accum_offset 4
		.amdhsa_reserve_vcc 0
		.amdhsa_float_round_mode_32 0
		.amdhsa_float_round_mode_16_64 0
		.amdhsa_float_denorm_mode_32 3
		.amdhsa_float_denorm_mode_16_64 3
		.amdhsa_dx10_clamp 1
		.amdhsa_ieee_mode 1
		.amdhsa_fp16_overflow 0
		.amdhsa_tg_split 0
		.amdhsa_exception_fp_ieee_invalid_op 0
		.amdhsa_exception_fp_denorm_src 0
		.amdhsa_exception_fp_ieee_div_zero 0
		.amdhsa_exception_fp_ieee_overflow 0
		.amdhsa_exception_fp_ieee_underflow 0
		.amdhsa_exception_fp_ieee_inexact 0
		.amdhsa_exception_int_div_zero 0
	.end_amdhsa_kernel
	.section	.text._ZN7rocprim17ROCPRIM_400000_NS6detail17trampoline_kernelINS0_14default_configENS1_35adjacent_difference_config_selectorILb0E14custom_numericEEZNS1_24adjacent_difference_implIS3_Lb0ELb0EPS5_S8_N6thrust23THRUST_200600_302600_NS4plusIS5_EEEE10hipError_tPvRmT2_T3_mT4_P12ihipStream_tbEUlT_E_NS1_11comp_targetILNS1_3genE0ELNS1_11target_archE4294967295ELNS1_3gpuE0ELNS1_3repE0EEENS1_30default_config_static_selectorELNS0_4arch9wavefront6targetE1EEEvT1_,"axG",@progbits,_ZN7rocprim17ROCPRIM_400000_NS6detail17trampoline_kernelINS0_14default_configENS1_35adjacent_difference_config_selectorILb0E14custom_numericEEZNS1_24adjacent_difference_implIS3_Lb0ELb0EPS5_S8_N6thrust23THRUST_200600_302600_NS4plusIS5_EEEE10hipError_tPvRmT2_T3_mT4_P12ihipStream_tbEUlT_E_NS1_11comp_targetILNS1_3genE0ELNS1_11target_archE4294967295ELNS1_3gpuE0ELNS1_3repE0EEENS1_30default_config_static_selectorELNS0_4arch9wavefront6targetE1EEEvT1_,comdat
.Lfunc_end235:
	.size	_ZN7rocprim17ROCPRIM_400000_NS6detail17trampoline_kernelINS0_14default_configENS1_35adjacent_difference_config_selectorILb0E14custom_numericEEZNS1_24adjacent_difference_implIS3_Lb0ELb0EPS5_S8_N6thrust23THRUST_200600_302600_NS4plusIS5_EEEE10hipError_tPvRmT2_T3_mT4_P12ihipStream_tbEUlT_E_NS1_11comp_targetILNS1_3genE0ELNS1_11target_archE4294967295ELNS1_3gpuE0ELNS1_3repE0EEENS1_30default_config_static_selectorELNS0_4arch9wavefront6targetE1EEEvT1_, .Lfunc_end235-_ZN7rocprim17ROCPRIM_400000_NS6detail17trampoline_kernelINS0_14default_configENS1_35adjacent_difference_config_selectorILb0E14custom_numericEEZNS1_24adjacent_difference_implIS3_Lb0ELb0EPS5_S8_N6thrust23THRUST_200600_302600_NS4plusIS5_EEEE10hipError_tPvRmT2_T3_mT4_P12ihipStream_tbEUlT_E_NS1_11comp_targetILNS1_3genE0ELNS1_11target_archE4294967295ELNS1_3gpuE0ELNS1_3repE0EEENS1_30default_config_static_selectorELNS0_4arch9wavefront6targetE1EEEvT1_
                                        ; -- End function
	.section	.AMDGPU.csdata,"",@progbits
; Kernel info:
; codeLenInByte = 0
; NumSgprs: 6
; NumVgprs: 0
; NumAgprs: 0
; TotalNumVgprs: 0
; ScratchSize: 0
; MemoryBound: 0
; FloatMode: 240
; IeeeMode: 1
; LDSByteSize: 0 bytes/workgroup (compile time only)
; SGPRBlocks: 0
; VGPRBlocks: 0
; NumSGPRsForWavesPerEU: 6
; NumVGPRsForWavesPerEU: 1
; AccumOffset: 4
; Occupancy: 8
; WaveLimiterHint : 0
; COMPUTE_PGM_RSRC2:SCRATCH_EN: 0
; COMPUTE_PGM_RSRC2:USER_SGPR: 2
; COMPUTE_PGM_RSRC2:TRAP_HANDLER: 0
; COMPUTE_PGM_RSRC2:TGID_X_EN: 1
; COMPUTE_PGM_RSRC2:TGID_Y_EN: 0
; COMPUTE_PGM_RSRC2:TGID_Z_EN: 0
; COMPUTE_PGM_RSRC2:TIDIG_COMP_CNT: 0
; COMPUTE_PGM_RSRC3_GFX90A:ACCUM_OFFSET: 0
; COMPUTE_PGM_RSRC3_GFX90A:TG_SPLIT: 0
	.section	.text._ZN7rocprim17ROCPRIM_400000_NS6detail17trampoline_kernelINS0_14default_configENS1_35adjacent_difference_config_selectorILb0E14custom_numericEEZNS1_24adjacent_difference_implIS3_Lb0ELb0EPS5_S8_N6thrust23THRUST_200600_302600_NS4plusIS5_EEEE10hipError_tPvRmT2_T3_mT4_P12ihipStream_tbEUlT_E_NS1_11comp_targetILNS1_3genE10ELNS1_11target_archE1201ELNS1_3gpuE5ELNS1_3repE0EEENS1_30default_config_static_selectorELNS0_4arch9wavefront6targetE1EEEvT1_,"axG",@progbits,_ZN7rocprim17ROCPRIM_400000_NS6detail17trampoline_kernelINS0_14default_configENS1_35adjacent_difference_config_selectorILb0E14custom_numericEEZNS1_24adjacent_difference_implIS3_Lb0ELb0EPS5_S8_N6thrust23THRUST_200600_302600_NS4plusIS5_EEEE10hipError_tPvRmT2_T3_mT4_P12ihipStream_tbEUlT_E_NS1_11comp_targetILNS1_3genE10ELNS1_11target_archE1201ELNS1_3gpuE5ELNS1_3repE0EEENS1_30default_config_static_selectorELNS0_4arch9wavefront6targetE1EEEvT1_,comdat
	.protected	_ZN7rocprim17ROCPRIM_400000_NS6detail17trampoline_kernelINS0_14default_configENS1_35adjacent_difference_config_selectorILb0E14custom_numericEEZNS1_24adjacent_difference_implIS3_Lb0ELb0EPS5_S8_N6thrust23THRUST_200600_302600_NS4plusIS5_EEEE10hipError_tPvRmT2_T3_mT4_P12ihipStream_tbEUlT_E_NS1_11comp_targetILNS1_3genE10ELNS1_11target_archE1201ELNS1_3gpuE5ELNS1_3repE0EEENS1_30default_config_static_selectorELNS0_4arch9wavefront6targetE1EEEvT1_ ; -- Begin function _ZN7rocprim17ROCPRIM_400000_NS6detail17trampoline_kernelINS0_14default_configENS1_35adjacent_difference_config_selectorILb0E14custom_numericEEZNS1_24adjacent_difference_implIS3_Lb0ELb0EPS5_S8_N6thrust23THRUST_200600_302600_NS4plusIS5_EEEE10hipError_tPvRmT2_T3_mT4_P12ihipStream_tbEUlT_E_NS1_11comp_targetILNS1_3genE10ELNS1_11target_archE1201ELNS1_3gpuE5ELNS1_3repE0EEENS1_30default_config_static_selectorELNS0_4arch9wavefront6targetE1EEEvT1_
	.globl	_ZN7rocprim17ROCPRIM_400000_NS6detail17trampoline_kernelINS0_14default_configENS1_35adjacent_difference_config_selectorILb0E14custom_numericEEZNS1_24adjacent_difference_implIS3_Lb0ELb0EPS5_S8_N6thrust23THRUST_200600_302600_NS4plusIS5_EEEE10hipError_tPvRmT2_T3_mT4_P12ihipStream_tbEUlT_E_NS1_11comp_targetILNS1_3genE10ELNS1_11target_archE1201ELNS1_3gpuE5ELNS1_3repE0EEENS1_30default_config_static_selectorELNS0_4arch9wavefront6targetE1EEEvT1_
	.p2align	8
	.type	_ZN7rocprim17ROCPRIM_400000_NS6detail17trampoline_kernelINS0_14default_configENS1_35adjacent_difference_config_selectorILb0E14custom_numericEEZNS1_24adjacent_difference_implIS3_Lb0ELb0EPS5_S8_N6thrust23THRUST_200600_302600_NS4plusIS5_EEEE10hipError_tPvRmT2_T3_mT4_P12ihipStream_tbEUlT_E_NS1_11comp_targetILNS1_3genE10ELNS1_11target_archE1201ELNS1_3gpuE5ELNS1_3repE0EEENS1_30default_config_static_selectorELNS0_4arch9wavefront6targetE1EEEvT1_,@function
_ZN7rocprim17ROCPRIM_400000_NS6detail17trampoline_kernelINS0_14default_configENS1_35adjacent_difference_config_selectorILb0E14custom_numericEEZNS1_24adjacent_difference_implIS3_Lb0ELb0EPS5_S8_N6thrust23THRUST_200600_302600_NS4plusIS5_EEEE10hipError_tPvRmT2_T3_mT4_P12ihipStream_tbEUlT_E_NS1_11comp_targetILNS1_3genE10ELNS1_11target_archE1201ELNS1_3gpuE5ELNS1_3repE0EEENS1_30default_config_static_selectorELNS0_4arch9wavefront6targetE1EEEvT1_: ; @_ZN7rocprim17ROCPRIM_400000_NS6detail17trampoline_kernelINS0_14default_configENS1_35adjacent_difference_config_selectorILb0E14custom_numericEEZNS1_24adjacent_difference_implIS3_Lb0ELb0EPS5_S8_N6thrust23THRUST_200600_302600_NS4plusIS5_EEEE10hipError_tPvRmT2_T3_mT4_P12ihipStream_tbEUlT_E_NS1_11comp_targetILNS1_3genE10ELNS1_11target_archE1201ELNS1_3gpuE5ELNS1_3repE0EEENS1_30default_config_static_selectorELNS0_4arch9wavefront6targetE1EEEvT1_
; %bb.0:
	.section	.rodata,"a",@progbits
	.p2align	6, 0x0
	.amdhsa_kernel _ZN7rocprim17ROCPRIM_400000_NS6detail17trampoline_kernelINS0_14default_configENS1_35adjacent_difference_config_selectorILb0E14custom_numericEEZNS1_24adjacent_difference_implIS3_Lb0ELb0EPS5_S8_N6thrust23THRUST_200600_302600_NS4plusIS5_EEEE10hipError_tPvRmT2_T3_mT4_P12ihipStream_tbEUlT_E_NS1_11comp_targetILNS1_3genE10ELNS1_11target_archE1201ELNS1_3gpuE5ELNS1_3repE0EEENS1_30default_config_static_selectorELNS0_4arch9wavefront6targetE1EEEvT1_
		.amdhsa_group_segment_fixed_size 0
		.amdhsa_private_segment_fixed_size 0
		.amdhsa_kernarg_size 56
		.amdhsa_user_sgpr_count 2
		.amdhsa_user_sgpr_dispatch_ptr 0
		.amdhsa_user_sgpr_queue_ptr 0
		.amdhsa_user_sgpr_kernarg_segment_ptr 1
		.amdhsa_user_sgpr_dispatch_id 0
		.amdhsa_user_sgpr_kernarg_preload_length 0
		.amdhsa_user_sgpr_kernarg_preload_offset 0
		.amdhsa_user_sgpr_private_segment_size 0
		.amdhsa_uses_dynamic_stack 0
		.amdhsa_enable_private_segment 0
		.amdhsa_system_sgpr_workgroup_id_x 1
		.amdhsa_system_sgpr_workgroup_id_y 0
		.amdhsa_system_sgpr_workgroup_id_z 0
		.amdhsa_system_sgpr_workgroup_info 0
		.amdhsa_system_vgpr_workitem_id 0
		.amdhsa_next_free_vgpr 1
		.amdhsa_next_free_sgpr 0
		.amdhsa_accum_offset 4
		.amdhsa_reserve_vcc 0
		.amdhsa_float_round_mode_32 0
		.amdhsa_float_round_mode_16_64 0
		.amdhsa_float_denorm_mode_32 3
		.amdhsa_float_denorm_mode_16_64 3
		.amdhsa_dx10_clamp 1
		.amdhsa_ieee_mode 1
		.amdhsa_fp16_overflow 0
		.amdhsa_tg_split 0
		.amdhsa_exception_fp_ieee_invalid_op 0
		.amdhsa_exception_fp_denorm_src 0
		.amdhsa_exception_fp_ieee_div_zero 0
		.amdhsa_exception_fp_ieee_overflow 0
		.amdhsa_exception_fp_ieee_underflow 0
		.amdhsa_exception_fp_ieee_inexact 0
		.amdhsa_exception_int_div_zero 0
	.end_amdhsa_kernel
	.section	.text._ZN7rocprim17ROCPRIM_400000_NS6detail17trampoline_kernelINS0_14default_configENS1_35adjacent_difference_config_selectorILb0E14custom_numericEEZNS1_24adjacent_difference_implIS3_Lb0ELb0EPS5_S8_N6thrust23THRUST_200600_302600_NS4plusIS5_EEEE10hipError_tPvRmT2_T3_mT4_P12ihipStream_tbEUlT_E_NS1_11comp_targetILNS1_3genE10ELNS1_11target_archE1201ELNS1_3gpuE5ELNS1_3repE0EEENS1_30default_config_static_selectorELNS0_4arch9wavefront6targetE1EEEvT1_,"axG",@progbits,_ZN7rocprim17ROCPRIM_400000_NS6detail17trampoline_kernelINS0_14default_configENS1_35adjacent_difference_config_selectorILb0E14custom_numericEEZNS1_24adjacent_difference_implIS3_Lb0ELb0EPS5_S8_N6thrust23THRUST_200600_302600_NS4plusIS5_EEEE10hipError_tPvRmT2_T3_mT4_P12ihipStream_tbEUlT_E_NS1_11comp_targetILNS1_3genE10ELNS1_11target_archE1201ELNS1_3gpuE5ELNS1_3repE0EEENS1_30default_config_static_selectorELNS0_4arch9wavefront6targetE1EEEvT1_,comdat
.Lfunc_end236:
	.size	_ZN7rocprim17ROCPRIM_400000_NS6detail17trampoline_kernelINS0_14default_configENS1_35adjacent_difference_config_selectorILb0E14custom_numericEEZNS1_24adjacent_difference_implIS3_Lb0ELb0EPS5_S8_N6thrust23THRUST_200600_302600_NS4plusIS5_EEEE10hipError_tPvRmT2_T3_mT4_P12ihipStream_tbEUlT_E_NS1_11comp_targetILNS1_3genE10ELNS1_11target_archE1201ELNS1_3gpuE5ELNS1_3repE0EEENS1_30default_config_static_selectorELNS0_4arch9wavefront6targetE1EEEvT1_, .Lfunc_end236-_ZN7rocprim17ROCPRIM_400000_NS6detail17trampoline_kernelINS0_14default_configENS1_35adjacent_difference_config_selectorILb0E14custom_numericEEZNS1_24adjacent_difference_implIS3_Lb0ELb0EPS5_S8_N6thrust23THRUST_200600_302600_NS4plusIS5_EEEE10hipError_tPvRmT2_T3_mT4_P12ihipStream_tbEUlT_E_NS1_11comp_targetILNS1_3genE10ELNS1_11target_archE1201ELNS1_3gpuE5ELNS1_3repE0EEENS1_30default_config_static_selectorELNS0_4arch9wavefront6targetE1EEEvT1_
                                        ; -- End function
	.section	.AMDGPU.csdata,"",@progbits
; Kernel info:
; codeLenInByte = 0
; NumSgprs: 6
; NumVgprs: 0
; NumAgprs: 0
; TotalNumVgprs: 0
; ScratchSize: 0
; MemoryBound: 0
; FloatMode: 240
; IeeeMode: 1
; LDSByteSize: 0 bytes/workgroup (compile time only)
; SGPRBlocks: 0
; VGPRBlocks: 0
; NumSGPRsForWavesPerEU: 6
; NumVGPRsForWavesPerEU: 1
; AccumOffset: 4
; Occupancy: 8
; WaveLimiterHint : 0
; COMPUTE_PGM_RSRC2:SCRATCH_EN: 0
; COMPUTE_PGM_RSRC2:USER_SGPR: 2
; COMPUTE_PGM_RSRC2:TRAP_HANDLER: 0
; COMPUTE_PGM_RSRC2:TGID_X_EN: 1
; COMPUTE_PGM_RSRC2:TGID_Y_EN: 0
; COMPUTE_PGM_RSRC2:TGID_Z_EN: 0
; COMPUTE_PGM_RSRC2:TIDIG_COMP_CNT: 0
; COMPUTE_PGM_RSRC3_GFX90A:ACCUM_OFFSET: 0
; COMPUTE_PGM_RSRC3_GFX90A:TG_SPLIT: 0
	.section	.text._ZN7rocprim17ROCPRIM_400000_NS6detail17trampoline_kernelINS0_14default_configENS1_35adjacent_difference_config_selectorILb0E14custom_numericEEZNS1_24adjacent_difference_implIS3_Lb0ELb0EPS5_S8_N6thrust23THRUST_200600_302600_NS4plusIS5_EEEE10hipError_tPvRmT2_T3_mT4_P12ihipStream_tbEUlT_E_NS1_11comp_targetILNS1_3genE5ELNS1_11target_archE942ELNS1_3gpuE9ELNS1_3repE0EEENS1_30default_config_static_selectorELNS0_4arch9wavefront6targetE1EEEvT1_,"axG",@progbits,_ZN7rocprim17ROCPRIM_400000_NS6detail17trampoline_kernelINS0_14default_configENS1_35adjacent_difference_config_selectorILb0E14custom_numericEEZNS1_24adjacent_difference_implIS3_Lb0ELb0EPS5_S8_N6thrust23THRUST_200600_302600_NS4plusIS5_EEEE10hipError_tPvRmT2_T3_mT4_P12ihipStream_tbEUlT_E_NS1_11comp_targetILNS1_3genE5ELNS1_11target_archE942ELNS1_3gpuE9ELNS1_3repE0EEENS1_30default_config_static_selectorELNS0_4arch9wavefront6targetE1EEEvT1_,comdat
	.protected	_ZN7rocprim17ROCPRIM_400000_NS6detail17trampoline_kernelINS0_14default_configENS1_35adjacent_difference_config_selectorILb0E14custom_numericEEZNS1_24adjacent_difference_implIS3_Lb0ELb0EPS5_S8_N6thrust23THRUST_200600_302600_NS4plusIS5_EEEE10hipError_tPvRmT2_T3_mT4_P12ihipStream_tbEUlT_E_NS1_11comp_targetILNS1_3genE5ELNS1_11target_archE942ELNS1_3gpuE9ELNS1_3repE0EEENS1_30default_config_static_selectorELNS0_4arch9wavefront6targetE1EEEvT1_ ; -- Begin function _ZN7rocprim17ROCPRIM_400000_NS6detail17trampoline_kernelINS0_14default_configENS1_35adjacent_difference_config_selectorILb0E14custom_numericEEZNS1_24adjacent_difference_implIS3_Lb0ELb0EPS5_S8_N6thrust23THRUST_200600_302600_NS4plusIS5_EEEE10hipError_tPvRmT2_T3_mT4_P12ihipStream_tbEUlT_E_NS1_11comp_targetILNS1_3genE5ELNS1_11target_archE942ELNS1_3gpuE9ELNS1_3repE0EEENS1_30default_config_static_selectorELNS0_4arch9wavefront6targetE1EEEvT1_
	.globl	_ZN7rocprim17ROCPRIM_400000_NS6detail17trampoline_kernelINS0_14default_configENS1_35adjacent_difference_config_selectorILb0E14custom_numericEEZNS1_24adjacent_difference_implIS3_Lb0ELb0EPS5_S8_N6thrust23THRUST_200600_302600_NS4plusIS5_EEEE10hipError_tPvRmT2_T3_mT4_P12ihipStream_tbEUlT_E_NS1_11comp_targetILNS1_3genE5ELNS1_11target_archE942ELNS1_3gpuE9ELNS1_3repE0EEENS1_30default_config_static_selectorELNS0_4arch9wavefront6targetE1EEEvT1_
	.p2align	8
	.type	_ZN7rocprim17ROCPRIM_400000_NS6detail17trampoline_kernelINS0_14default_configENS1_35adjacent_difference_config_selectorILb0E14custom_numericEEZNS1_24adjacent_difference_implIS3_Lb0ELb0EPS5_S8_N6thrust23THRUST_200600_302600_NS4plusIS5_EEEE10hipError_tPvRmT2_T3_mT4_P12ihipStream_tbEUlT_E_NS1_11comp_targetILNS1_3genE5ELNS1_11target_archE942ELNS1_3gpuE9ELNS1_3repE0EEENS1_30default_config_static_selectorELNS0_4arch9wavefront6targetE1EEEvT1_,@function
_ZN7rocprim17ROCPRIM_400000_NS6detail17trampoline_kernelINS0_14default_configENS1_35adjacent_difference_config_selectorILb0E14custom_numericEEZNS1_24adjacent_difference_implIS3_Lb0ELb0EPS5_S8_N6thrust23THRUST_200600_302600_NS4plusIS5_EEEE10hipError_tPvRmT2_T3_mT4_P12ihipStream_tbEUlT_E_NS1_11comp_targetILNS1_3genE5ELNS1_11target_archE942ELNS1_3gpuE9ELNS1_3repE0EEENS1_30default_config_static_selectorELNS0_4arch9wavefront6targetE1EEEvT1_: ; @_ZN7rocprim17ROCPRIM_400000_NS6detail17trampoline_kernelINS0_14default_configENS1_35adjacent_difference_config_selectorILb0E14custom_numericEEZNS1_24adjacent_difference_implIS3_Lb0ELb0EPS5_S8_N6thrust23THRUST_200600_302600_NS4plusIS5_EEEE10hipError_tPvRmT2_T3_mT4_P12ihipStream_tbEUlT_E_NS1_11comp_targetILNS1_3genE5ELNS1_11target_archE942ELNS1_3gpuE9ELNS1_3repE0EEENS1_30default_config_static_selectorELNS0_4arch9wavefront6targetE1EEEvT1_
; %bb.0:
	s_load_dwordx8 s[4:11], s[0:1], 0x0
	s_load_dwordx2 s[12:13], s[0:1], 0x30
	s_mov_b32 s1, 0x55500000
	v_mov_b32_e32 v1, 0x55555000
	s_mul_i32 s16, s2, 0x300
	s_waitcnt lgkmcnt(0)
	s_mul_i32 s0, s7, 20
	s_mul_hi_u32 s17, s6, 20
	s_add_i32 s17, s17, s0
	s_mul_i32 s18, s6, 20
	s_add_u32 s20, s4, s18
	s_addc_u32 s21, s5, s17
	s_add_u32 s1, 0x55555, s1
	s_addc_u32 s1, 0, 0x555
	;; [unrolled: 2-line block ×3, first 2 shown]
	v_add_co_u32_e32 v1, vcc, s1, v1
	s_cmp_lg_u64 vcc, 0
	s_addc_u32 s1, s3, 0x555555
	v_readfirstlane_b32 s5, v1
	s_mul_i32 s4, s10, s1
	s_mul_hi_u32 s6, s10, s5
	s_mul_hi_u32 s3, s10, s1
	s_add_u32 s4, s6, s4
	s_addc_u32 s3, 0, s3
	s_mul_hi_u32 s7, s11, s5
	s_mul_i32 s5, s11, s5
	s_add_u32 s4, s4, s5
	s_mul_hi_u32 s6, s11, s1
	s_addc_u32 s3, s3, s7
	s_addc_u32 s4, s6, 0
	s_mul_i32 s1, s11, s1
	s_add_u32 s1, s3, s1
	s_addc_u32 s3, 0, s4
	s_add_u32 s4, s1, 1
	s_addc_u32 s5, s3, 0
	s_add_u32 s6, s1, 2
	s_mul_i32 s14, s3, 0x300
	s_mul_hi_u32 s15, s1, 0x300
	s_addc_u32 s7, s3, 0
	s_add_i32 s15, s15, s14
	s_mul_i32 s14, s1, 0x300
	v_mov_b32_e32 v1, s14
	v_sub_co_u32_e32 v1, vcc, s10, v1
	s_movk_i32 s0, 0x300
	s_cmp_lg_u64 vcc, 0
	s_subb_u32 s14, s11, s15
	v_subrev_co_u32_e32 v2, vcc, s0, v1
	s_cmp_lg_u64 vcc, 0
	s_subb_u32 s0, s14, 0
	v_readfirstlane_b32 s15, v2
	s_cmpk_gt_u32 s15, 0x2ff
	s_cselect_b32 s15, -1, 0
	s_cmp_eq_u32 s0, 0
	s_cselect_b32 s0, s15, -1
	s_cmp_lg_u32 s0, 0
	s_cselect_b32 s0, s6, s4
	s_cselect_b32 s4, s7, s5
	v_readfirstlane_b32 s5, v1
	s_cmpk_gt_u32 s5, 0x2ff
	s_cselect_b32 s5, -1, 0
	s_cmp_eq_u32 s14, 0
	s_cselect_b32 s5, s5, -1
	s_cmp_lg_u32 s5, 0
	s_cselect_b32 s3, s4, s3
	s_cselect_b32 s4, s0, s1
	s_mul_i32 s0, s3, 0x300
	s_mul_hi_u32 s1, s4, 0x300
	s_add_i32 s1, s1, s0
	s_mul_i32 s0, s4, 0x300
	s_sub_u32 s0, s10, s0
	s_subb_u32 s1, s11, s1
	s_cmp_lg_u64 s[0:1], 0
	s_cselect_b64 s[0:1], -1, 0
	v_cndmask_b32_e64 v1, 0, 1, s[0:1]
	s_mul_hi_u32 s11, s16, 20
	v_readfirstlane_b32 s0, v1
	s_add_u32 s4, s4, s0
	s_addc_u32 s5, s3, 0
	s_add_u32 s2, s12, s2
	s_addc_u32 s3, s13, 0
	s_add_u32 s6, s4, -1
	s_addc_u32 s7, s5, -1
	v_mov_b64_e32 v[2:3], s[6:7]
	v_cmp_ge_u64_e64 s[0:1], s[2:3], v[2:3]
	s_mov_b64 s[12:13], -1
	s_and_b64 vcc, exec, s[0:1]
	s_mul_i32 s19, s6, 0xfffffd00
	s_mul_i32 s16, s16, 20
	s_cbranch_vccz .LBB237_8
; %bb.1:
	s_add_i32 s22, s19, s10
	s_add_u32 s12, s20, s16
	s_addc_u32 s13, s21, s11
	v_cmp_gt_u32_e32 vcc, s22, v0
	v_mov_b32_e32 v1, 0
	v_mov_b32_e32 v2, 0
	s_and_saveexec_b64 s[14:15], vcc
	s_cbranch_execz .LBB237_3
; %bb.2:
	v_mad_u64_u32 v[2:3], s[24:25], v0, 20, s[12:13]
	global_load_dword v2, v[2:3], off
.LBB237_3:
	s_or_b64 exec, exec, s[14:15]
	v_or_b32_e32 v3, 0x100, v0
	v_cmp_gt_u32_e32 vcc, s22, v3
	s_and_saveexec_b64 s[14:15], vcc
	s_cbranch_execz .LBB237_5
; %bb.4:
	v_mad_u64_u32 v[4:5], s[24:25], v3, 20, s[12:13]
	global_load_dword v1, v[4:5], off
.LBB237_5:
	s_or_b64 exec, exec, s[14:15]
	v_or_b32_e32 v4, 0x200, v0
	v_cmp_gt_u32_e32 vcc, s22, v4
	v_mov_b32_e32 v3, 0
	s_and_saveexec_b64 s[14:15], vcc
	s_cbranch_execz .LBB237_7
; %bb.6:
	v_mad_u64_u32 v[4:5], s[12:13], v4, 20, s[12:13]
	global_load_dword v3, v[4:5], off
.LBB237_7:
	s_or_b64 exec, exec, s[14:15]
	v_mov_b32_e32 v5, 0x1400
	v_mul_u32_u24_e32 v4, 20, v0
	v_mad_u32_u24 v5, v0, 20, v5
	s_waitcnt vmcnt(0)
	ds_write2_b32 v4, v2, v2 offset1:1
	ds_write2_b32 v4, v2, v2 offset0:2 offset1:3
	ds_write2_b32 v5, v1, v1 offset1:1
	v_mov_b32_e32 v5, 0x1408
	v_mad_u32_u24 v5, v0, 20, v5
	ds_write2_b32 v5, v1, v1 offset1:1
	v_add_u32_e32 v5, 16, v4
	ds_write2st64_b32 v5, v2, v1 offset1:20
	v_mov_b32_e32 v1, 0x2800
	v_mad_u32_u24 v1, v0, 20, v1
	ds_write2_b32 v1, v3, v3 offset1:1
	v_mov_b32_e32 v1, 0x2808
	v_mad_u32_u24 v1, v0, 20, v1
	s_mov_b64 s[12:13], 0
	ds_write2_b32 v1, v3, v3 offset1:1
	ds_write_b32 v4, v3 offset:10256
	s_waitcnt lgkmcnt(0)
	s_barrier
.LBB237_8:
	s_and_b64 vcc, exec, s[12:13]
	v_mul_u32_u24_e32 v1, 20, v0
	s_cbranch_vccz .LBB237_10
; %bb.9:
	s_add_u32 s12, s20, s16
	s_addc_u32 s13, s21, s11
	v_mad_u64_u32 v[2:3], s[12:13], v0, 20, s[12:13]
	v_add_co_u32_e32 v4, vcc, 0x1000, v2
	v_mov_b32_e32 v8, 0x2800
	s_nop 0
	v_addc_co_u32_e32 v5, vcc, 0, v3, vcc
	global_load_dword v6, v[2:3], off
	global_load_dword v7, v[4:5], off offset:1024
	v_add_co_u32_e32 v2, vcc, 0x2000, v2
	v_mov_b32_e32 v4, 0x1408
	s_nop 0
	v_addc_co_u32_e32 v3, vcc, 0, v3, vcc
	global_load_dword v2, v[2:3], off offset:2048
	v_mov_b32_e32 v3, 0x1400
	v_mov_b32_e32 v9, 0x2808
	v_add_u32_e32 v5, 16, v1
	v_mad_u32_u24 v3, v0, 20, v3
	v_mad_u32_u24 v4, v0, 20, v4
	v_mad_u32_u24 v8, v0, 20, v8
	v_mad_u32_u24 v9, v0, 20, v9
	s_waitcnt vmcnt(2)
	ds_write2_b32 v1, v6, v6 offset1:1
	ds_write2_b32 v1, v6, v6 offset0:2 offset1:3
	s_waitcnt vmcnt(1)
	ds_write2_b32 v3, v7, v7 offset1:1
	ds_write2_b32 v4, v7, v7 offset1:1
	ds_write2st64_b32 v5, v6, v7 offset1:20
	s_waitcnt vmcnt(0)
	ds_write2_b32 v8, v2, v2 offset1:1
	ds_write2_b32 v9, v2, v2 offset1:1
	ds_write_b32 v1, v2 offset:10256
	s_waitcnt lgkmcnt(0)
	s_barrier
.LBB237_10:
	v_mul_u32_u24_e32 v2, 3, v0
	v_mul_lo_u32 v4, v2, 20
	ds_read2_b32 v[2:3], v4 offset1:5
	ds_read_b32 v4, v4 offset:40
	s_cmp_eq_u64 s[2:3], 0
	s_waitcnt lgkmcnt(0)
	s_barrier
	s_cbranch_scc1 .LBB237_15
; %bb.11:
	s_add_u32 s12, s20, s16
	s_addc_u32 s13, s21, s11
	s_add_u32 s12, s12, 0xffffffec
	s_addc_u32 s13, s13, -1
	s_load_dword s12, s[12:13], 0x0
	s_cmp_eq_u64 s[2:3], s[6:7]
	s_cbranch_scc1 .LBB237_16
; %bb.12:
	v_cmp_ne_u32_e32 vcc, 0, v0
	s_waitcnt lgkmcnt(0)
	v_mov_b32_e32 v5, s12
	ds_write2_b32 v1, v4, v4 offset1:1
	ds_write2_b32 v1, v4, v4 offset0:2 offset1:3
	ds_write_b32 v1, v4 offset:16
	s_waitcnt lgkmcnt(0)
	s_barrier
	s_and_saveexec_b64 s[6:7], vcc
	s_cbranch_execz .LBB237_14
; %bb.13:
	v_subrev_u32_e32 v5, 20, v1
	ds_read_b32 v5, v5
.LBB237_14:
	s_or_b64 exec, exec, s[6:7]
	s_waitcnt lgkmcnt(0)
	v_add_u32_e32 v5, v5, v2
	v_mov_b32_e32 v6, v3
	v_mov_b32_e32 v7, v2
	s_branch .LBB237_20
.LBB237_15:
                                        ; implicit-def: $vgpr6
                                        ; implicit-def: $vgpr7
                                        ; implicit-def: $vgpr5
	s_branch .LBB237_21
.LBB237_16:
                                        ; implicit-def: $vgpr5
	v_mov_b32_e32 v6, v3
	v_mov_b32_e32 v7, v2
	s_cbranch_execz .LBB237_20
; %bb.17:
	v_mul_u32_u24_e32 v5, 3, v0
	v_cmp_ne_u32_e32 vcc, 0, v0
	s_waitcnt lgkmcnt(0)
	v_mov_b32_e32 v8, s12
	ds_write2_b32 v1, v4, v4 offset1:1
	ds_write2_b32 v1, v4, v4 offset0:2 offset1:3
	ds_write_b32 v1, v4 offset:16
	s_waitcnt lgkmcnt(0)
	s_barrier
	s_and_saveexec_b64 s[6:7], vcc
	s_cbranch_execz .LBB237_19
; %bb.18:
	v_subrev_u32_e32 v6, 20, v1
	ds_read_b32 v8, v6
.LBB237_19:
	s_or_b64 exec, exec, s[6:7]
	s_mulk_i32 s2, 0xfd00
	s_add_i32 s2, s2, s10
	v_add_u32_e32 v6, 1, v5
	v_add_u32_e32 v9, 2, v5
	v_cmp_gt_u32_e32 vcc, s2, v6
	s_nop 1
	v_cndmask_b32_e32 v7, 0, v2, vcc
	v_cmp_gt_u32_e32 vcc, s2, v9
	s_nop 1
	v_cndmask_b32_e32 v6, 0, v3, vcc
	v_cmp_gt_u32_e32 vcc, s2, v5
	s_waitcnt lgkmcnt(0)
	s_nop 0
	v_cndmask_b32_e32 v5, 0, v8, vcc
	v_add_u32_e32 v5, v5, v2
.LBB237_20:
	s_cbranch_execnz .LBB237_30
.LBB237_21:
	s_cmp_eq_u64 s[4:5], 1
	v_cmp_ne_u32_e32 vcc, 0, v0
	s_cbranch_scc1 .LBB237_25
; %bb.22:
	v_mov_b32_e32 v5, v2
	ds_write2_b32 v1, v4, v4 offset1:1
	ds_write2_b32 v1, v4, v4 offset0:2 offset1:3
	ds_write_b32 v1, v4 offset:16
	s_waitcnt lgkmcnt(0)
	s_barrier
	s_and_saveexec_b64 s[2:3], vcc
	s_cbranch_execz .LBB237_24
; %bb.23:
	v_subrev_u32_e32 v5, 20, v1
	ds_read_b32 v5, v5
	s_waitcnt lgkmcnt(0)
	v_add_u32_e32 v5, v5, v2
.LBB237_24:
	s_or_b64 exec, exec, s[2:3]
	v_mov_b32_e32 v6, v3
	s_cbranch_execz .LBB237_26
	s_branch .LBB237_29
.LBB237_25:
                                        ; implicit-def: $vgpr5
	v_mov_b32_e32 v6, v3
.LBB237_26:
	v_mul_u32_u24_e32 v5, 3, v0
	v_mad_u32_u24 v6, v0, 3, 1
	v_mad_u32_u24 v7, v0, 3, 2
	v_cmp_ne_u32_e64 s[4:5], 0, v0
	v_cmp_gt_u32_e64 s[6:7], s10, v5
	v_cmp_gt_u32_e32 vcc, s10, v7
	v_cmp_gt_u32_e64 s[2:3], s10, v6
	s_and_b64 s[6:7], s[4:5], s[6:7]
	v_mov_b32_e32 v5, v2
	ds_write2_b32 v1, v4, v4 offset1:1
	ds_write2_b32 v1, v4, v4 offset0:2 offset1:3
	ds_write_b32 v1, v4 offset:16
	s_waitcnt lgkmcnt(0)
	s_barrier
	s_and_saveexec_b64 s[4:5], s[6:7]
	s_cbranch_execz .LBB237_28
; %bb.27:
	v_subrev_u32_e32 v1, 20, v1
	ds_read_b32 v1, v1
	s_waitcnt lgkmcnt(0)
	v_add_u32_e32 v5, v1, v2
.LBB237_28:
	s_or_b64 exec, exec, s[4:5]
	v_cndmask_b32_e64 v2, 0, v2, s[2:3]
	v_cndmask_b32_e32 v6, 0, v3, vcc
.LBB237_29:
	v_mov_b32_e32 v7, v2
.LBB237_30:
	s_add_u32 s5, s8, s18
	s_addc_u32 s4, s9, s17
	v_add_u32_e32 v1, v6, v4
	v_add_u32_e32 v4, v7, v3
	s_and_b64 vcc, exec, s[0:1]
	v_mul_u32_u24_e32 v8, 60, v0
	s_waitcnt lgkmcnt(0)
	s_barrier
	s_cbranch_vccz .LBB237_36
; %bb.31:
	v_mul_i32_i24_e32 v9, 0xffffffd8, v0
	v_mad_u32_u24 v2, v0, 60, v9
	ds_write2_b32 v8, v5, v5 offset1:1
	ds_write2_b32 v8, v5, v5 offset0:2 offset1:3
	ds_write_b32 v8, v5 offset:16
	ds_write2_b32 v8, v4, v4 offset0:5 offset1:6
	ds_write2_b32 v8, v4, v4 offset0:7 offset1:8
	;; [unrolled: 1-line block ×5, first 2 shown]
	s_waitcnt lgkmcnt(0)
	s_barrier
	ds_read2st64_b32 v[2:3], v2 offset0:20 offset1:40
	s_add_i32 s19, s19, s10
	s_add_u32 s0, s5, s16
	s_addc_u32 s1, s4, s11
	v_mad_u64_u32 v[6:7], s[0:1], v0, 20, s[0:1]
	v_cmp_gt_u32_e32 vcc, s19, v0
	s_and_saveexec_b64 s[0:1], vcc
	s_cbranch_execz .LBB237_33
; %bb.32:
	v_add_u32_e32 v9, v8, v9
	ds_read_b32 v10, v9
	s_waitcnt lgkmcnt(0)
	v_mov_b32_e32 v11, v10
	v_mov_b32_e32 v12, v10
	;; [unrolled: 1-line block ×3, first 2 shown]
	global_store_dwordx4 v[6:7], v[10:13], off
	global_store_dword v[6:7], v10, off offset:16
.LBB237_33:
	s_or_b64 exec, exec, s[0:1]
	v_or_b32_e32 v9, 0x100, v0
	v_cmp_gt_u32_e32 vcc, s19, v9
	s_and_saveexec_b64 s[0:1], vcc
	s_cbranch_execz .LBB237_35
; %bb.34:
	v_add_co_u32_e32 v14, vcc, 0x1000, v6
	s_waitcnt lgkmcnt(0)
	v_mov_b32_e32 v10, v2
	v_mov_b32_e32 v11, v2
	;; [unrolled: 1-line block ×4, first 2 shown]
	v_addc_co_u32_e32 v15, vcc, 0, v7, vcc
	global_store_dwordx4 v[14:15], v[10:13], off offset:1024
	global_store_dword v[14:15], v2, off offset:1040
.LBB237_35:
	s_or_b64 exec, exec, s[0:1]
	s_waitcnt lgkmcnt(0)
	v_or_b32_e32 v2, 0x200, v0
	v_cmp_gt_u32_e64 s[0:1], s19, v2
	s_branch .LBB237_38
.LBB237_36:
	s_mov_b64 s[0:1], 0
                                        ; implicit-def: $vgpr3
                                        ; implicit-def: $vgpr6_vgpr7
	s_cbranch_execz .LBB237_38
; %bb.37:
	ds_write2_b32 v8, v5, v5 offset1:1
	ds_write2_b32 v8, v5, v5 offset0:2 offset1:3
	ds_write_b32 v8, v5 offset:16
	ds_write2_b32 v8, v4, v4 offset0:5 offset1:6
	ds_write2_b32 v8, v4, v4 offset0:7 offset1:8
	;; [unrolled: 1-line block ×5, first 2 shown]
	v_mul_i32_i24_e32 v1, 0xffffffd8, v0
	v_mad_u32_u24 v1, v0, 60, v1
	s_waitcnt lgkmcnt(0)
	s_barrier
	ds_read2st64_b32 v[8:9], v1 offset1:20
	s_add_u32 s2, s5, s16
	ds_read_b32 v3, v1 offset:10240
	s_addc_u32 s3, s4, s11
	v_mad_u64_u32 v[6:7], s[2:3], v0, 20, s[2:3]
	s_waitcnt lgkmcnt(1)
	v_mov_b32_e32 v10, v8
	v_mov_b32_e32 v11, v8
	;; [unrolled: 1-line block ×4, first 2 shown]
	v_add_co_u32_e32 v0, vcc, 0x1000, v6
	global_store_dwordx4 v[6:7], v[10:13], off
	global_store_dword v[6:7], v8, off offset:16
	v_mov_b32_e32 v8, v9
	v_mov_b32_e32 v10, v9
	;; [unrolled: 1-line block ×3, first 2 shown]
	v_addc_co_u32_e32 v1, vcc, 0, v7, vcc
	s_or_b64 s[0:1], s[0:1], exec
	global_store_dwordx4 v[0:1], v[8:11], off offset:1024
	global_store_dword v[0:1], v9, off offset:1040
.LBB237_38:
	s_and_saveexec_b64 s[2:3], s[0:1]
	s_cbranch_execnz .LBB237_40
; %bb.39:
	s_endpgm
.LBB237_40:
	v_add_co_u32_e32 v0, vcc, 0x2000, v6
	s_waitcnt lgkmcnt(0)
	v_mov_b32_e32 v2, v3
	v_mov_b32_e32 v4, v3
	;; [unrolled: 1-line block ×3, first 2 shown]
	v_addc_co_u32_e32 v1, vcc, 0, v7, vcc
	global_store_dwordx4 v[0:1], v[2:5], off offset:2048
	global_store_dword v[0:1], v3, off offset:2064
	s_endpgm
	.section	.rodata,"a",@progbits
	.p2align	6, 0x0
	.amdhsa_kernel _ZN7rocprim17ROCPRIM_400000_NS6detail17trampoline_kernelINS0_14default_configENS1_35adjacent_difference_config_selectorILb0E14custom_numericEEZNS1_24adjacent_difference_implIS3_Lb0ELb0EPS5_S8_N6thrust23THRUST_200600_302600_NS4plusIS5_EEEE10hipError_tPvRmT2_T3_mT4_P12ihipStream_tbEUlT_E_NS1_11comp_targetILNS1_3genE5ELNS1_11target_archE942ELNS1_3gpuE9ELNS1_3repE0EEENS1_30default_config_static_selectorELNS0_4arch9wavefront6targetE1EEEvT1_
		.amdhsa_group_segment_fixed_size 15360
		.amdhsa_private_segment_fixed_size 0
		.amdhsa_kernarg_size 56
		.amdhsa_user_sgpr_count 2
		.amdhsa_user_sgpr_dispatch_ptr 0
		.amdhsa_user_sgpr_queue_ptr 0
		.amdhsa_user_sgpr_kernarg_segment_ptr 1
		.amdhsa_user_sgpr_dispatch_id 0
		.amdhsa_user_sgpr_kernarg_preload_length 0
		.amdhsa_user_sgpr_kernarg_preload_offset 0
		.amdhsa_user_sgpr_private_segment_size 0
		.amdhsa_uses_dynamic_stack 0
		.amdhsa_enable_private_segment 0
		.amdhsa_system_sgpr_workgroup_id_x 1
		.amdhsa_system_sgpr_workgroup_id_y 0
		.amdhsa_system_sgpr_workgroup_id_z 0
		.amdhsa_system_sgpr_workgroup_info 0
		.amdhsa_system_vgpr_workitem_id 0
		.amdhsa_next_free_vgpr 16
		.amdhsa_next_free_sgpr 26
		.amdhsa_accum_offset 16
		.amdhsa_reserve_vcc 1
		.amdhsa_float_round_mode_32 0
		.amdhsa_float_round_mode_16_64 0
		.amdhsa_float_denorm_mode_32 3
		.amdhsa_float_denorm_mode_16_64 3
		.amdhsa_dx10_clamp 1
		.amdhsa_ieee_mode 1
		.amdhsa_fp16_overflow 0
		.amdhsa_tg_split 0
		.amdhsa_exception_fp_ieee_invalid_op 0
		.amdhsa_exception_fp_denorm_src 0
		.amdhsa_exception_fp_ieee_div_zero 0
		.amdhsa_exception_fp_ieee_overflow 0
		.amdhsa_exception_fp_ieee_underflow 0
		.amdhsa_exception_fp_ieee_inexact 0
		.amdhsa_exception_int_div_zero 0
	.end_amdhsa_kernel
	.section	.text._ZN7rocprim17ROCPRIM_400000_NS6detail17trampoline_kernelINS0_14default_configENS1_35adjacent_difference_config_selectorILb0E14custom_numericEEZNS1_24adjacent_difference_implIS3_Lb0ELb0EPS5_S8_N6thrust23THRUST_200600_302600_NS4plusIS5_EEEE10hipError_tPvRmT2_T3_mT4_P12ihipStream_tbEUlT_E_NS1_11comp_targetILNS1_3genE5ELNS1_11target_archE942ELNS1_3gpuE9ELNS1_3repE0EEENS1_30default_config_static_selectorELNS0_4arch9wavefront6targetE1EEEvT1_,"axG",@progbits,_ZN7rocprim17ROCPRIM_400000_NS6detail17trampoline_kernelINS0_14default_configENS1_35adjacent_difference_config_selectorILb0E14custom_numericEEZNS1_24adjacent_difference_implIS3_Lb0ELb0EPS5_S8_N6thrust23THRUST_200600_302600_NS4plusIS5_EEEE10hipError_tPvRmT2_T3_mT4_P12ihipStream_tbEUlT_E_NS1_11comp_targetILNS1_3genE5ELNS1_11target_archE942ELNS1_3gpuE9ELNS1_3repE0EEENS1_30default_config_static_selectorELNS0_4arch9wavefront6targetE1EEEvT1_,comdat
.Lfunc_end237:
	.size	_ZN7rocprim17ROCPRIM_400000_NS6detail17trampoline_kernelINS0_14default_configENS1_35adjacent_difference_config_selectorILb0E14custom_numericEEZNS1_24adjacent_difference_implIS3_Lb0ELb0EPS5_S8_N6thrust23THRUST_200600_302600_NS4plusIS5_EEEE10hipError_tPvRmT2_T3_mT4_P12ihipStream_tbEUlT_E_NS1_11comp_targetILNS1_3genE5ELNS1_11target_archE942ELNS1_3gpuE9ELNS1_3repE0EEENS1_30default_config_static_selectorELNS0_4arch9wavefront6targetE1EEEvT1_, .Lfunc_end237-_ZN7rocprim17ROCPRIM_400000_NS6detail17trampoline_kernelINS0_14default_configENS1_35adjacent_difference_config_selectorILb0E14custom_numericEEZNS1_24adjacent_difference_implIS3_Lb0ELb0EPS5_S8_N6thrust23THRUST_200600_302600_NS4plusIS5_EEEE10hipError_tPvRmT2_T3_mT4_P12ihipStream_tbEUlT_E_NS1_11comp_targetILNS1_3genE5ELNS1_11target_archE942ELNS1_3gpuE9ELNS1_3repE0EEENS1_30default_config_static_selectorELNS0_4arch9wavefront6targetE1EEEvT1_
                                        ; -- End function
	.section	.AMDGPU.csdata,"",@progbits
; Kernel info:
; codeLenInByte = 2080
; NumSgprs: 32
; NumVgprs: 16
; NumAgprs: 0
; TotalNumVgprs: 16
; ScratchSize: 0
; MemoryBound: 0
; FloatMode: 240
; IeeeMode: 1
; LDSByteSize: 15360 bytes/workgroup (compile time only)
; SGPRBlocks: 3
; VGPRBlocks: 1
; NumSGPRsForWavesPerEU: 32
; NumVGPRsForWavesPerEU: 16
; AccumOffset: 16
; Occupancy: 4
; WaveLimiterHint : 1
; COMPUTE_PGM_RSRC2:SCRATCH_EN: 0
; COMPUTE_PGM_RSRC2:USER_SGPR: 2
; COMPUTE_PGM_RSRC2:TRAP_HANDLER: 0
; COMPUTE_PGM_RSRC2:TGID_X_EN: 1
; COMPUTE_PGM_RSRC2:TGID_Y_EN: 0
; COMPUTE_PGM_RSRC2:TGID_Z_EN: 0
; COMPUTE_PGM_RSRC2:TIDIG_COMP_CNT: 0
; COMPUTE_PGM_RSRC3_GFX90A:ACCUM_OFFSET: 3
; COMPUTE_PGM_RSRC3_GFX90A:TG_SPLIT: 0
	.section	.text._ZN7rocprim17ROCPRIM_400000_NS6detail17trampoline_kernelINS0_14default_configENS1_35adjacent_difference_config_selectorILb0E14custom_numericEEZNS1_24adjacent_difference_implIS3_Lb0ELb0EPS5_S8_N6thrust23THRUST_200600_302600_NS4plusIS5_EEEE10hipError_tPvRmT2_T3_mT4_P12ihipStream_tbEUlT_E_NS1_11comp_targetILNS1_3genE4ELNS1_11target_archE910ELNS1_3gpuE8ELNS1_3repE0EEENS1_30default_config_static_selectorELNS0_4arch9wavefront6targetE1EEEvT1_,"axG",@progbits,_ZN7rocprim17ROCPRIM_400000_NS6detail17trampoline_kernelINS0_14default_configENS1_35adjacent_difference_config_selectorILb0E14custom_numericEEZNS1_24adjacent_difference_implIS3_Lb0ELb0EPS5_S8_N6thrust23THRUST_200600_302600_NS4plusIS5_EEEE10hipError_tPvRmT2_T3_mT4_P12ihipStream_tbEUlT_E_NS1_11comp_targetILNS1_3genE4ELNS1_11target_archE910ELNS1_3gpuE8ELNS1_3repE0EEENS1_30default_config_static_selectorELNS0_4arch9wavefront6targetE1EEEvT1_,comdat
	.protected	_ZN7rocprim17ROCPRIM_400000_NS6detail17trampoline_kernelINS0_14default_configENS1_35adjacent_difference_config_selectorILb0E14custom_numericEEZNS1_24adjacent_difference_implIS3_Lb0ELb0EPS5_S8_N6thrust23THRUST_200600_302600_NS4plusIS5_EEEE10hipError_tPvRmT2_T3_mT4_P12ihipStream_tbEUlT_E_NS1_11comp_targetILNS1_3genE4ELNS1_11target_archE910ELNS1_3gpuE8ELNS1_3repE0EEENS1_30default_config_static_selectorELNS0_4arch9wavefront6targetE1EEEvT1_ ; -- Begin function _ZN7rocprim17ROCPRIM_400000_NS6detail17trampoline_kernelINS0_14default_configENS1_35adjacent_difference_config_selectorILb0E14custom_numericEEZNS1_24adjacent_difference_implIS3_Lb0ELb0EPS5_S8_N6thrust23THRUST_200600_302600_NS4plusIS5_EEEE10hipError_tPvRmT2_T3_mT4_P12ihipStream_tbEUlT_E_NS1_11comp_targetILNS1_3genE4ELNS1_11target_archE910ELNS1_3gpuE8ELNS1_3repE0EEENS1_30default_config_static_selectorELNS0_4arch9wavefront6targetE1EEEvT1_
	.globl	_ZN7rocprim17ROCPRIM_400000_NS6detail17trampoline_kernelINS0_14default_configENS1_35adjacent_difference_config_selectorILb0E14custom_numericEEZNS1_24adjacent_difference_implIS3_Lb0ELb0EPS5_S8_N6thrust23THRUST_200600_302600_NS4plusIS5_EEEE10hipError_tPvRmT2_T3_mT4_P12ihipStream_tbEUlT_E_NS1_11comp_targetILNS1_3genE4ELNS1_11target_archE910ELNS1_3gpuE8ELNS1_3repE0EEENS1_30default_config_static_selectorELNS0_4arch9wavefront6targetE1EEEvT1_
	.p2align	8
	.type	_ZN7rocprim17ROCPRIM_400000_NS6detail17trampoline_kernelINS0_14default_configENS1_35adjacent_difference_config_selectorILb0E14custom_numericEEZNS1_24adjacent_difference_implIS3_Lb0ELb0EPS5_S8_N6thrust23THRUST_200600_302600_NS4plusIS5_EEEE10hipError_tPvRmT2_T3_mT4_P12ihipStream_tbEUlT_E_NS1_11comp_targetILNS1_3genE4ELNS1_11target_archE910ELNS1_3gpuE8ELNS1_3repE0EEENS1_30default_config_static_selectorELNS0_4arch9wavefront6targetE1EEEvT1_,@function
_ZN7rocprim17ROCPRIM_400000_NS6detail17trampoline_kernelINS0_14default_configENS1_35adjacent_difference_config_selectorILb0E14custom_numericEEZNS1_24adjacent_difference_implIS3_Lb0ELb0EPS5_S8_N6thrust23THRUST_200600_302600_NS4plusIS5_EEEE10hipError_tPvRmT2_T3_mT4_P12ihipStream_tbEUlT_E_NS1_11comp_targetILNS1_3genE4ELNS1_11target_archE910ELNS1_3gpuE8ELNS1_3repE0EEENS1_30default_config_static_selectorELNS0_4arch9wavefront6targetE1EEEvT1_: ; @_ZN7rocprim17ROCPRIM_400000_NS6detail17trampoline_kernelINS0_14default_configENS1_35adjacent_difference_config_selectorILb0E14custom_numericEEZNS1_24adjacent_difference_implIS3_Lb0ELb0EPS5_S8_N6thrust23THRUST_200600_302600_NS4plusIS5_EEEE10hipError_tPvRmT2_T3_mT4_P12ihipStream_tbEUlT_E_NS1_11comp_targetILNS1_3genE4ELNS1_11target_archE910ELNS1_3gpuE8ELNS1_3repE0EEENS1_30default_config_static_selectorELNS0_4arch9wavefront6targetE1EEEvT1_
; %bb.0:
	.section	.rodata,"a",@progbits
	.p2align	6, 0x0
	.amdhsa_kernel _ZN7rocprim17ROCPRIM_400000_NS6detail17trampoline_kernelINS0_14default_configENS1_35adjacent_difference_config_selectorILb0E14custom_numericEEZNS1_24adjacent_difference_implIS3_Lb0ELb0EPS5_S8_N6thrust23THRUST_200600_302600_NS4plusIS5_EEEE10hipError_tPvRmT2_T3_mT4_P12ihipStream_tbEUlT_E_NS1_11comp_targetILNS1_3genE4ELNS1_11target_archE910ELNS1_3gpuE8ELNS1_3repE0EEENS1_30default_config_static_selectorELNS0_4arch9wavefront6targetE1EEEvT1_
		.amdhsa_group_segment_fixed_size 0
		.amdhsa_private_segment_fixed_size 0
		.amdhsa_kernarg_size 56
		.amdhsa_user_sgpr_count 2
		.amdhsa_user_sgpr_dispatch_ptr 0
		.amdhsa_user_sgpr_queue_ptr 0
		.amdhsa_user_sgpr_kernarg_segment_ptr 1
		.amdhsa_user_sgpr_dispatch_id 0
		.amdhsa_user_sgpr_kernarg_preload_length 0
		.amdhsa_user_sgpr_kernarg_preload_offset 0
		.amdhsa_user_sgpr_private_segment_size 0
		.amdhsa_uses_dynamic_stack 0
		.amdhsa_enable_private_segment 0
		.amdhsa_system_sgpr_workgroup_id_x 1
		.amdhsa_system_sgpr_workgroup_id_y 0
		.amdhsa_system_sgpr_workgroup_id_z 0
		.amdhsa_system_sgpr_workgroup_info 0
		.amdhsa_system_vgpr_workitem_id 0
		.amdhsa_next_free_vgpr 1
		.amdhsa_next_free_sgpr 0
		.amdhsa_accum_offset 4
		.amdhsa_reserve_vcc 0
		.amdhsa_float_round_mode_32 0
		.amdhsa_float_round_mode_16_64 0
		.amdhsa_float_denorm_mode_32 3
		.amdhsa_float_denorm_mode_16_64 3
		.amdhsa_dx10_clamp 1
		.amdhsa_ieee_mode 1
		.amdhsa_fp16_overflow 0
		.amdhsa_tg_split 0
		.amdhsa_exception_fp_ieee_invalid_op 0
		.amdhsa_exception_fp_denorm_src 0
		.amdhsa_exception_fp_ieee_div_zero 0
		.amdhsa_exception_fp_ieee_overflow 0
		.amdhsa_exception_fp_ieee_underflow 0
		.amdhsa_exception_fp_ieee_inexact 0
		.amdhsa_exception_int_div_zero 0
	.end_amdhsa_kernel
	.section	.text._ZN7rocprim17ROCPRIM_400000_NS6detail17trampoline_kernelINS0_14default_configENS1_35adjacent_difference_config_selectorILb0E14custom_numericEEZNS1_24adjacent_difference_implIS3_Lb0ELb0EPS5_S8_N6thrust23THRUST_200600_302600_NS4plusIS5_EEEE10hipError_tPvRmT2_T3_mT4_P12ihipStream_tbEUlT_E_NS1_11comp_targetILNS1_3genE4ELNS1_11target_archE910ELNS1_3gpuE8ELNS1_3repE0EEENS1_30default_config_static_selectorELNS0_4arch9wavefront6targetE1EEEvT1_,"axG",@progbits,_ZN7rocprim17ROCPRIM_400000_NS6detail17trampoline_kernelINS0_14default_configENS1_35adjacent_difference_config_selectorILb0E14custom_numericEEZNS1_24adjacent_difference_implIS3_Lb0ELb0EPS5_S8_N6thrust23THRUST_200600_302600_NS4plusIS5_EEEE10hipError_tPvRmT2_T3_mT4_P12ihipStream_tbEUlT_E_NS1_11comp_targetILNS1_3genE4ELNS1_11target_archE910ELNS1_3gpuE8ELNS1_3repE0EEENS1_30default_config_static_selectorELNS0_4arch9wavefront6targetE1EEEvT1_,comdat
.Lfunc_end238:
	.size	_ZN7rocprim17ROCPRIM_400000_NS6detail17trampoline_kernelINS0_14default_configENS1_35adjacent_difference_config_selectorILb0E14custom_numericEEZNS1_24adjacent_difference_implIS3_Lb0ELb0EPS5_S8_N6thrust23THRUST_200600_302600_NS4plusIS5_EEEE10hipError_tPvRmT2_T3_mT4_P12ihipStream_tbEUlT_E_NS1_11comp_targetILNS1_3genE4ELNS1_11target_archE910ELNS1_3gpuE8ELNS1_3repE0EEENS1_30default_config_static_selectorELNS0_4arch9wavefront6targetE1EEEvT1_, .Lfunc_end238-_ZN7rocprim17ROCPRIM_400000_NS6detail17trampoline_kernelINS0_14default_configENS1_35adjacent_difference_config_selectorILb0E14custom_numericEEZNS1_24adjacent_difference_implIS3_Lb0ELb0EPS5_S8_N6thrust23THRUST_200600_302600_NS4plusIS5_EEEE10hipError_tPvRmT2_T3_mT4_P12ihipStream_tbEUlT_E_NS1_11comp_targetILNS1_3genE4ELNS1_11target_archE910ELNS1_3gpuE8ELNS1_3repE0EEENS1_30default_config_static_selectorELNS0_4arch9wavefront6targetE1EEEvT1_
                                        ; -- End function
	.section	.AMDGPU.csdata,"",@progbits
; Kernel info:
; codeLenInByte = 0
; NumSgprs: 6
; NumVgprs: 0
; NumAgprs: 0
; TotalNumVgprs: 0
; ScratchSize: 0
; MemoryBound: 0
; FloatMode: 240
; IeeeMode: 1
; LDSByteSize: 0 bytes/workgroup (compile time only)
; SGPRBlocks: 0
; VGPRBlocks: 0
; NumSGPRsForWavesPerEU: 6
; NumVGPRsForWavesPerEU: 1
; AccumOffset: 4
; Occupancy: 8
; WaveLimiterHint : 0
; COMPUTE_PGM_RSRC2:SCRATCH_EN: 0
; COMPUTE_PGM_RSRC2:USER_SGPR: 2
; COMPUTE_PGM_RSRC2:TRAP_HANDLER: 0
; COMPUTE_PGM_RSRC2:TGID_X_EN: 1
; COMPUTE_PGM_RSRC2:TGID_Y_EN: 0
; COMPUTE_PGM_RSRC2:TGID_Z_EN: 0
; COMPUTE_PGM_RSRC2:TIDIG_COMP_CNT: 0
; COMPUTE_PGM_RSRC3_GFX90A:ACCUM_OFFSET: 0
; COMPUTE_PGM_RSRC3_GFX90A:TG_SPLIT: 0
	.section	.text._ZN7rocprim17ROCPRIM_400000_NS6detail17trampoline_kernelINS0_14default_configENS1_35adjacent_difference_config_selectorILb0E14custom_numericEEZNS1_24adjacent_difference_implIS3_Lb0ELb0EPS5_S8_N6thrust23THRUST_200600_302600_NS4plusIS5_EEEE10hipError_tPvRmT2_T3_mT4_P12ihipStream_tbEUlT_E_NS1_11comp_targetILNS1_3genE3ELNS1_11target_archE908ELNS1_3gpuE7ELNS1_3repE0EEENS1_30default_config_static_selectorELNS0_4arch9wavefront6targetE1EEEvT1_,"axG",@progbits,_ZN7rocprim17ROCPRIM_400000_NS6detail17trampoline_kernelINS0_14default_configENS1_35adjacent_difference_config_selectorILb0E14custom_numericEEZNS1_24adjacent_difference_implIS3_Lb0ELb0EPS5_S8_N6thrust23THRUST_200600_302600_NS4plusIS5_EEEE10hipError_tPvRmT2_T3_mT4_P12ihipStream_tbEUlT_E_NS1_11comp_targetILNS1_3genE3ELNS1_11target_archE908ELNS1_3gpuE7ELNS1_3repE0EEENS1_30default_config_static_selectorELNS0_4arch9wavefront6targetE1EEEvT1_,comdat
	.protected	_ZN7rocprim17ROCPRIM_400000_NS6detail17trampoline_kernelINS0_14default_configENS1_35adjacent_difference_config_selectorILb0E14custom_numericEEZNS1_24adjacent_difference_implIS3_Lb0ELb0EPS5_S8_N6thrust23THRUST_200600_302600_NS4plusIS5_EEEE10hipError_tPvRmT2_T3_mT4_P12ihipStream_tbEUlT_E_NS1_11comp_targetILNS1_3genE3ELNS1_11target_archE908ELNS1_3gpuE7ELNS1_3repE0EEENS1_30default_config_static_selectorELNS0_4arch9wavefront6targetE1EEEvT1_ ; -- Begin function _ZN7rocprim17ROCPRIM_400000_NS6detail17trampoline_kernelINS0_14default_configENS1_35adjacent_difference_config_selectorILb0E14custom_numericEEZNS1_24adjacent_difference_implIS3_Lb0ELb0EPS5_S8_N6thrust23THRUST_200600_302600_NS4plusIS5_EEEE10hipError_tPvRmT2_T3_mT4_P12ihipStream_tbEUlT_E_NS1_11comp_targetILNS1_3genE3ELNS1_11target_archE908ELNS1_3gpuE7ELNS1_3repE0EEENS1_30default_config_static_selectorELNS0_4arch9wavefront6targetE1EEEvT1_
	.globl	_ZN7rocprim17ROCPRIM_400000_NS6detail17trampoline_kernelINS0_14default_configENS1_35adjacent_difference_config_selectorILb0E14custom_numericEEZNS1_24adjacent_difference_implIS3_Lb0ELb0EPS5_S8_N6thrust23THRUST_200600_302600_NS4plusIS5_EEEE10hipError_tPvRmT2_T3_mT4_P12ihipStream_tbEUlT_E_NS1_11comp_targetILNS1_3genE3ELNS1_11target_archE908ELNS1_3gpuE7ELNS1_3repE0EEENS1_30default_config_static_selectorELNS0_4arch9wavefront6targetE1EEEvT1_
	.p2align	8
	.type	_ZN7rocprim17ROCPRIM_400000_NS6detail17trampoline_kernelINS0_14default_configENS1_35adjacent_difference_config_selectorILb0E14custom_numericEEZNS1_24adjacent_difference_implIS3_Lb0ELb0EPS5_S8_N6thrust23THRUST_200600_302600_NS4plusIS5_EEEE10hipError_tPvRmT2_T3_mT4_P12ihipStream_tbEUlT_E_NS1_11comp_targetILNS1_3genE3ELNS1_11target_archE908ELNS1_3gpuE7ELNS1_3repE0EEENS1_30default_config_static_selectorELNS0_4arch9wavefront6targetE1EEEvT1_,@function
_ZN7rocprim17ROCPRIM_400000_NS6detail17trampoline_kernelINS0_14default_configENS1_35adjacent_difference_config_selectorILb0E14custom_numericEEZNS1_24adjacent_difference_implIS3_Lb0ELb0EPS5_S8_N6thrust23THRUST_200600_302600_NS4plusIS5_EEEE10hipError_tPvRmT2_T3_mT4_P12ihipStream_tbEUlT_E_NS1_11comp_targetILNS1_3genE3ELNS1_11target_archE908ELNS1_3gpuE7ELNS1_3repE0EEENS1_30default_config_static_selectorELNS0_4arch9wavefront6targetE1EEEvT1_: ; @_ZN7rocprim17ROCPRIM_400000_NS6detail17trampoline_kernelINS0_14default_configENS1_35adjacent_difference_config_selectorILb0E14custom_numericEEZNS1_24adjacent_difference_implIS3_Lb0ELb0EPS5_S8_N6thrust23THRUST_200600_302600_NS4plusIS5_EEEE10hipError_tPvRmT2_T3_mT4_P12ihipStream_tbEUlT_E_NS1_11comp_targetILNS1_3genE3ELNS1_11target_archE908ELNS1_3gpuE7ELNS1_3repE0EEENS1_30default_config_static_selectorELNS0_4arch9wavefront6targetE1EEEvT1_
; %bb.0:
	.section	.rodata,"a",@progbits
	.p2align	6, 0x0
	.amdhsa_kernel _ZN7rocprim17ROCPRIM_400000_NS6detail17trampoline_kernelINS0_14default_configENS1_35adjacent_difference_config_selectorILb0E14custom_numericEEZNS1_24adjacent_difference_implIS3_Lb0ELb0EPS5_S8_N6thrust23THRUST_200600_302600_NS4plusIS5_EEEE10hipError_tPvRmT2_T3_mT4_P12ihipStream_tbEUlT_E_NS1_11comp_targetILNS1_3genE3ELNS1_11target_archE908ELNS1_3gpuE7ELNS1_3repE0EEENS1_30default_config_static_selectorELNS0_4arch9wavefront6targetE1EEEvT1_
		.amdhsa_group_segment_fixed_size 0
		.amdhsa_private_segment_fixed_size 0
		.amdhsa_kernarg_size 56
		.amdhsa_user_sgpr_count 2
		.amdhsa_user_sgpr_dispatch_ptr 0
		.amdhsa_user_sgpr_queue_ptr 0
		.amdhsa_user_sgpr_kernarg_segment_ptr 1
		.amdhsa_user_sgpr_dispatch_id 0
		.amdhsa_user_sgpr_kernarg_preload_length 0
		.amdhsa_user_sgpr_kernarg_preload_offset 0
		.amdhsa_user_sgpr_private_segment_size 0
		.amdhsa_uses_dynamic_stack 0
		.amdhsa_enable_private_segment 0
		.amdhsa_system_sgpr_workgroup_id_x 1
		.amdhsa_system_sgpr_workgroup_id_y 0
		.amdhsa_system_sgpr_workgroup_id_z 0
		.amdhsa_system_sgpr_workgroup_info 0
		.amdhsa_system_vgpr_workitem_id 0
		.amdhsa_next_free_vgpr 1
		.amdhsa_next_free_sgpr 0
		.amdhsa_accum_offset 4
		.amdhsa_reserve_vcc 0
		.amdhsa_float_round_mode_32 0
		.amdhsa_float_round_mode_16_64 0
		.amdhsa_float_denorm_mode_32 3
		.amdhsa_float_denorm_mode_16_64 3
		.amdhsa_dx10_clamp 1
		.amdhsa_ieee_mode 1
		.amdhsa_fp16_overflow 0
		.amdhsa_tg_split 0
		.amdhsa_exception_fp_ieee_invalid_op 0
		.amdhsa_exception_fp_denorm_src 0
		.amdhsa_exception_fp_ieee_div_zero 0
		.amdhsa_exception_fp_ieee_overflow 0
		.amdhsa_exception_fp_ieee_underflow 0
		.amdhsa_exception_fp_ieee_inexact 0
		.amdhsa_exception_int_div_zero 0
	.end_amdhsa_kernel
	.section	.text._ZN7rocprim17ROCPRIM_400000_NS6detail17trampoline_kernelINS0_14default_configENS1_35adjacent_difference_config_selectorILb0E14custom_numericEEZNS1_24adjacent_difference_implIS3_Lb0ELb0EPS5_S8_N6thrust23THRUST_200600_302600_NS4plusIS5_EEEE10hipError_tPvRmT2_T3_mT4_P12ihipStream_tbEUlT_E_NS1_11comp_targetILNS1_3genE3ELNS1_11target_archE908ELNS1_3gpuE7ELNS1_3repE0EEENS1_30default_config_static_selectorELNS0_4arch9wavefront6targetE1EEEvT1_,"axG",@progbits,_ZN7rocprim17ROCPRIM_400000_NS6detail17trampoline_kernelINS0_14default_configENS1_35adjacent_difference_config_selectorILb0E14custom_numericEEZNS1_24adjacent_difference_implIS3_Lb0ELb0EPS5_S8_N6thrust23THRUST_200600_302600_NS4plusIS5_EEEE10hipError_tPvRmT2_T3_mT4_P12ihipStream_tbEUlT_E_NS1_11comp_targetILNS1_3genE3ELNS1_11target_archE908ELNS1_3gpuE7ELNS1_3repE0EEENS1_30default_config_static_selectorELNS0_4arch9wavefront6targetE1EEEvT1_,comdat
.Lfunc_end239:
	.size	_ZN7rocprim17ROCPRIM_400000_NS6detail17trampoline_kernelINS0_14default_configENS1_35adjacent_difference_config_selectorILb0E14custom_numericEEZNS1_24adjacent_difference_implIS3_Lb0ELb0EPS5_S8_N6thrust23THRUST_200600_302600_NS4plusIS5_EEEE10hipError_tPvRmT2_T3_mT4_P12ihipStream_tbEUlT_E_NS1_11comp_targetILNS1_3genE3ELNS1_11target_archE908ELNS1_3gpuE7ELNS1_3repE0EEENS1_30default_config_static_selectorELNS0_4arch9wavefront6targetE1EEEvT1_, .Lfunc_end239-_ZN7rocprim17ROCPRIM_400000_NS6detail17trampoline_kernelINS0_14default_configENS1_35adjacent_difference_config_selectorILb0E14custom_numericEEZNS1_24adjacent_difference_implIS3_Lb0ELb0EPS5_S8_N6thrust23THRUST_200600_302600_NS4plusIS5_EEEE10hipError_tPvRmT2_T3_mT4_P12ihipStream_tbEUlT_E_NS1_11comp_targetILNS1_3genE3ELNS1_11target_archE908ELNS1_3gpuE7ELNS1_3repE0EEENS1_30default_config_static_selectorELNS0_4arch9wavefront6targetE1EEEvT1_
                                        ; -- End function
	.section	.AMDGPU.csdata,"",@progbits
; Kernel info:
; codeLenInByte = 0
; NumSgprs: 6
; NumVgprs: 0
; NumAgprs: 0
; TotalNumVgprs: 0
; ScratchSize: 0
; MemoryBound: 0
; FloatMode: 240
; IeeeMode: 1
; LDSByteSize: 0 bytes/workgroup (compile time only)
; SGPRBlocks: 0
; VGPRBlocks: 0
; NumSGPRsForWavesPerEU: 6
; NumVGPRsForWavesPerEU: 1
; AccumOffset: 4
; Occupancy: 8
; WaveLimiterHint : 0
; COMPUTE_PGM_RSRC2:SCRATCH_EN: 0
; COMPUTE_PGM_RSRC2:USER_SGPR: 2
; COMPUTE_PGM_RSRC2:TRAP_HANDLER: 0
; COMPUTE_PGM_RSRC2:TGID_X_EN: 1
; COMPUTE_PGM_RSRC2:TGID_Y_EN: 0
; COMPUTE_PGM_RSRC2:TGID_Z_EN: 0
; COMPUTE_PGM_RSRC2:TIDIG_COMP_CNT: 0
; COMPUTE_PGM_RSRC3_GFX90A:ACCUM_OFFSET: 0
; COMPUTE_PGM_RSRC3_GFX90A:TG_SPLIT: 0
	.section	.text._ZN7rocprim17ROCPRIM_400000_NS6detail17trampoline_kernelINS0_14default_configENS1_35adjacent_difference_config_selectorILb0E14custom_numericEEZNS1_24adjacent_difference_implIS3_Lb0ELb0EPS5_S8_N6thrust23THRUST_200600_302600_NS4plusIS5_EEEE10hipError_tPvRmT2_T3_mT4_P12ihipStream_tbEUlT_E_NS1_11comp_targetILNS1_3genE2ELNS1_11target_archE906ELNS1_3gpuE6ELNS1_3repE0EEENS1_30default_config_static_selectorELNS0_4arch9wavefront6targetE1EEEvT1_,"axG",@progbits,_ZN7rocprim17ROCPRIM_400000_NS6detail17trampoline_kernelINS0_14default_configENS1_35adjacent_difference_config_selectorILb0E14custom_numericEEZNS1_24adjacent_difference_implIS3_Lb0ELb0EPS5_S8_N6thrust23THRUST_200600_302600_NS4plusIS5_EEEE10hipError_tPvRmT2_T3_mT4_P12ihipStream_tbEUlT_E_NS1_11comp_targetILNS1_3genE2ELNS1_11target_archE906ELNS1_3gpuE6ELNS1_3repE0EEENS1_30default_config_static_selectorELNS0_4arch9wavefront6targetE1EEEvT1_,comdat
	.protected	_ZN7rocprim17ROCPRIM_400000_NS6detail17trampoline_kernelINS0_14default_configENS1_35adjacent_difference_config_selectorILb0E14custom_numericEEZNS1_24adjacent_difference_implIS3_Lb0ELb0EPS5_S8_N6thrust23THRUST_200600_302600_NS4plusIS5_EEEE10hipError_tPvRmT2_T3_mT4_P12ihipStream_tbEUlT_E_NS1_11comp_targetILNS1_3genE2ELNS1_11target_archE906ELNS1_3gpuE6ELNS1_3repE0EEENS1_30default_config_static_selectorELNS0_4arch9wavefront6targetE1EEEvT1_ ; -- Begin function _ZN7rocprim17ROCPRIM_400000_NS6detail17trampoline_kernelINS0_14default_configENS1_35adjacent_difference_config_selectorILb0E14custom_numericEEZNS1_24adjacent_difference_implIS3_Lb0ELb0EPS5_S8_N6thrust23THRUST_200600_302600_NS4plusIS5_EEEE10hipError_tPvRmT2_T3_mT4_P12ihipStream_tbEUlT_E_NS1_11comp_targetILNS1_3genE2ELNS1_11target_archE906ELNS1_3gpuE6ELNS1_3repE0EEENS1_30default_config_static_selectorELNS0_4arch9wavefront6targetE1EEEvT1_
	.globl	_ZN7rocprim17ROCPRIM_400000_NS6detail17trampoline_kernelINS0_14default_configENS1_35adjacent_difference_config_selectorILb0E14custom_numericEEZNS1_24adjacent_difference_implIS3_Lb0ELb0EPS5_S8_N6thrust23THRUST_200600_302600_NS4plusIS5_EEEE10hipError_tPvRmT2_T3_mT4_P12ihipStream_tbEUlT_E_NS1_11comp_targetILNS1_3genE2ELNS1_11target_archE906ELNS1_3gpuE6ELNS1_3repE0EEENS1_30default_config_static_selectorELNS0_4arch9wavefront6targetE1EEEvT1_
	.p2align	8
	.type	_ZN7rocprim17ROCPRIM_400000_NS6detail17trampoline_kernelINS0_14default_configENS1_35adjacent_difference_config_selectorILb0E14custom_numericEEZNS1_24adjacent_difference_implIS3_Lb0ELb0EPS5_S8_N6thrust23THRUST_200600_302600_NS4plusIS5_EEEE10hipError_tPvRmT2_T3_mT4_P12ihipStream_tbEUlT_E_NS1_11comp_targetILNS1_3genE2ELNS1_11target_archE906ELNS1_3gpuE6ELNS1_3repE0EEENS1_30default_config_static_selectorELNS0_4arch9wavefront6targetE1EEEvT1_,@function
_ZN7rocprim17ROCPRIM_400000_NS6detail17trampoline_kernelINS0_14default_configENS1_35adjacent_difference_config_selectorILb0E14custom_numericEEZNS1_24adjacent_difference_implIS3_Lb0ELb0EPS5_S8_N6thrust23THRUST_200600_302600_NS4plusIS5_EEEE10hipError_tPvRmT2_T3_mT4_P12ihipStream_tbEUlT_E_NS1_11comp_targetILNS1_3genE2ELNS1_11target_archE906ELNS1_3gpuE6ELNS1_3repE0EEENS1_30default_config_static_selectorELNS0_4arch9wavefront6targetE1EEEvT1_: ; @_ZN7rocprim17ROCPRIM_400000_NS6detail17trampoline_kernelINS0_14default_configENS1_35adjacent_difference_config_selectorILb0E14custom_numericEEZNS1_24adjacent_difference_implIS3_Lb0ELb0EPS5_S8_N6thrust23THRUST_200600_302600_NS4plusIS5_EEEE10hipError_tPvRmT2_T3_mT4_P12ihipStream_tbEUlT_E_NS1_11comp_targetILNS1_3genE2ELNS1_11target_archE906ELNS1_3gpuE6ELNS1_3repE0EEENS1_30default_config_static_selectorELNS0_4arch9wavefront6targetE1EEEvT1_
; %bb.0:
	.section	.rodata,"a",@progbits
	.p2align	6, 0x0
	.amdhsa_kernel _ZN7rocprim17ROCPRIM_400000_NS6detail17trampoline_kernelINS0_14default_configENS1_35adjacent_difference_config_selectorILb0E14custom_numericEEZNS1_24adjacent_difference_implIS3_Lb0ELb0EPS5_S8_N6thrust23THRUST_200600_302600_NS4plusIS5_EEEE10hipError_tPvRmT2_T3_mT4_P12ihipStream_tbEUlT_E_NS1_11comp_targetILNS1_3genE2ELNS1_11target_archE906ELNS1_3gpuE6ELNS1_3repE0EEENS1_30default_config_static_selectorELNS0_4arch9wavefront6targetE1EEEvT1_
		.amdhsa_group_segment_fixed_size 0
		.amdhsa_private_segment_fixed_size 0
		.amdhsa_kernarg_size 56
		.amdhsa_user_sgpr_count 2
		.amdhsa_user_sgpr_dispatch_ptr 0
		.amdhsa_user_sgpr_queue_ptr 0
		.amdhsa_user_sgpr_kernarg_segment_ptr 1
		.amdhsa_user_sgpr_dispatch_id 0
		.amdhsa_user_sgpr_kernarg_preload_length 0
		.amdhsa_user_sgpr_kernarg_preload_offset 0
		.amdhsa_user_sgpr_private_segment_size 0
		.amdhsa_uses_dynamic_stack 0
		.amdhsa_enable_private_segment 0
		.amdhsa_system_sgpr_workgroup_id_x 1
		.amdhsa_system_sgpr_workgroup_id_y 0
		.amdhsa_system_sgpr_workgroup_id_z 0
		.amdhsa_system_sgpr_workgroup_info 0
		.amdhsa_system_vgpr_workitem_id 0
		.amdhsa_next_free_vgpr 1
		.amdhsa_next_free_sgpr 0
		.amdhsa_accum_offset 4
		.amdhsa_reserve_vcc 0
		.amdhsa_float_round_mode_32 0
		.amdhsa_float_round_mode_16_64 0
		.amdhsa_float_denorm_mode_32 3
		.amdhsa_float_denorm_mode_16_64 3
		.amdhsa_dx10_clamp 1
		.amdhsa_ieee_mode 1
		.amdhsa_fp16_overflow 0
		.amdhsa_tg_split 0
		.amdhsa_exception_fp_ieee_invalid_op 0
		.amdhsa_exception_fp_denorm_src 0
		.amdhsa_exception_fp_ieee_div_zero 0
		.amdhsa_exception_fp_ieee_overflow 0
		.amdhsa_exception_fp_ieee_underflow 0
		.amdhsa_exception_fp_ieee_inexact 0
		.amdhsa_exception_int_div_zero 0
	.end_amdhsa_kernel
	.section	.text._ZN7rocprim17ROCPRIM_400000_NS6detail17trampoline_kernelINS0_14default_configENS1_35adjacent_difference_config_selectorILb0E14custom_numericEEZNS1_24adjacent_difference_implIS3_Lb0ELb0EPS5_S8_N6thrust23THRUST_200600_302600_NS4plusIS5_EEEE10hipError_tPvRmT2_T3_mT4_P12ihipStream_tbEUlT_E_NS1_11comp_targetILNS1_3genE2ELNS1_11target_archE906ELNS1_3gpuE6ELNS1_3repE0EEENS1_30default_config_static_selectorELNS0_4arch9wavefront6targetE1EEEvT1_,"axG",@progbits,_ZN7rocprim17ROCPRIM_400000_NS6detail17trampoline_kernelINS0_14default_configENS1_35adjacent_difference_config_selectorILb0E14custom_numericEEZNS1_24adjacent_difference_implIS3_Lb0ELb0EPS5_S8_N6thrust23THRUST_200600_302600_NS4plusIS5_EEEE10hipError_tPvRmT2_T3_mT4_P12ihipStream_tbEUlT_E_NS1_11comp_targetILNS1_3genE2ELNS1_11target_archE906ELNS1_3gpuE6ELNS1_3repE0EEENS1_30default_config_static_selectorELNS0_4arch9wavefront6targetE1EEEvT1_,comdat
.Lfunc_end240:
	.size	_ZN7rocprim17ROCPRIM_400000_NS6detail17trampoline_kernelINS0_14default_configENS1_35adjacent_difference_config_selectorILb0E14custom_numericEEZNS1_24adjacent_difference_implIS3_Lb0ELb0EPS5_S8_N6thrust23THRUST_200600_302600_NS4plusIS5_EEEE10hipError_tPvRmT2_T3_mT4_P12ihipStream_tbEUlT_E_NS1_11comp_targetILNS1_3genE2ELNS1_11target_archE906ELNS1_3gpuE6ELNS1_3repE0EEENS1_30default_config_static_selectorELNS0_4arch9wavefront6targetE1EEEvT1_, .Lfunc_end240-_ZN7rocprim17ROCPRIM_400000_NS6detail17trampoline_kernelINS0_14default_configENS1_35adjacent_difference_config_selectorILb0E14custom_numericEEZNS1_24adjacent_difference_implIS3_Lb0ELb0EPS5_S8_N6thrust23THRUST_200600_302600_NS4plusIS5_EEEE10hipError_tPvRmT2_T3_mT4_P12ihipStream_tbEUlT_E_NS1_11comp_targetILNS1_3genE2ELNS1_11target_archE906ELNS1_3gpuE6ELNS1_3repE0EEENS1_30default_config_static_selectorELNS0_4arch9wavefront6targetE1EEEvT1_
                                        ; -- End function
	.section	.AMDGPU.csdata,"",@progbits
; Kernel info:
; codeLenInByte = 0
; NumSgprs: 6
; NumVgprs: 0
; NumAgprs: 0
; TotalNumVgprs: 0
; ScratchSize: 0
; MemoryBound: 0
; FloatMode: 240
; IeeeMode: 1
; LDSByteSize: 0 bytes/workgroup (compile time only)
; SGPRBlocks: 0
; VGPRBlocks: 0
; NumSGPRsForWavesPerEU: 6
; NumVGPRsForWavesPerEU: 1
; AccumOffset: 4
; Occupancy: 8
; WaveLimiterHint : 0
; COMPUTE_PGM_RSRC2:SCRATCH_EN: 0
; COMPUTE_PGM_RSRC2:USER_SGPR: 2
; COMPUTE_PGM_RSRC2:TRAP_HANDLER: 0
; COMPUTE_PGM_RSRC2:TGID_X_EN: 1
; COMPUTE_PGM_RSRC2:TGID_Y_EN: 0
; COMPUTE_PGM_RSRC2:TGID_Z_EN: 0
; COMPUTE_PGM_RSRC2:TIDIG_COMP_CNT: 0
; COMPUTE_PGM_RSRC3_GFX90A:ACCUM_OFFSET: 0
; COMPUTE_PGM_RSRC3_GFX90A:TG_SPLIT: 0
	.section	.text._ZN7rocprim17ROCPRIM_400000_NS6detail17trampoline_kernelINS0_14default_configENS1_35adjacent_difference_config_selectorILb0E14custom_numericEEZNS1_24adjacent_difference_implIS3_Lb0ELb0EPS5_S8_N6thrust23THRUST_200600_302600_NS4plusIS5_EEEE10hipError_tPvRmT2_T3_mT4_P12ihipStream_tbEUlT_E_NS1_11comp_targetILNS1_3genE9ELNS1_11target_archE1100ELNS1_3gpuE3ELNS1_3repE0EEENS1_30default_config_static_selectorELNS0_4arch9wavefront6targetE1EEEvT1_,"axG",@progbits,_ZN7rocprim17ROCPRIM_400000_NS6detail17trampoline_kernelINS0_14default_configENS1_35adjacent_difference_config_selectorILb0E14custom_numericEEZNS1_24adjacent_difference_implIS3_Lb0ELb0EPS5_S8_N6thrust23THRUST_200600_302600_NS4plusIS5_EEEE10hipError_tPvRmT2_T3_mT4_P12ihipStream_tbEUlT_E_NS1_11comp_targetILNS1_3genE9ELNS1_11target_archE1100ELNS1_3gpuE3ELNS1_3repE0EEENS1_30default_config_static_selectorELNS0_4arch9wavefront6targetE1EEEvT1_,comdat
	.protected	_ZN7rocprim17ROCPRIM_400000_NS6detail17trampoline_kernelINS0_14default_configENS1_35adjacent_difference_config_selectorILb0E14custom_numericEEZNS1_24adjacent_difference_implIS3_Lb0ELb0EPS5_S8_N6thrust23THRUST_200600_302600_NS4plusIS5_EEEE10hipError_tPvRmT2_T3_mT4_P12ihipStream_tbEUlT_E_NS1_11comp_targetILNS1_3genE9ELNS1_11target_archE1100ELNS1_3gpuE3ELNS1_3repE0EEENS1_30default_config_static_selectorELNS0_4arch9wavefront6targetE1EEEvT1_ ; -- Begin function _ZN7rocprim17ROCPRIM_400000_NS6detail17trampoline_kernelINS0_14default_configENS1_35adjacent_difference_config_selectorILb0E14custom_numericEEZNS1_24adjacent_difference_implIS3_Lb0ELb0EPS5_S8_N6thrust23THRUST_200600_302600_NS4plusIS5_EEEE10hipError_tPvRmT2_T3_mT4_P12ihipStream_tbEUlT_E_NS1_11comp_targetILNS1_3genE9ELNS1_11target_archE1100ELNS1_3gpuE3ELNS1_3repE0EEENS1_30default_config_static_selectorELNS0_4arch9wavefront6targetE1EEEvT1_
	.globl	_ZN7rocprim17ROCPRIM_400000_NS6detail17trampoline_kernelINS0_14default_configENS1_35adjacent_difference_config_selectorILb0E14custom_numericEEZNS1_24adjacent_difference_implIS3_Lb0ELb0EPS5_S8_N6thrust23THRUST_200600_302600_NS4plusIS5_EEEE10hipError_tPvRmT2_T3_mT4_P12ihipStream_tbEUlT_E_NS1_11comp_targetILNS1_3genE9ELNS1_11target_archE1100ELNS1_3gpuE3ELNS1_3repE0EEENS1_30default_config_static_selectorELNS0_4arch9wavefront6targetE1EEEvT1_
	.p2align	8
	.type	_ZN7rocprim17ROCPRIM_400000_NS6detail17trampoline_kernelINS0_14default_configENS1_35adjacent_difference_config_selectorILb0E14custom_numericEEZNS1_24adjacent_difference_implIS3_Lb0ELb0EPS5_S8_N6thrust23THRUST_200600_302600_NS4plusIS5_EEEE10hipError_tPvRmT2_T3_mT4_P12ihipStream_tbEUlT_E_NS1_11comp_targetILNS1_3genE9ELNS1_11target_archE1100ELNS1_3gpuE3ELNS1_3repE0EEENS1_30default_config_static_selectorELNS0_4arch9wavefront6targetE1EEEvT1_,@function
_ZN7rocprim17ROCPRIM_400000_NS6detail17trampoline_kernelINS0_14default_configENS1_35adjacent_difference_config_selectorILb0E14custom_numericEEZNS1_24adjacent_difference_implIS3_Lb0ELb0EPS5_S8_N6thrust23THRUST_200600_302600_NS4plusIS5_EEEE10hipError_tPvRmT2_T3_mT4_P12ihipStream_tbEUlT_E_NS1_11comp_targetILNS1_3genE9ELNS1_11target_archE1100ELNS1_3gpuE3ELNS1_3repE0EEENS1_30default_config_static_selectorELNS0_4arch9wavefront6targetE1EEEvT1_: ; @_ZN7rocprim17ROCPRIM_400000_NS6detail17trampoline_kernelINS0_14default_configENS1_35adjacent_difference_config_selectorILb0E14custom_numericEEZNS1_24adjacent_difference_implIS3_Lb0ELb0EPS5_S8_N6thrust23THRUST_200600_302600_NS4plusIS5_EEEE10hipError_tPvRmT2_T3_mT4_P12ihipStream_tbEUlT_E_NS1_11comp_targetILNS1_3genE9ELNS1_11target_archE1100ELNS1_3gpuE3ELNS1_3repE0EEENS1_30default_config_static_selectorELNS0_4arch9wavefront6targetE1EEEvT1_
; %bb.0:
	.section	.rodata,"a",@progbits
	.p2align	6, 0x0
	.amdhsa_kernel _ZN7rocprim17ROCPRIM_400000_NS6detail17trampoline_kernelINS0_14default_configENS1_35adjacent_difference_config_selectorILb0E14custom_numericEEZNS1_24adjacent_difference_implIS3_Lb0ELb0EPS5_S8_N6thrust23THRUST_200600_302600_NS4plusIS5_EEEE10hipError_tPvRmT2_T3_mT4_P12ihipStream_tbEUlT_E_NS1_11comp_targetILNS1_3genE9ELNS1_11target_archE1100ELNS1_3gpuE3ELNS1_3repE0EEENS1_30default_config_static_selectorELNS0_4arch9wavefront6targetE1EEEvT1_
		.amdhsa_group_segment_fixed_size 0
		.amdhsa_private_segment_fixed_size 0
		.amdhsa_kernarg_size 56
		.amdhsa_user_sgpr_count 2
		.amdhsa_user_sgpr_dispatch_ptr 0
		.amdhsa_user_sgpr_queue_ptr 0
		.amdhsa_user_sgpr_kernarg_segment_ptr 1
		.amdhsa_user_sgpr_dispatch_id 0
		.amdhsa_user_sgpr_kernarg_preload_length 0
		.amdhsa_user_sgpr_kernarg_preload_offset 0
		.amdhsa_user_sgpr_private_segment_size 0
		.amdhsa_uses_dynamic_stack 0
		.amdhsa_enable_private_segment 0
		.amdhsa_system_sgpr_workgroup_id_x 1
		.amdhsa_system_sgpr_workgroup_id_y 0
		.amdhsa_system_sgpr_workgroup_id_z 0
		.amdhsa_system_sgpr_workgroup_info 0
		.amdhsa_system_vgpr_workitem_id 0
		.amdhsa_next_free_vgpr 1
		.amdhsa_next_free_sgpr 0
		.amdhsa_accum_offset 4
		.amdhsa_reserve_vcc 0
		.amdhsa_float_round_mode_32 0
		.amdhsa_float_round_mode_16_64 0
		.amdhsa_float_denorm_mode_32 3
		.amdhsa_float_denorm_mode_16_64 3
		.amdhsa_dx10_clamp 1
		.amdhsa_ieee_mode 1
		.amdhsa_fp16_overflow 0
		.amdhsa_tg_split 0
		.amdhsa_exception_fp_ieee_invalid_op 0
		.amdhsa_exception_fp_denorm_src 0
		.amdhsa_exception_fp_ieee_div_zero 0
		.amdhsa_exception_fp_ieee_overflow 0
		.amdhsa_exception_fp_ieee_underflow 0
		.amdhsa_exception_fp_ieee_inexact 0
		.amdhsa_exception_int_div_zero 0
	.end_amdhsa_kernel
	.section	.text._ZN7rocprim17ROCPRIM_400000_NS6detail17trampoline_kernelINS0_14default_configENS1_35adjacent_difference_config_selectorILb0E14custom_numericEEZNS1_24adjacent_difference_implIS3_Lb0ELb0EPS5_S8_N6thrust23THRUST_200600_302600_NS4plusIS5_EEEE10hipError_tPvRmT2_T3_mT4_P12ihipStream_tbEUlT_E_NS1_11comp_targetILNS1_3genE9ELNS1_11target_archE1100ELNS1_3gpuE3ELNS1_3repE0EEENS1_30default_config_static_selectorELNS0_4arch9wavefront6targetE1EEEvT1_,"axG",@progbits,_ZN7rocprim17ROCPRIM_400000_NS6detail17trampoline_kernelINS0_14default_configENS1_35adjacent_difference_config_selectorILb0E14custom_numericEEZNS1_24adjacent_difference_implIS3_Lb0ELb0EPS5_S8_N6thrust23THRUST_200600_302600_NS4plusIS5_EEEE10hipError_tPvRmT2_T3_mT4_P12ihipStream_tbEUlT_E_NS1_11comp_targetILNS1_3genE9ELNS1_11target_archE1100ELNS1_3gpuE3ELNS1_3repE0EEENS1_30default_config_static_selectorELNS0_4arch9wavefront6targetE1EEEvT1_,comdat
.Lfunc_end241:
	.size	_ZN7rocprim17ROCPRIM_400000_NS6detail17trampoline_kernelINS0_14default_configENS1_35adjacent_difference_config_selectorILb0E14custom_numericEEZNS1_24adjacent_difference_implIS3_Lb0ELb0EPS5_S8_N6thrust23THRUST_200600_302600_NS4plusIS5_EEEE10hipError_tPvRmT2_T3_mT4_P12ihipStream_tbEUlT_E_NS1_11comp_targetILNS1_3genE9ELNS1_11target_archE1100ELNS1_3gpuE3ELNS1_3repE0EEENS1_30default_config_static_selectorELNS0_4arch9wavefront6targetE1EEEvT1_, .Lfunc_end241-_ZN7rocprim17ROCPRIM_400000_NS6detail17trampoline_kernelINS0_14default_configENS1_35adjacent_difference_config_selectorILb0E14custom_numericEEZNS1_24adjacent_difference_implIS3_Lb0ELb0EPS5_S8_N6thrust23THRUST_200600_302600_NS4plusIS5_EEEE10hipError_tPvRmT2_T3_mT4_P12ihipStream_tbEUlT_E_NS1_11comp_targetILNS1_3genE9ELNS1_11target_archE1100ELNS1_3gpuE3ELNS1_3repE0EEENS1_30default_config_static_selectorELNS0_4arch9wavefront6targetE1EEEvT1_
                                        ; -- End function
	.section	.AMDGPU.csdata,"",@progbits
; Kernel info:
; codeLenInByte = 0
; NumSgprs: 6
; NumVgprs: 0
; NumAgprs: 0
; TotalNumVgprs: 0
; ScratchSize: 0
; MemoryBound: 0
; FloatMode: 240
; IeeeMode: 1
; LDSByteSize: 0 bytes/workgroup (compile time only)
; SGPRBlocks: 0
; VGPRBlocks: 0
; NumSGPRsForWavesPerEU: 6
; NumVGPRsForWavesPerEU: 1
; AccumOffset: 4
; Occupancy: 8
; WaveLimiterHint : 0
; COMPUTE_PGM_RSRC2:SCRATCH_EN: 0
; COMPUTE_PGM_RSRC2:USER_SGPR: 2
; COMPUTE_PGM_RSRC2:TRAP_HANDLER: 0
; COMPUTE_PGM_RSRC2:TGID_X_EN: 1
; COMPUTE_PGM_RSRC2:TGID_Y_EN: 0
; COMPUTE_PGM_RSRC2:TGID_Z_EN: 0
; COMPUTE_PGM_RSRC2:TIDIG_COMP_CNT: 0
; COMPUTE_PGM_RSRC3_GFX90A:ACCUM_OFFSET: 0
; COMPUTE_PGM_RSRC3_GFX90A:TG_SPLIT: 0
	.section	.text._ZN7rocprim17ROCPRIM_400000_NS6detail17trampoline_kernelINS0_14default_configENS1_35adjacent_difference_config_selectorILb0E14custom_numericEEZNS1_24adjacent_difference_implIS3_Lb0ELb0EPS5_S8_N6thrust23THRUST_200600_302600_NS4plusIS5_EEEE10hipError_tPvRmT2_T3_mT4_P12ihipStream_tbEUlT_E_NS1_11comp_targetILNS1_3genE8ELNS1_11target_archE1030ELNS1_3gpuE2ELNS1_3repE0EEENS1_30default_config_static_selectorELNS0_4arch9wavefront6targetE1EEEvT1_,"axG",@progbits,_ZN7rocprim17ROCPRIM_400000_NS6detail17trampoline_kernelINS0_14default_configENS1_35adjacent_difference_config_selectorILb0E14custom_numericEEZNS1_24adjacent_difference_implIS3_Lb0ELb0EPS5_S8_N6thrust23THRUST_200600_302600_NS4plusIS5_EEEE10hipError_tPvRmT2_T3_mT4_P12ihipStream_tbEUlT_E_NS1_11comp_targetILNS1_3genE8ELNS1_11target_archE1030ELNS1_3gpuE2ELNS1_3repE0EEENS1_30default_config_static_selectorELNS0_4arch9wavefront6targetE1EEEvT1_,comdat
	.protected	_ZN7rocprim17ROCPRIM_400000_NS6detail17trampoline_kernelINS0_14default_configENS1_35adjacent_difference_config_selectorILb0E14custom_numericEEZNS1_24adjacent_difference_implIS3_Lb0ELb0EPS5_S8_N6thrust23THRUST_200600_302600_NS4plusIS5_EEEE10hipError_tPvRmT2_T3_mT4_P12ihipStream_tbEUlT_E_NS1_11comp_targetILNS1_3genE8ELNS1_11target_archE1030ELNS1_3gpuE2ELNS1_3repE0EEENS1_30default_config_static_selectorELNS0_4arch9wavefront6targetE1EEEvT1_ ; -- Begin function _ZN7rocprim17ROCPRIM_400000_NS6detail17trampoline_kernelINS0_14default_configENS1_35adjacent_difference_config_selectorILb0E14custom_numericEEZNS1_24adjacent_difference_implIS3_Lb0ELb0EPS5_S8_N6thrust23THRUST_200600_302600_NS4plusIS5_EEEE10hipError_tPvRmT2_T3_mT4_P12ihipStream_tbEUlT_E_NS1_11comp_targetILNS1_3genE8ELNS1_11target_archE1030ELNS1_3gpuE2ELNS1_3repE0EEENS1_30default_config_static_selectorELNS0_4arch9wavefront6targetE1EEEvT1_
	.globl	_ZN7rocprim17ROCPRIM_400000_NS6detail17trampoline_kernelINS0_14default_configENS1_35adjacent_difference_config_selectorILb0E14custom_numericEEZNS1_24adjacent_difference_implIS3_Lb0ELb0EPS5_S8_N6thrust23THRUST_200600_302600_NS4plusIS5_EEEE10hipError_tPvRmT2_T3_mT4_P12ihipStream_tbEUlT_E_NS1_11comp_targetILNS1_3genE8ELNS1_11target_archE1030ELNS1_3gpuE2ELNS1_3repE0EEENS1_30default_config_static_selectorELNS0_4arch9wavefront6targetE1EEEvT1_
	.p2align	8
	.type	_ZN7rocprim17ROCPRIM_400000_NS6detail17trampoline_kernelINS0_14default_configENS1_35adjacent_difference_config_selectorILb0E14custom_numericEEZNS1_24adjacent_difference_implIS3_Lb0ELb0EPS5_S8_N6thrust23THRUST_200600_302600_NS4plusIS5_EEEE10hipError_tPvRmT2_T3_mT4_P12ihipStream_tbEUlT_E_NS1_11comp_targetILNS1_3genE8ELNS1_11target_archE1030ELNS1_3gpuE2ELNS1_3repE0EEENS1_30default_config_static_selectorELNS0_4arch9wavefront6targetE1EEEvT1_,@function
_ZN7rocprim17ROCPRIM_400000_NS6detail17trampoline_kernelINS0_14default_configENS1_35adjacent_difference_config_selectorILb0E14custom_numericEEZNS1_24adjacent_difference_implIS3_Lb0ELb0EPS5_S8_N6thrust23THRUST_200600_302600_NS4plusIS5_EEEE10hipError_tPvRmT2_T3_mT4_P12ihipStream_tbEUlT_E_NS1_11comp_targetILNS1_3genE8ELNS1_11target_archE1030ELNS1_3gpuE2ELNS1_3repE0EEENS1_30default_config_static_selectorELNS0_4arch9wavefront6targetE1EEEvT1_: ; @_ZN7rocprim17ROCPRIM_400000_NS6detail17trampoline_kernelINS0_14default_configENS1_35adjacent_difference_config_selectorILb0E14custom_numericEEZNS1_24adjacent_difference_implIS3_Lb0ELb0EPS5_S8_N6thrust23THRUST_200600_302600_NS4plusIS5_EEEE10hipError_tPvRmT2_T3_mT4_P12ihipStream_tbEUlT_E_NS1_11comp_targetILNS1_3genE8ELNS1_11target_archE1030ELNS1_3gpuE2ELNS1_3repE0EEENS1_30default_config_static_selectorELNS0_4arch9wavefront6targetE1EEEvT1_
; %bb.0:
	.section	.rodata,"a",@progbits
	.p2align	6, 0x0
	.amdhsa_kernel _ZN7rocprim17ROCPRIM_400000_NS6detail17trampoline_kernelINS0_14default_configENS1_35adjacent_difference_config_selectorILb0E14custom_numericEEZNS1_24adjacent_difference_implIS3_Lb0ELb0EPS5_S8_N6thrust23THRUST_200600_302600_NS4plusIS5_EEEE10hipError_tPvRmT2_T3_mT4_P12ihipStream_tbEUlT_E_NS1_11comp_targetILNS1_3genE8ELNS1_11target_archE1030ELNS1_3gpuE2ELNS1_3repE0EEENS1_30default_config_static_selectorELNS0_4arch9wavefront6targetE1EEEvT1_
		.amdhsa_group_segment_fixed_size 0
		.amdhsa_private_segment_fixed_size 0
		.amdhsa_kernarg_size 56
		.amdhsa_user_sgpr_count 2
		.amdhsa_user_sgpr_dispatch_ptr 0
		.amdhsa_user_sgpr_queue_ptr 0
		.amdhsa_user_sgpr_kernarg_segment_ptr 1
		.amdhsa_user_sgpr_dispatch_id 0
		.amdhsa_user_sgpr_kernarg_preload_length 0
		.amdhsa_user_sgpr_kernarg_preload_offset 0
		.amdhsa_user_sgpr_private_segment_size 0
		.amdhsa_uses_dynamic_stack 0
		.amdhsa_enable_private_segment 0
		.amdhsa_system_sgpr_workgroup_id_x 1
		.amdhsa_system_sgpr_workgroup_id_y 0
		.amdhsa_system_sgpr_workgroup_id_z 0
		.amdhsa_system_sgpr_workgroup_info 0
		.amdhsa_system_vgpr_workitem_id 0
		.amdhsa_next_free_vgpr 1
		.amdhsa_next_free_sgpr 0
		.amdhsa_accum_offset 4
		.amdhsa_reserve_vcc 0
		.amdhsa_float_round_mode_32 0
		.amdhsa_float_round_mode_16_64 0
		.amdhsa_float_denorm_mode_32 3
		.amdhsa_float_denorm_mode_16_64 3
		.amdhsa_dx10_clamp 1
		.amdhsa_ieee_mode 1
		.amdhsa_fp16_overflow 0
		.amdhsa_tg_split 0
		.amdhsa_exception_fp_ieee_invalid_op 0
		.amdhsa_exception_fp_denorm_src 0
		.amdhsa_exception_fp_ieee_div_zero 0
		.amdhsa_exception_fp_ieee_overflow 0
		.amdhsa_exception_fp_ieee_underflow 0
		.amdhsa_exception_fp_ieee_inexact 0
		.amdhsa_exception_int_div_zero 0
	.end_amdhsa_kernel
	.section	.text._ZN7rocprim17ROCPRIM_400000_NS6detail17trampoline_kernelINS0_14default_configENS1_35adjacent_difference_config_selectorILb0E14custom_numericEEZNS1_24adjacent_difference_implIS3_Lb0ELb0EPS5_S8_N6thrust23THRUST_200600_302600_NS4plusIS5_EEEE10hipError_tPvRmT2_T3_mT4_P12ihipStream_tbEUlT_E_NS1_11comp_targetILNS1_3genE8ELNS1_11target_archE1030ELNS1_3gpuE2ELNS1_3repE0EEENS1_30default_config_static_selectorELNS0_4arch9wavefront6targetE1EEEvT1_,"axG",@progbits,_ZN7rocprim17ROCPRIM_400000_NS6detail17trampoline_kernelINS0_14default_configENS1_35adjacent_difference_config_selectorILb0E14custom_numericEEZNS1_24adjacent_difference_implIS3_Lb0ELb0EPS5_S8_N6thrust23THRUST_200600_302600_NS4plusIS5_EEEE10hipError_tPvRmT2_T3_mT4_P12ihipStream_tbEUlT_E_NS1_11comp_targetILNS1_3genE8ELNS1_11target_archE1030ELNS1_3gpuE2ELNS1_3repE0EEENS1_30default_config_static_selectorELNS0_4arch9wavefront6targetE1EEEvT1_,comdat
.Lfunc_end242:
	.size	_ZN7rocprim17ROCPRIM_400000_NS6detail17trampoline_kernelINS0_14default_configENS1_35adjacent_difference_config_selectorILb0E14custom_numericEEZNS1_24adjacent_difference_implIS3_Lb0ELb0EPS5_S8_N6thrust23THRUST_200600_302600_NS4plusIS5_EEEE10hipError_tPvRmT2_T3_mT4_P12ihipStream_tbEUlT_E_NS1_11comp_targetILNS1_3genE8ELNS1_11target_archE1030ELNS1_3gpuE2ELNS1_3repE0EEENS1_30default_config_static_selectorELNS0_4arch9wavefront6targetE1EEEvT1_, .Lfunc_end242-_ZN7rocprim17ROCPRIM_400000_NS6detail17trampoline_kernelINS0_14default_configENS1_35adjacent_difference_config_selectorILb0E14custom_numericEEZNS1_24adjacent_difference_implIS3_Lb0ELb0EPS5_S8_N6thrust23THRUST_200600_302600_NS4plusIS5_EEEE10hipError_tPvRmT2_T3_mT4_P12ihipStream_tbEUlT_E_NS1_11comp_targetILNS1_3genE8ELNS1_11target_archE1030ELNS1_3gpuE2ELNS1_3repE0EEENS1_30default_config_static_selectorELNS0_4arch9wavefront6targetE1EEEvT1_
                                        ; -- End function
	.section	.AMDGPU.csdata,"",@progbits
; Kernel info:
; codeLenInByte = 0
; NumSgprs: 6
; NumVgprs: 0
; NumAgprs: 0
; TotalNumVgprs: 0
; ScratchSize: 0
; MemoryBound: 0
; FloatMode: 240
; IeeeMode: 1
; LDSByteSize: 0 bytes/workgroup (compile time only)
; SGPRBlocks: 0
; VGPRBlocks: 0
; NumSGPRsForWavesPerEU: 6
; NumVGPRsForWavesPerEU: 1
; AccumOffset: 4
; Occupancy: 8
; WaveLimiterHint : 0
; COMPUTE_PGM_RSRC2:SCRATCH_EN: 0
; COMPUTE_PGM_RSRC2:USER_SGPR: 2
; COMPUTE_PGM_RSRC2:TRAP_HANDLER: 0
; COMPUTE_PGM_RSRC2:TGID_X_EN: 1
; COMPUTE_PGM_RSRC2:TGID_Y_EN: 0
; COMPUTE_PGM_RSRC2:TGID_Z_EN: 0
; COMPUTE_PGM_RSRC2:TIDIG_COMP_CNT: 0
; COMPUTE_PGM_RSRC3_GFX90A:ACCUM_OFFSET: 0
; COMPUTE_PGM_RSRC3_GFX90A:TG_SPLIT: 0
	.section	.text._ZN7rocprim17ROCPRIM_400000_NS6detail17trampoline_kernelINS0_14default_configENS1_25transform_config_selectorI14custom_numericLb0EEEZNS1_14transform_implILb0ES3_S6_NS0_18transform_iteratorINS0_17counting_iteratorImlEEZNS1_24adjacent_difference_implIS3_Lb1ELb0EPS5_SC_N6thrust23THRUST_200600_302600_NS4plusIS5_EEEE10hipError_tPvRmT2_T3_mT4_P12ihipStream_tbEUlmE_S5_EESC_NS0_8identityIvEEEESH_SK_SL_mSM_SO_bEUlT_E_NS1_11comp_targetILNS1_3genE0ELNS1_11target_archE4294967295ELNS1_3gpuE0ELNS1_3repE0EEENS1_30default_config_static_selectorELNS0_4arch9wavefront6targetE1EEEvT1_,"axG",@progbits,_ZN7rocprim17ROCPRIM_400000_NS6detail17trampoline_kernelINS0_14default_configENS1_25transform_config_selectorI14custom_numericLb0EEEZNS1_14transform_implILb0ES3_S6_NS0_18transform_iteratorINS0_17counting_iteratorImlEEZNS1_24adjacent_difference_implIS3_Lb1ELb0EPS5_SC_N6thrust23THRUST_200600_302600_NS4plusIS5_EEEE10hipError_tPvRmT2_T3_mT4_P12ihipStream_tbEUlmE_S5_EESC_NS0_8identityIvEEEESH_SK_SL_mSM_SO_bEUlT_E_NS1_11comp_targetILNS1_3genE0ELNS1_11target_archE4294967295ELNS1_3gpuE0ELNS1_3repE0EEENS1_30default_config_static_selectorELNS0_4arch9wavefront6targetE1EEEvT1_,comdat
	.protected	_ZN7rocprim17ROCPRIM_400000_NS6detail17trampoline_kernelINS0_14default_configENS1_25transform_config_selectorI14custom_numericLb0EEEZNS1_14transform_implILb0ES3_S6_NS0_18transform_iteratorINS0_17counting_iteratorImlEEZNS1_24adjacent_difference_implIS3_Lb1ELb0EPS5_SC_N6thrust23THRUST_200600_302600_NS4plusIS5_EEEE10hipError_tPvRmT2_T3_mT4_P12ihipStream_tbEUlmE_S5_EESC_NS0_8identityIvEEEESH_SK_SL_mSM_SO_bEUlT_E_NS1_11comp_targetILNS1_3genE0ELNS1_11target_archE4294967295ELNS1_3gpuE0ELNS1_3repE0EEENS1_30default_config_static_selectorELNS0_4arch9wavefront6targetE1EEEvT1_ ; -- Begin function _ZN7rocprim17ROCPRIM_400000_NS6detail17trampoline_kernelINS0_14default_configENS1_25transform_config_selectorI14custom_numericLb0EEEZNS1_14transform_implILb0ES3_S6_NS0_18transform_iteratorINS0_17counting_iteratorImlEEZNS1_24adjacent_difference_implIS3_Lb1ELb0EPS5_SC_N6thrust23THRUST_200600_302600_NS4plusIS5_EEEE10hipError_tPvRmT2_T3_mT4_P12ihipStream_tbEUlmE_S5_EESC_NS0_8identityIvEEEESH_SK_SL_mSM_SO_bEUlT_E_NS1_11comp_targetILNS1_3genE0ELNS1_11target_archE4294967295ELNS1_3gpuE0ELNS1_3repE0EEENS1_30default_config_static_selectorELNS0_4arch9wavefront6targetE1EEEvT1_
	.globl	_ZN7rocprim17ROCPRIM_400000_NS6detail17trampoline_kernelINS0_14default_configENS1_25transform_config_selectorI14custom_numericLb0EEEZNS1_14transform_implILb0ES3_S6_NS0_18transform_iteratorINS0_17counting_iteratorImlEEZNS1_24adjacent_difference_implIS3_Lb1ELb0EPS5_SC_N6thrust23THRUST_200600_302600_NS4plusIS5_EEEE10hipError_tPvRmT2_T3_mT4_P12ihipStream_tbEUlmE_S5_EESC_NS0_8identityIvEEEESH_SK_SL_mSM_SO_bEUlT_E_NS1_11comp_targetILNS1_3genE0ELNS1_11target_archE4294967295ELNS1_3gpuE0ELNS1_3repE0EEENS1_30default_config_static_selectorELNS0_4arch9wavefront6targetE1EEEvT1_
	.p2align	8
	.type	_ZN7rocprim17ROCPRIM_400000_NS6detail17trampoline_kernelINS0_14default_configENS1_25transform_config_selectorI14custom_numericLb0EEEZNS1_14transform_implILb0ES3_S6_NS0_18transform_iteratorINS0_17counting_iteratorImlEEZNS1_24adjacent_difference_implIS3_Lb1ELb0EPS5_SC_N6thrust23THRUST_200600_302600_NS4plusIS5_EEEE10hipError_tPvRmT2_T3_mT4_P12ihipStream_tbEUlmE_S5_EESC_NS0_8identityIvEEEESH_SK_SL_mSM_SO_bEUlT_E_NS1_11comp_targetILNS1_3genE0ELNS1_11target_archE4294967295ELNS1_3gpuE0ELNS1_3repE0EEENS1_30default_config_static_selectorELNS0_4arch9wavefront6targetE1EEEvT1_,@function
_ZN7rocprim17ROCPRIM_400000_NS6detail17trampoline_kernelINS0_14default_configENS1_25transform_config_selectorI14custom_numericLb0EEEZNS1_14transform_implILb0ES3_S6_NS0_18transform_iteratorINS0_17counting_iteratorImlEEZNS1_24adjacent_difference_implIS3_Lb1ELb0EPS5_SC_N6thrust23THRUST_200600_302600_NS4plusIS5_EEEE10hipError_tPvRmT2_T3_mT4_P12ihipStream_tbEUlmE_S5_EESC_NS0_8identityIvEEEESH_SK_SL_mSM_SO_bEUlT_E_NS1_11comp_targetILNS1_3genE0ELNS1_11target_archE4294967295ELNS1_3gpuE0ELNS1_3repE0EEENS1_30default_config_static_selectorELNS0_4arch9wavefront6targetE1EEEvT1_: ; @_ZN7rocprim17ROCPRIM_400000_NS6detail17trampoline_kernelINS0_14default_configENS1_25transform_config_selectorI14custom_numericLb0EEEZNS1_14transform_implILb0ES3_S6_NS0_18transform_iteratorINS0_17counting_iteratorImlEEZNS1_24adjacent_difference_implIS3_Lb1ELb0EPS5_SC_N6thrust23THRUST_200600_302600_NS4plusIS5_EEEE10hipError_tPvRmT2_T3_mT4_P12ihipStream_tbEUlmE_S5_EESC_NS0_8identityIvEEEESH_SK_SL_mSM_SO_bEUlT_E_NS1_11comp_targetILNS1_3genE0ELNS1_11target_archE4294967295ELNS1_3gpuE0ELNS1_3repE0EEENS1_30default_config_static_selectorELNS0_4arch9wavefront6targetE1EEEvT1_
; %bb.0:
	.section	.rodata,"a",@progbits
	.p2align	6, 0x0
	.amdhsa_kernel _ZN7rocprim17ROCPRIM_400000_NS6detail17trampoline_kernelINS0_14default_configENS1_25transform_config_selectorI14custom_numericLb0EEEZNS1_14transform_implILb0ES3_S6_NS0_18transform_iteratorINS0_17counting_iteratorImlEEZNS1_24adjacent_difference_implIS3_Lb1ELb0EPS5_SC_N6thrust23THRUST_200600_302600_NS4plusIS5_EEEE10hipError_tPvRmT2_T3_mT4_P12ihipStream_tbEUlmE_S5_EESC_NS0_8identityIvEEEESH_SK_SL_mSM_SO_bEUlT_E_NS1_11comp_targetILNS1_3genE0ELNS1_11target_archE4294967295ELNS1_3gpuE0ELNS1_3repE0EEENS1_30default_config_static_selectorELNS0_4arch9wavefront6targetE1EEEvT1_
		.amdhsa_group_segment_fixed_size 0
		.amdhsa_private_segment_fixed_size 0
		.amdhsa_kernarg_size 56
		.amdhsa_user_sgpr_count 2
		.amdhsa_user_sgpr_dispatch_ptr 0
		.amdhsa_user_sgpr_queue_ptr 0
		.amdhsa_user_sgpr_kernarg_segment_ptr 1
		.amdhsa_user_sgpr_dispatch_id 0
		.amdhsa_user_sgpr_kernarg_preload_length 0
		.amdhsa_user_sgpr_kernarg_preload_offset 0
		.amdhsa_user_sgpr_private_segment_size 0
		.amdhsa_uses_dynamic_stack 0
		.amdhsa_enable_private_segment 0
		.amdhsa_system_sgpr_workgroup_id_x 1
		.amdhsa_system_sgpr_workgroup_id_y 0
		.amdhsa_system_sgpr_workgroup_id_z 0
		.amdhsa_system_sgpr_workgroup_info 0
		.amdhsa_system_vgpr_workitem_id 0
		.amdhsa_next_free_vgpr 1
		.amdhsa_next_free_sgpr 0
		.amdhsa_accum_offset 4
		.amdhsa_reserve_vcc 0
		.amdhsa_float_round_mode_32 0
		.amdhsa_float_round_mode_16_64 0
		.amdhsa_float_denorm_mode_32 3
		.amdhsa_float_denorm_mode_16_64 3
		.amdhsa_dx10_clamp 1
		.amdhsa_ieee_mode 1
		.amdhsa_fp16_overflow 0
		.amdhsa_tg_split 0
		.amdhsa_exception_fp_ieee_invalid_op 0
		.amdhsa_exception_fp_denorm_src 0
		.amdhsa_exception_fp_ieee_div_zero 0
		.amdhsa_exception_fp_ieee_overflow 0
		.amdhsa_exception_fp_ieee_underflow 0
		.amdhsa_exception_fp_ieee_inexact 0
		.amdhsa_exception_int_div_zero 0
	.end_amdhsa_kernel
	.section	.text._ZN7rocprim17ROCPRIM_400000_NS6detail17trampoline_kernelINS0_14default_configENS1_25transform_config_selectorI14custom_numericLb0EEEZNS1_14transform_implILb0ES3_S6_NS0_18transform_iteratorINS0_17counting_iteratorImlEEZNS1_24adjacent_difference_implIS3_Lb1ELb0EPS5_SC_N6thrust23THRUST_200600_302600_NS4plusIS5_EEEE10hipError_tPvRmT2_T3_mT4_P12ihipStream_tbEUlmE_S5_EESC_NS0_8identityIvEEEESH_SK_SL_mSM_SO_bEUlT_E_NS1_11comp_targetILNS1_3genE0ELNS1_11target_archE4294967295ELNS1_3gpuE0ELNS1_3repE0EEENS1_30default_config_static_selectorELNS0_4arch9wavefront6targetE1EEEvT1_,"axG",@progbits,_ZN7rocprim17ROCPRIM_400000_NS6detail17trampoline_kernelINS0_14default_configENS1_25transform_config_selectorI14custom_numericLb0EEEZNS1_14transform_implILb0ES3_S6_NS0_18transform_iteratorINS0_17counting_iteratorImlEEZNS1_24adjacent_difference_implIS3_Lb1ELb0EPS5_SC_N6thrust23THRUST_200600_302600_NS4plusIS5_EEEE10hipError_tPvRmT2_T3_mT4_P12ihipStream_tbEUlmE_S5_EESC_NS0_8identityIvEEEESH_SK_SL_mSM_SO_bEUlT_E_NS1_11comp_targetILNS1_3genE0ELNS1_11target_archE4294967295ELNS1_3gpuE0ELNS1_3repE0EEENS1_30default_config_static_selectorELNS0_4arch9wavefront6targetE1EEEvT1_,comdat
.Lfunc_end243:
	.size	_ZN7rocprim17ROCPRIM_400000_NS6detail17trampoline_kernelINS0_14default_configENS1_25transform_config_selectorI14custom_numericLb0EEEZNS1_14transform_implILb0ES3_S6_NS0_18transform_iteratorINS0_17counting_iteratorImlEEZNS1_24adjacent_difference_implIS3_Lb1ELb0EPS5_SC_N6thrust23THRUST_200600_302600_NS4plusIS5_EEEE10hipError_tPvRmT2_T3_mT4_P12ihipStream_tbEUlmE_S5_EESC_NS0_8identityIvEEEESH_SK_SL_mSM_SO_bEUlT_E_NS1_11comp_targetILNS1_3genE0ELNS1_11target_archE4294967295ELNS1_3gpuE0ELNS1_3repE0EEENS1_30default_config_static_selectorELNS0_4arch9wavefront6targetE1EEEvT1_, .Lfunc_end243-_ZN7rocprim17ROCPRIM_400000_NS6detail17trampoline_kernelINS0_14default_configENS1_25transform_config_selectorI14custom_numericLb0EEEZNS1_14transform_implILb0ES3_S6_NS0_18transform_iteratorINS0_17counting_iteratorImlEEZNS1_24adjacent_difference_implIS3_Lb1ELb0EPS5_SC_N6thrust23THRUST_200600_302600_NS4plusIS5_EEEE10hipError_tPvRmT2_T3_mT4_P12ihipStream_tbEUlmE_S5_EESC_NS0_8identityIvEEEESH_SK_SL_mSM_SO_bEUlT_E_NS1_11comp_targetILNS1_3genE0ELNS1_11target_archE4294967295ELNS1_3gpuE0ELNS1_3repE0EEENS1_30default_config_static_selectorELNS0_4arch9wavefront6targetE1EEEvT1_
                                        ; -- End function
	.section	.AMDGPU.csdata,"",@progbits
; Kernel info:
; codeLenInByte = 0
; NumSgprs: 6
; NumVgprs: 0
; NumAgprs: 0
; TotalNumVgprs: 0
; ScratchSize: 0
; MemoryBound: 0
; FloatMode: 240
; IeeeMode: 1
; LDSByteSize: 0 bytes/workgroup (compile time only)
; SGPRBlocks: 0
; VGPRBlocks: 0
; NumSGPRsForWavesPerEU: 6
; NumVGPRsForWavesPerEU: 1
; AccumOffset: 4
; Occupancy: 8
; WaveLimiterHint : 0
; COMPUTE_PGM_RSRC2:SCRATCH_EN: 0
; COMPUTE_PGM_RSRC2:USER_SGPR: 2
; COMPUTE_PGM_RSRC2:TRAP_HANDLER: 0
; COMPUTE_PGM_RSRC2:TGID_X_EN: 1
; COMPUTE_PGM_RSRC2:TGID_Y_EN: 0
; COMPUTE_PGM_RSRC2:TGID_Z_EN: 0
; COMPUTE_PGM_RSRC2:TIDIG_COMP_CNT: 0
; COMPUTE_PGM_RSRC3_GFX90A:ACCUM_OFFSET: 0
; COMPUTE_PGM_RSRC3_GFX90A:TG_SPLIT: 0
	.section	.text._ZN7rocprim17ROCPRIM_400000_NS6detail17trampoline_kernelINS0_14default_configENS1_25transform_config_selectorI14custom_numericLb0EEEZNS1_14transform_implILb0ES3_S6_NS0_18transform_iteratorINS0_17counting_iteratorImlEEZNS1_24adjacent_difference_implIS3_Lb1ELb0EPS5_SC_N6thrust23THRUST_200600_302600_NS4plusIS5_EEEE10hipError_tPvRmT2_T3_mT4_P12ihipStream_tbEUlmE_S5_EESC_NS0_8identityIvEEEESH_SK_SL_mSM_SO_bEUlT_E_NS1_11comp_targetILNS1_3genE5ELNS1_11target_archE942ELNS1_3gpuE9ELNS1_3repE0EEENS1_30default_config_static_selectorELNS0_4arch9wavefront6targetE1EEEvT1_,"axG",@progbits,_ZN7rocprim17ROCPRIM_400000_NS6detail17trampoline_kernelINS0_14default_configENS1_25transform_config_selectorI14custom_numericLb0EEEZNS1_14transform_implILb0ES3_S6_NS0_18transform_iteratorINS0_17counting_iteratorImlEEZNS1_24adjacent_difference_implIS3_Lb1ELb0EPS5_SC_N6thrust23THRUST_200600_302600_NS4plusIS5_EEEE10hipError_tPvRmT2_T3_mT4_P12ihipStream_tbEUlmE_S5_EESC_NS0_8identityIvEEEESH_SK_SL_mSM_SO_bEUlT_E_NS1_11comp_targetILNS1_3genE5ELNS1_11target_archE942ELNS1_3gpuE9ELNS1_3repE0EEENS1_30default_config_static_selectorELNS0_4arch9wavefront6targetE1EEEvT1_,comdat
	.protected	_ZN7rocprim17ROCPRIM_400000_NS6detail17trampoline_kernelINS0_14default_configENS1_25transform_config_selectorI14custom_numericLb0EEEZNS1_14transform_implILb0ES3_S6_NS0_18transform_iteratorINS0_17counting_iteratorImlEEZNS1_24adjacent_difference_implIS3_Lb1ELb0EPS5_SC_N6thrust23THRUST_200600_302600_NS4plusIS5_EEEE10hipError_tPvRmT2_T3_mT4_P12ihipStream_tbEUlmE_S5_EESC_NS0_8identityIvEEEESH_SK_SL_mSM_SO_bEUlT_E_NS1_11comp_targetILNS1_3genE5ELNS1_11target_archE942ELNS1_3gpuE9ELNS1_3repE0EEENS1_30default_config_static_selectorELNS0_4arch9wavefront6targetE1EEEvT1_ ; -- Begin function _ZN7rocprim17ROCPRIM_400000_NS6detail17trampoline_kernelINS0_14default_configENS1_25transform_config_selectorI14custom_numericLb0EEEZNS1_14transform_implILb0ES3_S6_NS0_18transform_iteratorINS0_17counting_iteratorImlEEZNS1_24adjacent_difference_implIS3_Lb1ELb0EPS5_SC_N6thrust23THRUST_200600_302600_NS4plusIS5_EEEE10hipError_tPvRmT2_T3_mT4_P12ihipStream_tbEUlmE_S5_EESC_NS0_8identityIvEEEESH_SK_SL_mSM_SO_bEUlT_E_NS1_11comp_targetILNS1_3genE5ELNS1_11target_archE942ELNS1_3gpuE9ELNS1_3repE0EEENS1_30default_config_static_selectorELNS0_4arch9wavefront6targetE1EEEvT1_
	.globl	_ZN7rocprim17ROCPRIM_400000_NS6detail17trampoline_kernelINS0_14default_configENS1_25transform_config_selectorI14custom_numericLb0EEEZNS1_14transform_implILb0ES3_S6_NS0_18transform_iteratorINS0_17counting_iteratorImlEEZNS1_24adjacent_difference_implIS3_Lb1ELb0EPS5_SC_N6thrust23THRUST_200600_302600_NS4plusIS5_EEEE10hipError_tPvRmT2_T3_mT4_P12ihipStream_tbEUlmE_S5_EESC_NS0_8identityIvEEEESH_SK_SL_mSM_SO_bEUlT_E_NS1_11comp_targetILNS1_3genE5ELNS1_11target_archE942ELNS1_3gpuE9ELNS1_3repE0EEENS1_30default_config_static_selectorELNS0_4arch9wavefront6targetE1EEEvT1_
	.p2align	8
	.type	_ZN7rocprim17ROCPRIM_400000_NS6detail17trampoline_kernelINS0_14default_configENS1_25transform_config_selectorI14custom_numericLb0EEEZNS1_14transform_implILb0ES3_S6_NS0_18transform_iteratorINS0_17counting_iteratorImlEEZNS1_24adjacent_difference_implIS3_Lb1ELb0EPS5_SC_N6thrust23THRUST_200600_302600_NS4plusIS5_EEEE10hipError_tPvRmT2_T3_mT4_P12ihipStream_tbEUlmE_S5_EESC_NS0_8identityIvEEEESH_SK_SL_mSM_SO_bEUlT_E_NS1_11comp_targetILNS1_3genE5ELNS1_11target_archE942ELNS1_3gpuE9ELNS1_3repE0EEENS1_30default_config_static_selectorELNS0_4arch9wavefront6targetE1EEEvT1_,@function
_ZN7rocprim17ROCPRIM_400000_NS6detail17trampoline_kernelINS0_14default_configENS1_25transform_config_selectorI14custom_numericLb0EEEZNS1_14transform_implILb0ES3_S6_NS0_18transform_iteratorINS0_17counting_iteratorImlEEZNS1_24adjacent_difference_implIS3_Lb1ELb0EPS5_SC_N6thrust23THRUST_200600_302600_NS4plusIS5_EEEE10hipError_tPvRmT2_T3_mT4_P12ihipStream_tbEUlmE_S5_EESC_NS0_8identityIvEEEESH_SK_SL_mSM_SO_bEUlT_E_NS1_11comp_targetILNS1_3genE5ELNS1_11target_archE942ELNS1_3gpuE9ELNS1_3repE0EEENS1_30default_config_static_selectorELNS0_4arch9wavefront6targetE1EEEvT1_: ; @_ZN7rocprim17ROCPRIM_400000_NS6detail17trampoline_kernelINS0_14default_configENS1_25transform_config_selectorI14custom_numericLb0EEEZNS1_14transform_implILb0ES3_S6_NS0_18transform_iteratorINS0_17counting_iteratorImlEEZNS1_24adjacent_difference_implIS3_Lb1ELb0EPS5_SC_N6thrust23THRUST_200600_302600_NS4plusIS5_EEEE10hipError_tPvRmT2_T3_mT4_P12ihipStream_tbEUlmE_S5_EESC_NS0_8identityIvEEEESH_SK_SL_mSM_SO_bEUlT_E_NS1_11comp_targetILNS1_3genE5ELNS1_11target_archE942ELNS1_3gpuE9ELNS1_3repE0EEENS1_30default_config_static_selectorELNS0_4arch9wavefront6targetE1EEEvT1_
; %bb.0:
	s_load_dwordx4 s[8:11], s[0:1], 0x18
	s_load_dwordx4 s[4:7], s[0:1], 0x0
	s_waitcnt lgkmcnt(0)
	s_load_dword s11, s[0:1], 0x10
	s_load_dwordx2 s[12:13], s[0:1], 0x28
	s_load_dword s3, s[0:1], 0x38
	s_mul_i32 s16, s2, 0x300
	s_mul_hi_u32 s14, s16, 20
	s_mul_i32 s0, s9, 20
	s_mul_hi_u32 s1, s8, 20
	s_add_i32 s1, s1, s0
	s_mul_i32 s0, s8, 20
	s_waitcnt lgkmcnt(0)
	s_add_u32 s12, s12, s0
	s_addc_u32 s13, s13, s1
	s_add_i32 s3, s3, -1
	s_add_u32 s0, s4, s16
	s_addc_u32 s1, s5, 0
	s_add_u32 s4, s0, s8
	s_addc_u32 s5, s1, s9
	s_cmp_lg_u32 s2, s3
	s_mul_i32 s15, s16, 20
	s_cbranch_scc0 .LBB244_2
; %bb.1:
	v_mov_b32_e32 v1, 0
	v_lshl_add_u64 v[2:3], s[4:5], 0, v[0:1]
	v_mad_u64_u32 v[4:5], s[0:1], v2, s11, 0
	v_mov_b32_e32 v2, v5
	v_mad_u64_u32 v[6:7], s[0:1], v4, 20, s[6:7]
	v_mad_u64_u32 v[2:3], s[0:1], v3, s11, v[2:3]
	v_mov_b32_e32 v4, v7
	v_mad_u64_u32 v[2:3], s[0:1], v2, 20, v[4:5]
	v_mov_b32_e32 v7, v2
	s_lshl_b32 s2, s11, 8
	v_mad_u64_u32 v[2:3], s[0:1], s2, 20, v[6:7]
	s_lshr_b32 s0, s11, 24
	s_mul_i32 s3, s0, 20
	v_add_u32_e32 v3, s3, v3
	global_load_dword v4, v[6:7], off
	global_load_dword v12, v[2:3], off
	v_mad_u64_u32 v[2:3], s[0:1], s2, 20, v[2:3]
	v_add_u32_e32 v3, s3, v3
	global_load_dword v2, v[2:3], off
	s_add_u32 s2, s12, s15
	s_addc_u32 s3, s13, s14
	v_mad_u64_u32 v[10:11], s[2:3], v0, 20, s[2:3]
	v_add_co_u32_e32 v8, vcc, 0x1000, v10
	s_nop 1
	v_addc_co_u32_e32 v9, vcc, 0, v11, vcc
	s_mov_b64 s[2:3], -1
	s_waitcnt vmcnt(2)
	v_mov_b32_e32 v5, v4
	v_mov_b32_e32 v6, v4
	;; [unrolled: 1-line block ×3, first 2 shown]
	s_waitcnt vmcnt(1)
	v_mov_b32_e32 v13, v12
	v_mov_b32_e32 v14, v12
	v_mov_b32_e32 v15, v12
	global_store_dword v[10:11], v4, off offset:16
	global_store_dwordx4 v[10:11], v[4:7], off
	global_store_dword v[8:9], v12, off offset:1040
	global_store_dwordx4 v[8:9], v[12:15], off offset:1024
	s_cbranch_execz .LBB244_3
	s_branch .LBB244_14
.LBB244_2:
	s_mov_b64 s[2:3], 0
                                        ; implicit-def: $vgpr2
                                        ; implicit-def: $vgpr10_vgpr11
.LBB244_3:
	s_sub_i32 s8, s10, s16
	v_cmp_gt_u32_e32 vcc, s8, v0
	v_mov_b32_e32 v4, 0
	v_mov_b32_e32 v6, 0
	s_and_saveexec_b64 s[0:1], vcc
	s_cbranch_execz .LBB244_5
; %bb.4:
	v_mov_b32_e32 v1, 0
	s_waitcnt vmcnt(4)
	v_lshl_add_u64 v[2:3], s[4:5], 0, v[0:1]
	v_mad_u64_u32 v[6:7], s[2:3], v2, s11, 0
	v_mov_b32_e32 v2, v7
	v_mad_u64_u32 v[6:7], s[2:3], v6, 20, s[6:7]
	v_mad_u64_u32 v[2:3], s[2:3], v3, s11, v[2:3]
	v_mov_b32_e32 v8, v7
	v_mad_u64_u32 v[2:3], s[2:3], v2, 20, v[8:9]
	v_mov_b32_e32 v7, v2
	global_load_dword v6, v[6:7], off
.LBB244_5:
	s_or_b64 exec, exec, s[0:1]
	s_waitcnt vmcnt(4)
	v_or_b32_e32 v2, 0x100, v0
	v_cmp_gt_u32_e64 s[0:1], s8, v2
	s_and_saveexec_b64 s[2:3], s[0:1]
	s_cbranch_execz .LBB244_7
; %bb.6:
	v_mov_b32_e32 v3, 0
	v_lshl_add_u64 v[2:3], s[4:5], 0, v[2:3]
	v_mad_u64_u32 v[4:5], s[16:17], v2, s11, 0
	v_mov_b32_e32 v2, v5
	v_mad_u64_u32 v[4:5], s[16:17], v4, 20, s[6:7]
	v_mad_u64_u32 v[2:3], s[16:17], v3, s11, v[2:3]
	v_mov_b32_e32 v8, v5
	v_mad_u64_u32 v[2:3], s[16:17], v2, 20, v[8:9]
	v_mov_b32_e32 v5, v2
	global_load_dword v4, v[4:5], off
.LBB244_7:
	s_or_b64 exec, exec, s[2:3]
	v_or_b32_e32 v8, 0x200, v0
	v_cmp_gt_u32_e64 s[2:3], s8, v8
	v_mov_b32_e32 v2, 0
	s_and_saveexec_b64 s[8:9], s[2:3]
	s_cbranch_execz .LBB244_9
; %bb.8:
	v_mov_b32_e32 v9, 0
	v_lshl_add_u64 v[2:3], s[4:5], 0, v[8:9]
	v_mad_u64_u32 v[8:9], s[4:5], v2, s11, 0
	v_mov_b32_e32 v2, v9
	v_mad_u64_u32 v[8:9], s[4:5], v8, 20, s[6:7]
	v_mad_u64_u32 v[2:3], s[4:5], v3, s11, v[2:3]
	v_mov_b32_e32 v10, v9
	v_mad_u64_u32 v[2:3], s[4:5], v2, 20, v[10:11]
	v_mov_b32_e32 v9, v2
	global_load_dword v2, v[8:9], off
.LBB244_9:
	s_or_b64 exec, exec, s[8:9]
	s_add_u32 s4, s12, s15
	s_addc_u32 s5, s13, s14
	v_mad_u64_u32 v[10:11], s[4:5], v0, 20, s[4:5]
	s_and_saveexec_b64 s[4:5], vcc
	s_cbranch_execz .LBB244_11
; %bb.10:
	s_waitcnt vmcnt(0)
	v_mov_b32_e32 v7, v6
	v_mov_b32_e32 v8, v6
	;; [unrolled: 1-line block ×3, first 2 shown]
	global_store_dwordx4 v[10:11], v[6:9], off
	global_store_dword v[10:11], v6, off offset:16
.LBB244_11:
	s_or_b64 exec, exec, s[4:5]
	s_and_saveexec_b64 s[4:5], s[0:1]
	s_cbranch_execz .LBB244_13
; %bb.12:
	v_add_co_u32_e32 v0, vcc, 0x1000, v10
	s_waitcnt vmcnt(0)
	v_mov_b32_e32 v5, v4
	v_mov_b32_e32 v6, v4
	;; [unrolled: 1-line block ×3, first 2 shown]
	v_addc_co_u32_e32 v1, vcc, 0, v11, vcc
	global_store_dwordx4 v[0:1], v[4:7], off offset:1024
	global_store_dword v[0:1], v4, off offset:1040
.LBB244_13:
	s_or_b64 exec, exec, s[4:5]
.LBB244_14:
	s_and_saveexec_b64 s[0:1], s[2:3]
	s_cbranch_execnz .LBB244_16
; %bb.15:
	s_endpgm
.LBB244_16:
	v_add_co_u32_e32 v0, vcc, 0x2000, v10
	s_waitcnt vmcnt(0)
	v_mov_b32_e32 v3, v2
	v_mov_b32_e32 v4, v2
	;; [unrolled: 1-line block ×3, first 2 shown]
	v_addc_co_u32_e32 v1, vcc, 0, v11, vcc
	global_store_dwordx4 v[0:1], v[2:5], off offset:2048
	global_store_dword v[0:1], v2, off offset:2064
	s_endpgm
	.section	.rodata,"a",@progbits
	.p2align	6, 0x0
	.amdhsa_kernel _ZN7rocprim17ROCPRIM_400000_NS6detail17trampoline_kernelINS0_14default_configENS1_25transform_config_selectorI14custom_numericLb0EEEZNS1_14transform_implILb0ES3_S6_NS0_18transform_iteratorINS0_17counting_iteratorImlEEZNS1_24adjacent_difference_implIS3_Lb1ELb0EPS5_SC_N6thrust23THRUST_200600_302600_NS4plusIS5_EEEE10hipError_tPvRmT2_T3_mT4_P12ihipStream_tbEUlmE_S5_EESC_NS0_8identityIvEEEESH_SK_SL_mSM_SO_bEUlT_E_NS1_11comp_targetILNS1_3genE5ELNS1_11target_archE942ELNS1_3gpuE9ELNS1_3repE0EEENS1_30default_config_static_selectorELNS0_4arch9wavefront6targetE1EEEvT1_
		.amdhsa_group_segment_fixed_size 0
		.amdhsa_private_segment_fixed_size 0
		.amdhsa_kernarg_size 312
		.amdhsa_user_sgpr_count 2
		.amdhsa_user_sgpr_dispatch_ptr 0
		.amdhsa_user_sgpr_queue_ptr 0
		.amdhsa_user_sgpr_kernarg_segment_ptr 1
		.amdhsa_user_sgpr_dispatch_id 0
		.amdhsa_user_sgpr_kernarg_preload_length 0
		.amdhsa_user_sgpr_kernarg_preload_offset 0
		.amdhsa_user_sgpr_private_segment_size 0
		.amdhsa_uses_dynamic_stack 0
		.amdhsa_enable_private_segment 0
		.amdhsa_system_sgpr_workgroup_id_x 1
		.amdhsa_system_sgpr_workgroup_id_y 0
		.amdhsa_system_sgpr_workgroup_id_z 0
		.amdhsa_system_sgpr_workgroup_info 0
		.amdhsa_system_vgpr_workitem_id 0
		.amdhsa_next_free_vgpr 16
		.amdhsa_next_free_sgpr 18
		.amdhsa_accum_offset 16
		.amdhsa_reserve_vcc 1
		.amdhsa_float_round_mode_32 0
		.amdhsa_float_round_mode_16_64 0
		.amdhsa_float_denorm_mode_32 3
		.amdhsa_float_denorm_mode_16_64 3
		.amdhsa_dx10_clamp 1
		.amdhsa_ieee_mode 1
		.amdhsa_fp16_overflow 0
		.amdhsa_tg_split 0
		.amdhsa_exception_fp_ieee_invalid_op 0
		.amdhsa_exception_fp_denorm_src 0
		.amdhsa_exception_fp_ieee_div_zero 0
		.amdhsa_exception_fp_ieee_overflow 0
		.amdhsa_exception_fp_ieee_underflow 0
		.amdhsa_exception_fp_ieee_inexact 0
		.amdhsa_exception_int_div_zero 0
	.end_amdhsa_kernel
	.section	.text._ZN7rocprim17ROCPRIM_400000_NS6detail17trampoline_kernelINS0_14default_configENS1_25transform_config_selectorI14custom_numericLb0EEEZNS1_14transform_implILb0ES3_S6_NS0_18transform_iteratorINS0_17counting_iteratorImlEEZNS1_24adjacent_difference_implIS3_Lb1ELb0EPS5_SC_N6thrust23THRUST_200600_302600_NS4plusIS5_EEEE10hipError_tPvRmT2_T3_mT4_P12ihipStream_tbEUlmE_S5_EESC_NS0_8identityIvEEEESH_SK_SL_mSM_SO_bEUlT_E_NS1_11comp_targetILNS1_3genE5ELNS1_11target_archE942ELNS1_3gpuE9ELNS1_3repE0EEENS1_30default_config_static_selectorELNS0_4arch9wavefront6targetE1EEEvT1_,"axG",@progbits,_ZN7rocprim17ROCPRIM_400000_NS6detail17trampoline_kernelINS0_14default_configENS1_25transform_config_selectorI14custom_numericLb0EEEZNS1_14transform_implILb0ES3_S6_NS0_18transform_iteratorINS0_17counting_iteratorImlEEZNS1_24adjacent_difference_implIS3_Lb1ELb0EPS5_SC_N6thrust23THRUST_200600_302600_NS4plusIS5_EEEE10hipError_tPvRmT2_T3_mT4_P12ihipStream_tbEUlmE_S5_EESC_NS0_8identityIvEEEESH_SK_SL_mSM_SO_bEUlT_E_NS1_11comp_targetILNS1_3genE5ELNS1_11target_archE942ELNS1_3gpuE9ELNS1_3repE0EEENS1_30default_config_static_selectorELNS0_4arch9wavefront6targetE1EEEvT1_,comdat
.Lfunc_end244:
	.size	_ZN7rocprim17ROCPRIM_400000_NS6detail17trampoline_kernelINS0_14default_configENS1_25transform_config_selectorI14custom_numericLb0EEEZNS1_14transform_implILb0ES3_S6_NS0_18transform_iteratorINS0_17counting_iteratorImlEEZNS1_24adjacent_difference_implIS3_Lb1ELb0EPS5_SC_N6thrust23THRUST_200600_302600_NS4plusIS5_EEEE10hipError_tPvRmT2_T3_mT4_P12ihipStream_tbEUlmE_S5_EESC_NS0_8identityIvEEEESH_SK_SL_mSM_SO_bEUlT_E_NS1_11comp_targetILNS1_3genE5ELNS1_11target_archE942ELNS1_3gpuE9ELNS1_3repE0EEENS1_30default_config_static_selectorELNS0_4arch9wavefront6targetE1EEEvT1_, .Lfunc_end244-_ZN7rocprim17ROCPRIM_400000_NS6detail17trampoline_kernelINS0_14default_configENS1_25transform_config_selectorI14custom_numericLb0EEEZNS1_14transform_implILb0ES3_S6_NS0_18transform_iteratorINS0_17counting_iteratorImlEEZNS1_24adjacent_difference_implIS3_Lb1ELb0EPS5_SC_N6thrust23THRUST_200600_302600_NS4plusIS5_EEEE10hipError_tPvRmT2_T3_mT4_P12ihipStream_tbEUlmE_S5_EESC_NS0_8identityIvEEEESH_SK_SL_mSM_SO_bEUlT_E_NS1_11comp_targetILNS1_3genE5ELNS1_11target_archE942ELNS1_3gpuE9ELNS1_3repE0EEENS1_30default_config_static_selectorELNS0_4arch9wavefront6targetE1EEEvT1_
                                        ; -- End function
	.section	.AMDGPU.csdata,"",@progbits
; Kernel info:
; codeLenInByte = 808
; NumSgprs: 24
; NumVgprs: 16
; NumAgprs: 0
; TotalNumVgprs: 16
; ScratchSize: 0
; MemoryBound: 0
; FloatMode: 240
; IeeeMode: 1
; LDSByteSize: 0 bytes/workgroup (compile time only)
; SGPRBlocks: 2
; VGPRBlocks: 1
; NumSGPRsForWavesPerEU: 24
; NumVGPRsForWavesPerEU: 16
; AccumOffset: 16
; Occupancy: 8
; WaveLimiterHint : 1
; COMPUTE_PGM_RSRC2:SCRATCH_EN: 0
; COMPUTE_PGM_RSRC2:USER_SGPR: 2
; COMPUTE_PGM_RSRC2:TRAP_HANDLER: 0
; COMPUTE_PGM_RSRC2:TGID_X_EN: 1
; COMPUTE_PGM_RSRC2:TGID_Y_EN: 0
; COMPUTE_PGM_RSRC2:TGID_Z_EN: 0
; COMPUTE_PGM_RSRC2:TIDIG_COMP_CNT: 0
; COMPUTE_PGM_RSRC3_GFX90A:ACCUM_OFFSET: 3
; COMPUTE_PGM_RSRC3_GFX90A:TG_SPLIT: 0
	.section	.text._ZN7rocprim17ROCPRIM_400000_NS6detail17trampoline_kernelINS0_14default_configENS1_25transform_config_selectorI14custom_numericLb0EEEZNS1_14transform_implILb0ES3_S6_NS0_18transform_iteratorINS0_17counting_iteratorImlEEZNS1_24adjacent_difference_implIS3_Lb1ELb0EPS5_SC_N6thrust23THRUST_200600_302600_NS4plusIS5_EEEE10hipError_tPvRmT2_T3_mT4_P12ihipStream_tbEUlmE_S5_EESC_NS0_8identityIvEEEESH_SK_SL_mSM_SO_bEUlT_E_NS1_11comp_targetILNS1_3genE4ELNS1_11target_archE910ELNS1_3gpuE8ELNS1_3repE0EEENS1_30default_config_static_selectorELNS0_4arch9wavefront6targetE1EEEvT1_,"axG",@progbits,_ZN7rocprim17ROCPRIM_400000_NS6detail17trampoline_kernelINS0_14default_configENS1_25transform_config_selectorI14custom_numericLb0EEEZNS1_14transform_implILb0ES3_S6_NS0_18transform_iteratorINS0_17counting_iteratorImlEEZNS1_24adjacent_difference_implIS3_Lb1ELb0EPS5_SC_N6thrust23THRUST_200600_302600_NS4plusIS5_EEEE10hipError_tPvRmT2_T3_mT4_P12ihipStream_tbEUlmE_S5_EESC_NS0_8identityIvEEEESH_SK_SL_mSM_SO_bEUlT_E_NS1_11comp_targetILNS1_3genE4ELNS1_11target_archE910ELNS1_3gpuE8ELNS1_3repE0EEENS1_30default_config_static_selectorELNS0_4arch9wavefront6targetE1EEEvT1_,comdat
	.protected	_ZN7rocprim17ROCPRIM_400000_NS6detail17trampoline_kernelINS0_14default_configENS1_25transform_config_selectorI14custom_numericLb0EEEZNS1_14transform_implILb0ES3_S6_NS0_18transform_iteratorINS0_17counting_iteratorImlEEZNS1_24adjacent_difference_implIS3_Lb1ELb0EPS5_SC_N6thrust23THRUST_200600_302600_NS4plusIS5_EEEE10hipError_tPvRmT2_T3_mT4_P12ihipStream_tbEUlmE_S5_EESC_NS0_8identityIvEEEESH_SK_SL_mSM_SO_bEUlT_E_NS1_11comp_targetILNS1_3genE4ELNS1_11target_archE910ELNS1_3gpuE8ELNS1_3repE0EEENS1_30default_config_static_selectorELNS0_4arch9wavefront6targetE1EEEvT1_ ; -- Begin function _ZN7rocprim17ROCPRIM_400000_NS6detail17trampoline_kernelINS0_14default_configENS1_25transform_config_selectorI14custom_numericLb0EEEZNS1_14transform_implILb0ES3_S6_NS0_18transform_iteratorINS0_17counting_iteratorImlEEZNS1_24adjacent_difference_implIS3_Lb1ELb0EPS5_SC_N6thrust23THRUST_200600_302600_NS4plusIS5_EEEE10hipError_tPvRmT2_T3_mT4_P12ihipStream_tbEUlmE_S5_EESC_NS0_8identityIvEEEESH_SK_SL_mSM_SO_bEUlT_E_NS1_11comp_targetILNS1_3genE4ELNS1_11target_archE910ELNS1_3gpuE8ELNS1_3repE0EEENS1_30default_config_static_selectorELNS0_4arch9wavefront6targetE1EEEvT1_
	.globl	_ZN7rocprim17ROCPRIM_400000_NS6detail17trampoline_kernelINS0_14default_configENS1_25transform_config_selectorI14custom_numericLb0EEEZNS1_14transform_implILb0ES3_S6_NS0_18transform_iteratorINS0_17counting_iteratorImlEEZNS1_24adjacent_difference_implIS3_Lb1ELb0EPS5_SC_N6thrust23THRUST_200600_302600_NS4plusIS5_EEEE10hipError_tPvRmT2_T3_mT4_P12ihipStream_tbEUlmE_S5_EESC_NS0_8identityIvEEEESH_SK_SL_mSM_SO_bEUlT_E_NS1_11comp_targetILNS1_3genE4ELNS1_11target_archE910ELNS1_3gpuE8ELNS1_3repE0EEENS1_30default_config_static_selectorELNS0_4arch9wavefront6targetE1EEEvT1_
	.p2align	8
	.type	_ZN7rocprim17ROCPRIM_400000_NS6detail17trampoline_kernelINS0_14default_configENS1_25transform_config_selectorI14custom_numericLb0EEEZNS1_14transform_implILb0ES3_S6_NS0_18transform_iteratorINS0_17counting_iteratorImlEEZNS1_24adjacent_difference_implIS3_Lb1ELb0EPS5_SC_N6thrust23THRUST_200600_302600_NS4plusIS5_EEEE10hipError_tPvRmT2_T3_mT4_P12ihipStream_tbEUlmE_S5_EESC_NS0_8identityIvEEEESH_SK_SL_mSM_SO_bEUlT_E_NS1_11comp_targetILNS1_3genE4ELNS1_11target_archE910ELNS1_3gpuE8ELNS1_3repE0EEENS1_30default_config_static_selectorELNS0_4arch9wavefront6targetE1EEEvT1_,@function
_ZN7rocprim17ROCPRIM_400000_NS6detail17trampoline_kernelINS0_14default_configENS1_25transform_config_selectorI14custom_numericLb0EEEZNS1_14transform_implILb0ES3_S6_NS0_18transform_iteratorINS0_17counting_iteratorImlEEZNS1_24adjacent_difference_implIS3_Lb1ELb0EPS5_SC_N6thrust23THRUST_200600_302600_NS4plusIS5_EEEE10hipError_tPvRmT2_T3_mT4_P12ihipStream_tbEUlmE_S5_EESC_NS0_8identityIvEEEESH_SK_SL_mSM_SO_bEUlT_E_NS1_11comp_targetILNS1_3genE4ELNS1_11target_archE910ELNS1_3gpuE8ELNS1_3repE0EEENS1_30default_config_static_selectorELNS0_4arch9wavefront6targetE1EEEvT1_: ; @_ZN7rocprim17ROCPRIM_400000_NS6detail17trampoline_kernelINS0_14default_configENS1_25transform_config_selectorI14custom_numericLb0EEEZNS1_14transform_implILb0ES3_S6_NS0_18transform_iteratorINS0_17counting_iteratorImlEEZNS1_24adjacent_difference_implIS3_Lb1ELb0EPS5_SC_N6thrust23THRUST_200600_302600_NS4plusIS5_EEEE10hipError_tPvRmT2_T3_mT4_P12ihipStream_tbEUlmE_S5_EESC_NS0_8identityIvEEEESH_SK_SL_mSM_SO_bEUlT_E_NS1_11comp_targetILNS1_3genE4ELNS1_11target_archE910ELNS1_3gpuE8ELNS1_3repE0EEENS1_30default_config_static_selectorELNS0_4arch9wavefront6targetE1EEEvT1_
; %bb.0:
	.section	.rodata,"a",@progbits
	.p2align	6, 0x0
	.amdhsa_kernel _ZN7rocprim17ROCPRIM_400000_NS6detail17trampoline_kernelINS0_14default_configENS1_25transform_config_selectorI14custom_numericLb0EEEZNS1_14transform_implILb0ES3_S6_NS0_18transform_iteratorINS0_17counting_iteratorImlEEZNS1_24adjacent_difference_implIS3_Lb1ELb0EPS5_SC_N6thrust23THRUST_200600_302600_NS4plusIS5_EEEE10hipError_tPvRmT2_T3_mT4_P12ihipStream_tbEUlmE_S5_EESC_NS0_8identityIvEEEESH_SK_SL_mSM_SO_bEUlT_E_NS1_11comp_targetILNS1_3genE4ELNS1_11target_archE910ELNS1_3gpuE8ELNS1_3repE0EEENS1_30default_config_static_selectorELNS0_4arch9wavefront6targetE1EEEvT1_
		.amdhsa_group_segment_fixed_size 0
		.amdhsa_private_segment_fixed_size 0
		.amdhsa_kernarg_size 56
		.amdhsa_user_sgpr_count 2
		.amdhsa_user_sgpr_dispatch_ptr 0
		.amdhsa_user_sgpr_queue_ptr 0
		.amdhsa_user_sgpr_kernarg_segment_ptr 1
		.amdhsa_user_sgpr_dispatch_id 0
		.amdhsa_user_sgpr_kernarg_preload_length 0
		.amdhsa_user_sgpr_kernarg_preload_offset 0
		.amdhsa_user_sgpr_private_segment_size 0
		.amdhsa_uses_dynamic_stack 0
		.amdhsa_enable_private_segment 0
		.amdhsa_system_sgpr_workgroup_id_x 1
		.amdhsa_system_sgpr_workgroup_id_y 0
		.amdhsa_system_sgpr_workgroup_id_z 0
		.amdhsa_system_sgpr_workgroup_info 0
		.amdhsa_system_vgpr_workitem_id 0
		.amdhsa_next_free_vgpr 1
		.amdhsa_next_free_sgpr 0
		.amdhsa_accum_offset 4
		.amdhsa_reserve_vcc 0
		.amdhsa_float_round_mode_32 0
		.amdhsa_float_round_mode_16_64 0
		.amdhsa_float_denorm_mode_32 3
		.amdhsa_float_denorm_mode_16_64 3
		.amdhsa_dx10_clamp 1
		.amdhsa_ieee_mode 1
		.amdhsa_fp16_overflow 0
		.amdhsa_tg_split 0
		.amdhsa_exception_fp_ieee_invalid_op 0
		.amdhsa_exception_fp_denorm_src 0
		.amdhsa_exception_fp_ieee_div_zero 0
		.amdhsa_exception_fp_ieee_overflow 0
		.amdhsa_exception_fp_ieee_underflow 0
		.amdhsa_exception_fp_ieee_inexact 0
		.amdhsa_exception_int_div_zero 0
	.end_amdhsa_kernel
	.section	.text._ZN7rocprim17ROCPRIM_400000_NS6detail17trampoline_kernelINS0_14default_configENS1_25transform_config_selectorI14custom_numericLb0EEEZNS1_14transform_implILb0ES3_S6_NS0_18transform_iteratorINS0_17counting_iteratorImlEEZNS1_24adjacent_difference_implIS3_Lb1ELb0EPS5_SC_N6thrust23THRUST_200600_302600_NS4plusIS5_EEEE10hipError_tPvRmT2_T3_mT4_P12ihipStream_tbEUlmE_S5_EESC_NS0_8identityIvEEEESH_SK_SL_mSM_SO_bEUlT_E_NS1_11comp_targetILNS1_3genE4ELNS1_11target_archE910ELNS1_3gpuE8ELNS1_3repE0EEENS1_30default_config_static_selectorELNS0_4arch9wavefront6targetE1EEEvT1_,"axG",@progbits,_ZN7rocprim17ROCPRIM_400000_NS6detail17trampoline_kernelINS0_14default_configENS1_25transform_config_selectorI14custom_numericLb0EEEZNS1_14transform_implILb0ES3_S6_NS0_18transform_iteratorINS0_17counting_iteratorImlEEZNS1_24adjacent_difference_implIS3_Lb1ELb0EPS5_SC_N6thrust23THRUST_200600_302600_NS4plusIS5_EEEE10hipError_tPvRmT2_T3_mT4_P12ihipStream_tbEUlmE_S5_EESC_NS0_8identityIvEEEESH_SK_SL_mSM_SO_bEUlT_E_NS1_11comp_targetILNS1_3genE4ELNS1_11target_archE910ELNS1_3gpuE8ELNS1_3repE0EEENS1_30default_config_static_selectorELNS0_4arch9wavefront6targetE1EEEvT1_,comdat
.Lfunc_end245:
	.size	_ZN7rocprim17ROCPRIM_400000_NS6detail17trampoline_kernelINS0_14default_configENS1_25transform_config_selectorI14custom_numericLb0EEEZNS1_14transform_implILb0ES3_S6_NS0_18transform_iteratorINS0_17counting_iteratorImlEEZNS1_24adjacent_difference_implIS3_Lb1ELb0EPS5_SC_N6thrust23THRUST_200600_302600_NS4plusIS5_EEEE10hipError_tPvRmT2_T3_mT4_P12ihipStream_tbEUlmE_S5_EESC_NS0_8identityIvEEEESH_SK_SL_mSM_SO_bEUlT_E_NS1_11comp_targetILNS1_3genE4ELNS1_11target_archE910ELNS1_3gpuE8ELNS1_3repE0EEENS1_30default_config_static_selectorELNS0_4arch9wavefront6targetE1EEEvT1_, .Lfunc_end245-_ZN7rocprim17ROCPRIM_400000_NS6detail17trampoline_kernelINS0_14default_configENS1_25transform_config_selectorI14custom_numericLb0EEEZNS1_14transform_implILb0ES3_S6_NS0_18transform_iteratorINS0_17counting_iteratorImlEEZNS1_24adjacent_difference_implIS3_Lb1ELb0EPS5_SC_N6thrust23THRUST_200600_302600_NS4plusIS5_EEEE10hipError_tPvRmT2_T3_mT4_P12ihipStream_tbEUlmE_S5_EESC_NS0_8identityIvEEEESH_SK_SL_mSM_SO_bEUlT_E_NS1_11comp_targetILNS1_3genE4ELNS1_11target_archE910ELNS1_3gpuE8ELNS1_3repE0EEENS1_30default_config_static_selectorELNS0_4arch9wavefront6targetE1EEEvT1_
                                        ; -- End function
	.section	.AMDGPU.csdata,"",@progbits
; Kernel info:
; codeLenInByte = 0
; NumSgprs: 6
; NumVgprs: 0
; NumAgprs: 0
; TotalNumVgprs: 0
; ScratchSize: 0
; MemoryBound: 0
; FloatMode: 240
; IeeeMode: 1
; LDSByteSize: 0 bytes/workgroup (compile time only)
; SGPRBlocks: 0
; VGPRBlocks: 0
; NumSGPRsForWavesPerEU: 6
; NumVGPRsForWavesPerEU: 1
; AccumOffset: 4
; Occupancy: 8
; WaveLimiterHint : 0
; COMPUTE_PGM_RSRC2:SCRATCH_EN: 0
; COMPUTE_PGM_RSRC2:USER_SGPR: 2
; COMPUTE_PGM_RSRC2:TRAP_HANDLER: 0
; COMPUTE_PGM_RSRC2:TGID_X_EN: 1
; COMPUTE_PGM_RSRC2:TGID_Y_EN: 0
; COMPUTE_PGM_RSRC2:TGID_Z_EN: 0
; COMPUTE_PGM_RSRC2:TIDIG_COMP_CNT: 0
; COMPUTE_PGM_RSRC3_GFX90A:ACCUM_OFFSET: 0
; COMPUTE_PGM_RSRC3_GFX90A:TG_SPLIT: 0
	.section	.text._ZN7rocprim17ROCPRIM_400000_NS6detail17trampoline_kernelINS0_14default_configENS1_25transform_config_selectorI14custom_numericLb0EEEZNS1_14transform_implILb0ES3_S6_NS0_18transform_iteratorINS0_17counting_iteratorImlEEZNS1_24adjacent_difference_implIS3_Lb1ELb0EPS5_SC_N6thrust23THRUST_200600_302600_NS4plusIS5_EEEE10hipError_tPvRmT2_T3_mT4_P12ihipStream_tbEUlmE_S5_EESC_NS0_8identityIvEEEESH_SK_SL_mSM_SO_bEUlT_E_NS1_11comp_targetILNS1_3genE3ELNS1_11target_archE908ELNS1_3gpuE7ELNS1_3repE0EEENS1_30default_config_static_selectorELNS0_4arch9wavefront6targetE1EEEvT1_,"axG",@progbits,_ZN7rocprim17ROCPRIM_400000_NS6detail17trampoline_kernelINS0_14default_configENS1_25transform_config_selectorI14custom_numericLb0EEEZNS1_14transform_implILb0ES3_S6_NS0_18transform_iteratorINS0_17counting_iteratorImlEEZNS1_24adjacent_difference_implIS3_Lb1ELb0EPS5_SC_N6thrust23THRUST_200600_302600_NS4plusIS5_EEEE10hipError_tPvRmT2_T3_mT4_P12ihipStream_tbEUlmE_S5_EESC_NS0_8identityIvEEEESH_SK_SL_mSM_SO_bEUlT_E_NS1_11comp_targetILNS1_3genE3ELNS1_11target_archE908ELNS1_3gpuE7ELNS1_3repE0EEENS1_30default_config_static_selectorELNS0_4arch9wavefront6targetE1EEEvT1_,comdat
	.protected	_ZN7rocprim17ROCPRIM_400000_NS6detail17trampoline_kernelINS0_14default_configENS1_25transform_config_selectorI14custom_numericLb0EEEZNS1_14transform_implILb0ES3_S6_NS0_18transform_iteratorINS0_17counting_iteratorImlEEZNS1_24adjacent_difference_implIS3_Lb1ELb0EPS5_SC_N6thrust23THRUST_200600_302600_NS4plusIS5_EEEE10hipError_tPvRmT2_T3_mT4_P12ihipStream_tbEUlmE_S5_EESC_NS0_8identityIvEEEESH_SK_SL_mSM_SO_bEUlT_E_NS1_11comp_targetILNS1_3genE3ELNS1_11target_archE908ELNS1_3gpuE7ELNS1_3repE0EEENS1_30default_config_static_selectorELNS0_4arch9wavefront6targetE1EEEvT1_ ; -- Begin function _ZN7rocprim17ROCPRIM_400000_NS6detail17trampoline_kernelINS0_14default_configENS1_25transform_config_selectorI14custom_numericLb0EEEZNS1_14transform_implILb0ES3_S6_NS0_18transform_iteratorINS0_17counting_iteratorImlEEZNS1_24adjacent_difference_implIS3_Lb1ELb0EPS5_SC_N6thrust23THRUST_200600_302600_NS4plusIS5_EEEE10hipError_tPvRmT2_T3_mT4_P12ihipStream_tbEUlmE_S5_EESC_NS0_8identityIvEEEESH_SK_SL_mSM_SO_bEUlT_E_NS1_11comp_targetILNS1_3genE3ELNS1_11target_archE908ELNS1_3gpuE7ELNS1_3repE0EEENS1_30default_config_static_selectorELNS0_4arch9wavefront6targetE1EEEvT1_
	.globl	_ZN7rocprim17ROCPRIM_400000_NS6detail17trampoline_kernelINS0_14default_configENS1_25transform_config_selectorI14custom_numericLb0EEEZNS1_14transform_implILb0ES3_S6_NS0_18transform_iteratorINS0_17counting_iteratorImlEEZNS1_24adjacent_difference_implIS3_Lb1ELb0EPS5_SC_N6thrust23THRUST_200600_302600_NS4plusIS5_EEEE10hipError_tPvRmT2_T3_mT4_P12ihipStream_tbEUlmE_S5_EESC_NS0_8identityIvEEEESH_SK_SL_mSM_SO_bEUlT_E_NS1_11comp_targetILNS1_3genE3ELNS1_11target_archE908ELNS1_3gpuE7ELNS1_3repE0EEENS1_30default_config_static_selectorELNS0_4arch9wavefront6targetE1EEEvT1_
	.p2align	8
	.type	_ZN7rocprim17ROCPRIM_400000_NS6detail17trampoline_kernelINS0_14default_configENS1_25transform_config_selectorI14custom_numericLb0EEEZNS1_14transform_implILb0ES3_S6_NS0_18transform_iteratorINS0_17counting_iteratorImlEEZNS1_24adjacent_difference_implIS3_Lb1ELb0EPS5_SC_N6thrust23THRUST_200600_302600_NS4plusIS5_EEEE10hipError_tPvRmT2_T3_mT4_P12ihipStream_tbEUlmE_S5_EESC_NS0_8identityIvEEEESH_SK_SL_mSM_SO_bEUlT_E_NS1_11comp_targetILNS1_3genE3ELNS1_11target_archE908ELNS1_3gpuE7ELNS1_3repE0EEENS1_30default_config_static_selectorELNS0_4arch9wavefront6targetE1EEEvT1_,@function
_ZN7rocprim17ROCPRIM_400000_NS6detail17trampoline_kernelINS0_14default_configENS1_25transform_config_selectorI14custom_numericLb0EEEZNS1_14transform_implILb0ES3_S6_NS0_18transform_iteratorINS0_17counting_iteratorImlEEZNS1_24adjacent_difference_implIS3_Lb1ELb0EPS5_SC_N6thrust23THRUST_200600_302600_NS4plusIS5_EEEE10hipError_tPvRmT2_T3_mT4_P12ihipStream_tbEUlmE_S5_EESC_NS0_8identityIvEEEESH_SK_SL_mSM_SO_bEUlT_E_NS1_11comp_targetILNS1_3genE3ELNS1_11target_archE908ELNS1_3gpuE7ELNS1_3repE0EEENS1_30default_config_static_selectorELNS0_4arch9wavefront6targetE1EEEvT1_: ; @_ZN7rocprim17ROCPRIM_400000_NS6detail17trampoline_kernelINS0_14default_configENS1_25transform_config_selectorI14custom_numericLb0EEEZNS1_14transform_implILb0ES3_S6_NS0_18transform_iteratorINS0_17counting_iteratorImlEEZNS1_24adjacent_difference_implIS3_Lb1ELb0EPS5_SC_N6thrust23THRUST_200600_302600_NS4plusIS5_EEEE10hipError_tPvRmT2_T3_mT4_P12ihipStream_tbEUlmE_S5_EESC_NS0_8identityIvEEEESH_SK_SL_mSM_SO_bEUlT_E_NS1_11comp_targetILNS1_3genE3ELNS1_11target_archE908ELNS1_3gpuE7ELNS1_3repE0EEENS1_30default_config_static_selectorELNS0_4arch9wavefront6targetE1EEEvT1_
; %bb.0:
	.section	.rodata,"a",@progbits
	.p2align	6, 0x0
	.amdhsa_kernel _ZN7rocprim17ROCPRIM_400000_NS6detail17trampoline_kernelINS0_14default_configENS1_25transform_config_selectorI14custom_numericLb0EEEZNS1_14transform_implILb0ES3_S6_NS0_18transform_iteratorINS0_17counting_iteratorImlEEZNS1_24adjacent_difference_implIS3_Lb1ELb0EPS5_SC_N6thrust23THRUST_200600_302600_NS4plusIS5_EEEE10hipError_tPvRmT2_T3_mT4_P12ihipStream_tbEUlmE_S5_EESC_NS0_8identityIvEEEESH_SK_SL_mSM_SO_bEUlT_E_NS1_11comp_targetILNS1_3genE3ELNS1_11target_archE908ELNS1_3gpuE7ELNS1_3repE0EEENS1_30default_config_static_selectorELNS0_4arch9wavefront6targetE1EEEvT1_
		.amdhsa_group_segment_fixed_size 0
		.amdhsa_private_segment_fixed_size 0
		.amdhsa_kernarg_size 56
		.amdhsa_user_sgpr_count 2
		.amdhsa_user_sgpr_dispatch_ptr 0
		.amdhsa_user_sgpr_queue_ptr 0
		.amdhsa_user_sgpr_kernarg_segment_ptr 1
		.amdhsa_user_sgpr_dispatch_id 0
		.amdhsa_user_sgpr_kernarg_preload_length 0
		.amdhsa_user_sgpr_kernarg_preload_offset 0
		.amdhsa_user_sgpr_private_segment_size 0
		.amdhsa_uses_dynamic_stack 0
		.amdhsa_enable_private_segment 0
		.amdhsa_system_sgpr_workgroup_id_x 1
		.amdhsa_system_sgpr_workgroup_id_y 0
		.amdhsa_system_sgpr_workgroup_id_z 0
		.amdhsa_system_sgpr_workgroup_info 0
		.amdhsa_system_vgpr_workitem_id 0
		.amdhsa_next_free_vgpr 1
		.amdhsa_next_free_sgpr 0
		.amdhsa_accum_offset 4
		.amdhsa_reserve_vcc 0
		.amdhsa_float_round_mode_32 0
		.amdhsa_float_round_mode_16_64 0
		.amdhsa_float_denorm_mode_32 3
		.amdhsa_float_denorm_mode_16_64 3
		.amdhsa_dx10_clamp 1
		.amdhsa_ieee_mode 1
		.amdhsa_fp16_overflow 0
		.amdhsa_tg_split 0
		.amdhsa_exception_fp_ieee_invalid_op 0
		.amdhsa_exception_fp_denorm_src 0
		.amdhsa_exception_fp_ieee_div_zero 0
		.amdhsa_exception_fp_ieee_overflow 0
		.amdhsa_exception_fp_ieee_underflow 0
		.amdhsa_exception_fp_ieee_inexact 0
		.amdhsa_exception_int_div_zero 0
	.end_amdhsa_kernel
	.section	.text._ZN7rocprim17ROCPRIM_400000_NS6detail17trampoline_kernelINS0_14default_configENS1_25transform_config_selectorI14custom_numericLb0EEEZNS1_14transform_implILb0ES3_S6_NS0_18transform_iteratorINS0_17counting_iteratorImlEEZNS1_24adjacent_difference_implIS3_Lb1ELb0EPS5_SC_N6thrust23THRUST_200600_302600_NS4plusIS5_EEEE10hipError_tPvRmT2_T3_mT4_P12ihipStream_tbEUlmE_S5_EESC_NS0_8identityIvEEEESH_SK_SL_mSM_SO_bEUlT_E_NS1_11comp_targetILNS1_3genE3ELNS1_11target_archE908ELNS1_3gpuE7ELNS1_3repE0EEENS1_30default_config_static_selectorELNS0_4arch9wavefront6targetE1EEEvT1_,"axG",@progbits,_ZN7rocprim17ROCPRIM_400000_NS6detail17trampoline_kernelINS0_14default_configENS1_25transform_config_selectorI14custom_numericLb0EEEZNS1_14transform_implILb0ES3_S6_NS0_18transform_iteratorINS0_17counting_iteratorImlEEZNS1_24adjacent_difference_implIS3_Lb1ELb0EPS5_SC_N6thrust23THRUST_200600_302600_NS4plusIS5_EEEE10hipError_tPvRmT2_T3_mT4_P12ihipStream_tbEUlmE_S5_EESC_NS0_8identityIvEEEESH_SK_SL_mSM_SO_bEUlT_E_NS1_11comp_targetILNS1_3genE3ELNS1_11target_archE908ELNS1_3gpuE7ELNS1_3repE0EEENS1_30default_config_static_selectorELNS0_4arch9wavefront6targetE1EEEvT1_,comdat
.Lfunc_end246:
	.size	_ZN7rocprim17ROCPRIM_400000_NS6detail17trampoline_kernelINS0_14default_configENS1_25transform_config_selectorI14custom_numericLb0EEEZNS1_14transform_implILb0ES3_S6_NS0_18transform_iteratorINS0_17counting_iteratorImlEEZNS1_24adjacent_difference_implIS3_Lb1ELb0EPS5_SC_N6thrust23THRUST_200600_302600_NS4plusIS5_EEEE10hipError_tPvRmT2_T3_mT4_P12ihipStream_tbEUlmE_S5_EESC_NS0_8identityIvEEEESH_SK_SL_mSM_SO_bEUlT_E_NS1_11comp_targetILNS1_3genE3ELNS1_11target_archE908ELNS1_3gpuE7ELNS1_3repE0EEENS1_30default_config_static_selectorELNS0_4arch9wavefront6targetE1EEEvT1_, .Lfunc_end246-_ZN7rocprim17ROCPRIM_400000_NS6detail17trampoline_kernelINS0_14default_configENS1_25transform_config_selectorI14custom_numericLb0EEEZNS1_14transform_implILb0ES3_S6_NS0_18transform_iteratorINS0_17counting_iteratorImlEEZNS1_24adjacent_difference_implIS3_Lb1ELb0EPS5_SC_N6thrust23THRUST_200600_302600_NS4plusIS5_EEEE10hipError_tPvRmT2_T3_mT4_P12ihipStream_tbEUlmE_S5_EESC_NS0_8identityIvEEEESH_SK_SL_mSM_SO_bEUlT_E_NS1_11comp_targetILNS1_3genE3ELNS1_11target_archE908ELNS1_3gpuE7ELNS1_3repE0EEENS1_30default_config_static_selectorELNS0_4arch9wavefront6targetE1EEEvT1_
                                        ; -- End function
	.section	.AMDGPU.csdata,"",@progbits
; Kernel info:
; codeLenInByte = 0
; NumSgprs: 6
; NumVgprs: 0
; NumAgprs: 0
; TotalNumVgprs: 0
; ScratchSize: 0
; MemoryBound: 0
; FloatMode: 240
; IeeeMode: 1
; LDSByteSize: 0 bytes/workgroup (compile time only)
; SGPRBlocks: 0
; VGPRBlocks: 0
; NumSGPRsForWavesPerEU: 6
; NumVGPRsForWavesPerEU: 1
; AccumOffset: 4
; Occupancy: 8
; WaveLimiterHint : 0
; COMPUTE_PGM_RSRC2:SCRATCH_EN: 0
; COMPUTE_PGM_RSRC2:USER_SGPR: 2
; COMPUTE_PGM_RSRC2:TRAP_HANDLER: 0
; COMPUTE_PGM_RSRC2:TGID_X_EN: 1
; COMPUTE_PGM_RSRC2:TGID_Y_EN: 0
; COMPUTE_PGM_RSRC2:TGID_Z_EN: 0
; COMPUTE_PGM_RSRC2:TIDIG_COMP_CNT: 0
; COMPUTE_PGM_RSRC3_GFX90A:ACCUM_OFFSET: 0
; COMPUTE_PGM_RSRC3_GFX90A:TG_SPLIT: 0
	.section	.text._ZN7rocprim17ROCPRIM_400000_NS6detail17trampoline_kernelINS0_14default_configENS1_25transform_config_selectorI14custom_numericLb0EEEZNS1_14transform_implILb0ES3_S6_NS0_18transform_iteratorINS0_17counting_iteratorImlEEZNS1_24adjacent_difference_implIS3_Lb1ELb0EPS5_SC_N6thrust23THRUST_200600_302600_NS4plusIS5_EEEE10hipError_tPvRmT2_T3_mT4_P12ihipStream_tbEUlmE_S5_EESC_NS0_8identityIvEEEESH_SK_SL_mSM_SO_bEUlT_E_NS1_11comp_targetILNS1_3genE2ELNS1_11target_archE906ELNS1_3gpuE6ELNS1_3repE0EEENS1_30default_config_static_selectorELNS0_4arch9wavefront6targetE1EEEvT1_,"axG",@progbits,_ZN7rocprim17ROCPRIM_400000_NS6detail17trampoline_kernelINS0_14default_configENS1_25transform_config_selectorI14custom_numericLb0EEEZNS1_14transform_implILb0ES3_S6_NS0_18transform_iteratorINS0_17counting_iteratorImlEEZNS1_24adjacent_difference_implIS3_Lb1ELb0EPS5_SC_N6thrust23THRUST_200600_302600_NS4plusIS5_EEEE10hipError_tPvRmT2_T3_mT4_P12ihipStream_tbEUlmE_S5_EESC_NS0_8identityIvEEEESH_SK_SL_mSM_SO_bEUlT_E_NS1_11comp_targetILNS1_3genE2ELNS1_11target_archE906ELNS1_3gpuE6ELNS1_3repE0EEENS1_30default_config_static_selectorELNS0_4arch9wavefront6targetE1EEEvT1_,comdat
	.protected	_ZN7rocprim17ROCPRIM_400000_NS6detail17trampoline_kernelINS0_14default_configENS1_25transform_config_selectorI14custom_numericLb0EEEZNS1_14transform_implILb0ES3_S6_NS0_18transform_iteratorINS0_17counting_iteratorImlEEZNS1_24adjacent_difference_implIS3_Lb1ELb0EPS5_SC_N6thrust23THRUST_200600_302600_NS4plusIS5_EEEE10hipError_tPvRmT2_T3_mT4_P12ihipStream_tbEUlmE_S5_EESC_NS0_8identityIvEEEESH_SK_SL_mSM_SO_bEUlT_E_NS1_11comp_targetILNS1_3genE2ELNS1_11target_archE906ELNS1_3gpuE6ELNS1_3repE0EEENS1_30default_config_static_selectorELNS0_4arch9wavefront6targetE1EEEvT1_ ; -- Begin function _ZN7rocprim17ROCPRIM_400000_NS6detail17trampoline_kernelINS0_14default_configENS1_25transform_config_selectorI14custom_numericLb0EEEZNS1_14transform_implILb0ES3_S6_NS0_18transform_iteratorINS0_17counting_iteratorImlEEZNS1_24adjacent_difference_implIS3_Lb1ELb0EPS5_SC_N6thrust23THRUST_200600_302600_NS4plusIS5_EEEE10hipError_tPvRmT2_T3_mT4_P12ihipStream_tbEUlmE_S5_EESC_NS0_8identityIvEEEESH_SK_SL_mSM_SO_bEUlT_E_NS1_11comp_targetILNS1_3genE2ELNS1_11target_archE906ELNS1_3gpuE6ELNS1_3repE0EEENS1_30default_config_static_selectorELNS0_4arch9wavefront6targetE1EEEvT1_
	.globl	_ZN7rocprim17ROCPRIM_400000_NS6detail17trampoline_kernelINS0_14default_configENS1_25transform_config_selectorI14custom_numericLb0EEEZNS1_14transform_implILb0ES3_S6_NS0_18transform_iteratorINS0_17counting_iteratorImlEEZNS1_24adjacent_difference_implIS3_Lb1ELb0EPS5_SC_N6thrust23THRUST_200600_302600_NS4plusIS5_EEEE10hipError_tPvRmT2_T3_mT4_P12ihipStream_tbEUlmE_S5_EESC_NS0_8identityIvEEEESH_SK_SL_mSM_SO_bEUlT_E_NS1_11comp_targetILNS1_3genE2ELNS1_11target_archE906ELNS1_3gpuE6ELNS1_3repE0EEENS1_30default_config_static_selectorELNS0_4arch9wavefront6targetE1EEEvT1_
	.p2align	8
	.type	_ZN7rocprim17ROCPRIM_400000_NS6detail17trampoline_kernelINS0_14default_configENS1_25transform_config_selectorI14custom_numericLb0EEEZNS1_14transform_implILb0ES3_S6_NS0_18transform_iteratorINS0_17counting_iteratorImlEEZNS1_24adjacent_difference_implIS3_Lb1ELb0EPS5_SC_N6thrust23THRUST_200600_302600_NS4plusIS5_EEEE10hipError_tPvRmT2_T3_mT4_P12ihipStream_tbEUlmE_S5_EESC_NS0_8identityIvEEEESH_SK_SL_mSM_SO_bEUlT_E_NS1_11comp_targetILNS1_3genE2ELNS1_11target_archE906ELNS1_3gpuE6ELNS1_3repE0EEENS1_30default_config_static_selectorELNS0_4arch9wavefront6targetE1EEEvT1_,@function
_ZN7rocprim17ROCPRIM_400000_NS6detail17trampoline_kernelINS0_14default_configENS1_25transform_config_selectorI14custom_numericLb0EEEZNS1_14transform_implILb0ES3_S6_NS0_18transform_iteratorINS0_17counting_iteratorImlEEZNS1_24adjacent_difference_implIS3_Lb1ELb0EPS5_SC_N6thrust23THRUST_200600_302600_NS4plusIS5_EEEE10hipError_tPvRmT2_T3_mT4_P12ihipStream_tbEUlmE_S5_EESC_NS0_8identityIvEEEESH_SK_SL_mSM_SO_bEUlT_E_NS1_11comp_targetILNS1_3genE2ELNS1_11target_archE906ELNS1_3gpuE6ELNS1_3repE0EEENS1_30default_config_static_selectorELNS0_4arch9wavefront6targetE1EEEvT1_: ; @_ZN7rocprim17ROCPRIM_400000_NS6detail17trampoline_kernelINS0_14default_configENS1_25transform_config_selectorI14custom_numericLb0EEEZNS1_14transform_implILb0ES3_S6_NS0_18transform_iteratorINS0_17counting_iteratorImlEEZNS1_24adjacent_difference_implIS3_Lb1ELb0EPS5_SC_N6thrust23THRUST_200600_302600_NS4plusIS5_EEEE10hipError_tPvRmT2_T3_mT4_P12ihipStream_tbEUlmE_S5_EESC_NS0_8identityIvEEEESH_SK_SL_mSM_SO_bEUlT_E_NS1_11comp_targetILNS1_3genE2ELNS1_11target_archE906ELNS1_3gpuE6ELNS1_3repE0EEENS1_30default_config_static_selectorELNS0_4arch9wavefront6targetE1EEEvT1_
; %bb.0:
	.section	.rodata,"a",@progbits
	.p2align	6, 0x0
	.amdhsa_kernel _ZN7rocprim17ROCPRIM_400000_NS6detail17trampoline_kernelINS0_14default_configENS1_25transform_config_selectorI14custom_numericLb0EEEZNS1_14transform_implILb0ES3_S6_NS0_18transform_iteratorINS0_17counting_iteratorImlEEZNS1_24adjacent_difference_implIS3_Lb1ELb0EPS5_SC_N6thrust23THRUST_200600_302600_NS4plusIS5_EEEE10hipError_tPvRmT2_T3_mT4_P12ihipStream_tbEUlmE_S5_EESC_NS0_8identityIvEEEESH_SK_SL_mSM_SO_bEUlT_E_NS1_11comp_targetILNS1_3genE2ELNS1_11target_archE906ELNS1_3gpuE6ELNS1_3repE0EEENS1_30default_config_static_selectorELNS0_4arch9wavefront6targetE1EEEvT1_
		.amdhsa_group_segment_fixed_size 0
		.amdhsa_private_segment_fixed_size 0
		.amdhsa_kernarg_size 56
		.amdhsa_user_sgpr_count 2
		.amdhsa_user_sgpr_dispatch_ptr 0
		.amdhsa_user_sgpr_queue_ptr 0
		.amdhsa_user_sgpr_kernarg_segment_ptr 1
		.amdhsa_user_sgpr_dispatch_id 0
		.amdhsa_user_sgpr_kernarg_preload_length 0
		.amdhsa_user_sgpr_kernarg_preload_offset 0
		.amdhsa_user_sgpr_private_segment_size 0
		.amdhsa_uses_dynamic_stack 0
		.amdhsa_enable_private_segment 0
		.amdhsa_system_sgpr_workgroup_id_x 1
		.amdhsa_system_sgpr_workgroup_id_y 0
		.amdhsa_system_sgpr_workgroup_id_z 0
		.amdhsa_system_sgpr_workgroup_info 0
		.amdhsa_system_vgpr_workitem_id 0
		.amdhsa_next_free_vgpr 1
		.amdhsa_next_free_sgpr 0
		.amdhsa_accum_offset 4
		.amdhsa_reserve_vcc 0
		.amdhsa_float_round_mode_32 0
		.amdhsa_float_round_mode_16_64 0
		.amdhsa_float_denorm_mode_32 3
		.amdhsa_float_denorm_mode_16_64 3
		.amdhsa_dx10_clamp 1
		.amdhsa_ieee_mode 1
		.amdhsa_fp16_overflow 0
		.amdhsa_tg_split 0
		.amdhsa_exception_fp_ieee_invalid_op 0
		.amdhsa_exception_fp_denorm_src 0
		.amdhsa_exception_fp_ieee_div_zero 0
		.amdhsa_exception_fp_ieee_overflow 0
		.amdhsa_exception_fp_ieee_underflow 0
		.amdhsa_exception_fp_ieee_inexact 0
		.amdhsa_exception_int_div_zero 0
	.end_amdhsa_kernel
	.section	.text._ZN7rocprim17ROCPRIM_400000_NS6detail17trampoline_kernelINS0_14default_configENS1_25transform_config_selectorI14custom_numericLb0EEEZNS1_14transform_implILb0ES3_S6_NS0_18transform_iteratorINS0_17counting_iteratorImlEEZNS1_24adjacent_difference_implIS3_Lb1ELb0EPS5_SC_N6thrust23THRUST_200600_302600_NS4plusIS5_EEEE10hipError_tPvRmT2_T3_mT4_P12ihipStream_tbEUlmE_S5_EESC_NS0_8identityIvEEEESH_SK_SL_mSM_SO_bEUlT_E_NS1_11comp_targetILNS1_3genE2ELNS1_11target_archE906ELNS1_3gpuE6ELNS1_3repE0EEENS1_30default_config_static_selectorELNS0_4arch9wavefront6targetE1EEEvT1_,"axG",@progbits,_ZN7rocprim17ROCPRIM_400000_NS6detail17trampoline_kernelINS0_14default_configENS1_25transform_config_selectorI14custom_numericLb0EEEZNS1_14transform_implILb0ES3_S6_NS0_18transform_iteratorINS0_17counting_iteratorImlEEZNS1_24adjacent_difference_implIS3_Lb1ELb0EPS5_SC_N6thrust23THRUST_200600_302600_NS4plusIS5_EEEE10hipError_tPvRmT2_T3_mT4_P12ihipStream_tbEUlmE_S5_EESC_NS0_8identityIvEEEESH_SK_SL_mSM_SO_bEUlT_E_NS1_11comp_targetILNS1_3genE2ELNS1_11target_archE906ELNS1_3gpuE6ELNS1_3repE0EEENS1_30default_config_static_selectorELNS0_4arch9wavefront6targetE1EEEvT1_,comdat
.Lfunc_end247:
	.size	_ZN7rocprim17ROCPRIM_400000_NS6detail17trampoline_kernelINS0_14default_configENS1_25transform_config_selectorI14custom_numericLb0EEEZNS1_14transform_implILb0ES3_S6_NS0_18transform_iteratorINS0_17counting_iteratorImlEEZNS1_24adjacent_difference_implIS3_Lb1ELb0EPS5_SC_N6thrust23THRUST_200600_302600_NS4plusIS5_EEEE10hipError_tPvRmT2_T3_mT4_P12ihipStream_tbEUlmE_S5_EESC_NS0_8identityIvEEEESH_SK_SL_mSM_SO_bEUlT_E_NS1_11comp_targetILNS1_3genE2ELNS1_11target_archE906ELNS1_3gpuE6ELNS1_3repE0EEENS1_30default_config_static_selectorELNS0_4arch9wavefront6targetE1EEEvT1_, .Lfunc_end247-_ZN7rocprim17ROCPRIM_400000_NS6detail17trampoline_kernelINS0_14default_configENS1_25transform_config_selectorI14custom_numericLb0EEEZNS1_14transform_implILb0ES3_S6_NS0_18transform_iteratorINS0_17counting_iteratorImlEEZNS1_24adjacent_difference_implIS3_Lb1ELb0EPS5_SC_N6thrust23THRUST_200600_302600_NS4plusIS5_EEEE10hipError_tPvRmT2_T3_mT4_P12ihipStream_tbEUlmE_S5_EESC_NS0_8identityIvEEEESH_SK_SL_mSM_SO_bEUlT_E_NS1_11comp_targetILNS1_3genE2ELNS1_11target_archE906ELNS1_3gpuE6ELNS1_3repE0EEENS1_30default_config_static_selectorELNS0_4arch9wavefront6targetE1EEEvT1_
                                        ; -- End function
	.section	.AMDGPU.csdata,"",@progbits
; Kernel info:
; codeLenInByte = 0
; NumSgprs: 6
; NumVgprs: 0
; NumAgprs: 0
; TotalNumVgprs: 0
; ScratchSize: 0
; MemoryBound: 0
; FloatMode: 240
; IeeeMode: 1
; LDSByteSize: 0 bytes/workgroup (compile time only)
; SGPRBlocks: 0
; VGPRBlocks: 0
; NumSGPRsForWavesPerEU: 6
; NumVGPRsForWavesPerEU: 1
; AccumOffset: 4
; Occupancy: 8
; WaveLimiterHint : 0
; COMPUTE_PGM_RSRC2:SCRATCH_EN: 0
; COMPUTE_PGM_RSRC2:USER_SGPR: 2
; COMPUTE_PGM_RSRC2:TRAP_HANDLER: 0
; COMPUTE_PGM_RSRC2:TGID_X_EN: 1
; COMPUTE_PGM_RSRC2:TGID_Y_EN: 0
; COMPUTE_PGM_RSRC2:TGID_Z_EN: 0
; COMPUTE_PGM_RSRC2:TIDIG_COMP_CNT: 0
; COMPUTE_PGM_RSRC3_GFX90A:ACCUM_OFFSET: 0
; COMPUTE_PGM_RSRC3_GFX90A:TG_SPLIT: 0
	.section	.text._ZN7rocprim17ROCPRIM_400000_NS6detail17trampoline_kernelINS0_14default_configENS1_25transform_config_selectorI14custom_numericLb0EEEZNS1_14transform_implILb0ES3_S6_NS0_18transform_iteratorINS0_17counting_iteratorImlEEZNS1_24adjacent_difference_implIS3_Lb1ELb0EPS5_SC_N6thrust23THRUST_200600_302600_NS4plusIS5_EEEE10hipError_tPvRmT2_T3_mT4_P12ihipStream_tbEUlmE_S5_EESC_NS0_8identityIvEEEESH_SK_SL_mSM_SO_bEUlT_E_NS1_11comp_targetILNS1_3genE10ELNS1_11target_archE1201ELNS1_3gpuE5ELNS1_3repE0EEENS1_30default_config_static_selectorELNS0_4arch9wavefront6targetE1EEEvT1_,"axG",@progbits,_ZN7rocprim17ROCPRIM_400000_NS6detail17trampoline_kernelINS0_14default_configENS1_25transform_config_selectorI14custom_numericLb0EEEZNS1_14transform_implILb0ES3_S6_NS0_18transform_iteratorINS0_17counting_iteratorImlEEZNS1_24adjacent_difference_implIS3_Lb1ELb0EPS5_SC_N6thrust23THRUST_200600_302600_NS4plusIS5_EEEE10hipError_tPvRmT2_T3_mT4_P12ihipStream_tbEUlmE_S5_EESC_NS0_8identityIvEEEESH_SK_SL_mSM_SO_bEUlT_E_NS1_11comp_targetILNS1_3genE10ELNS1_11target_archE1201ELNS1_3gpuE5ELNS1_3repE0EEENS1_30default_config_static_selectorELNS0_4arch9wavefront6targetE1EEEvT1_,comdat
	.protected	_ZN7rocprim17ROCPRIM_400000_NS6detail17trampoline_kernelINS0_14default_configENS1_25transform_config_selectorI14custom_numericLb0EEEZNS1_14transform_implILb0ES3_S6_NS0_18transform_iteratorINS0_17counting_iteratorImlEEZNS1_24adjacent_difference_implIS3_Lb1ELb0EPS5_SC_N6thrust23THRUST_200600_302600_NS4plusIS5_EEEE10hipError_tPvRmT2_T3_mT4_P12ihipStream_tbEUlmE_S5_EESC_NS0_8identityIvEEEESH_SK_SL_mSM_SO_bEUlT_E_NS1_11comp_targetILNS1_3genE10ELNS1_11target_archE1201ELNS1_3gpuE5ELNS1_3repE0EEENS1_30default_config_static_selectorELNS0_4arch9wavefront6targetE1EEEvT1_ ; -- Begin function _ZN7rocprim17ROCPRIM_400000_NS6detail17trampoline_kernelINS0_14default_configENS1_25transform_config_selectorI14custom_numericLb0EEEZNS1_14transform_implILb0ES3_S6_NS0_18transform_iteratorINS0_17counting_iteratorImlEEZNS1_24adjacent_difference_implIS3_Lb1ELb0EPS5_SC_N6thrust23THRUST_200600_302600_NS4plusIS5_EEEE10hipError_tPvRmT2_T3_mT4_P12ihipStream_tbEUlmE_S5_EESC_NS0_8identityIvEEEESH_SK_SL_mSM_SO_bEUlT_E_NS1_11comp_targetILNS1_3genE10ELNS1_11target_archE1201ELNS1_3gpuE5ELNS1_3repE0EEENS1_30default_config_static_selectorELNS0_4arch9wavefront6targetE1EEEvT1_
	.globl	_ZN7rocprim17ROCPRIM_400000_NS6detail17trampoline_kernelINS0_14default_configENS1_25transform_config_selectorI14custom_numericLb0EEEZNS1_14transform_implILb0ES3_S6_NS0_18transform_iteratorINS0_17counting_iteratorImlEEZNS1_24adjacent_difference_implIS3_Lb1ELb0EPS5_SC_N6thrust23THRUST_200600_302600_NS4plusIS5_EEEE10hipError_tPvRmT2_T3_mT4_P12ihipStream_tbEUlmE_S5_EESC_NS0_8identityIvEEEESH_SK_SL_mSM_SO_bEUlT_E_NS1_11comp_targetILNS1_3genE10ELNS1_11target_archE1201ELNS1_3gpuE5ELNS1_3repE0EEENS1_30default_config_static_selectorELNS0_4arch9wavefront6targetE1EEEvT1_
	.p2align	8
	.type	_ZN7rocprim17ROCPRIM_400000_NS6detail17trampoline_kernelINS0_14default_configENS1_25transform_config_selectorI14custom_numericLb0EEEZNS1_14transform_implILb0ES3_S6_NS0_18transform_iteratorINS0_17counting_iteratorImlEEZNS1_24adjacent_difference_implIS3_Lb1ELb0EPS5_SC_N6thrust23THRUST_200600_302600_NS4plusIS5_EEEE10hipError_tPvRmT2_T3_mT4_P12ihipStream_tbEUlmE_S5_EESC_NS0_8identityIvEEEESH_SK_SL_mSM_SO_bEUlT_E_NS1_11comp_targetILNS1_3genE10ELNS1_11target_archE1201ELNS1_3gpuE5ELNS1_3repE0EEENS1_30default_config_static_selectorELNS0_4arch9wavefront6targetE1EEEvT1_,@function
_ZN7rocprim17ROCPRIM_400000_NS6detail17trampoline_kernelINS0_14default_configENS1_25transform_config_selectorI14custom_numericLb0EEEZNS1_14transform_implILb0ES3_S6_NS0_18transform_iteratorINS0_17counting_iteratorImlEEZNS1_24adjacent_difference_implIS3_Lb1ELb0EPS5_SC_N6thrust23THRUST_200600_302600_NS4plusIS5_EEEE10hipError_tPvRmT2_T3_mT4_P12ihipStream_tbEUlmE_S5_EESC_NS0_8identityIvEEEESH_SK_SL_mSM_SO_bEUlT_E_NS1_11comp_targetILNS1_3genE10ELNS1_11target_archE1201ELNS1_3gpuE5ELNS1_3repE0EEENS1_30default_config_static_selectorELNS0_4arch9wavefront6targetE1EEEvT1_: ; @_ZN7rocprim17ROCPRIM_400000_NS6detail17trampoline_kernelINS0_14default_configENS1_25transform_config_selectorI14custom_numericLb0EEEZNS1_14transform_implILb0ES3_S6_NS0_18transform_iteratorINS0_17counting_iteratorImlEEZNS1_24adjacent_difference_implIS3_Lb1ELb0EPS5_SC_N6thrust23THRUST_200600_302600_NS4plusIS5_EEEE10hipError_tPvRmT2_T3_mT4_P12ihipStream_tbEUlmE_S5_EESC_NS0_8identityIvEEEESH_SK_SL_mSM_SO_bEUlT_E_NS1_11comp_targetILNS1_3genE10ELNS1_11target_archE1201ELNS1_3gpuE5ELNS1_3repE0EEENS1_30default_config_static_selectorELNS0_4arch9wavefront6targetE1EEEvT1_
; %bb.0:
	.section	.rodata,"a",@progbits
	.p2align	6, 0x0
	.amdhsa_kernel _ZN7rocprim17ROCPRIM_400000_NS6detail17trampoline_kernelINS0_14default_configENS1_25transform_config_selectorI14custom_numericLb0EEEZNS1_14transform_implILb0ES3_S6_NS0_18transform_iteratorINS0_17counting_iteratorImlEEZNS1_24adjacent_difference_implIS3_Lb1ELb0EPS5_SC_N6thrust23THRUST_200600_302600_NS4plusIS5_EEEE10hipError_tPvRmT2_T3_mT4_P12ihipStream_tbEUlmE_S5_EESC_NS0_8identityIvEEEESH_SK_SL_mSM_SO_bEUlT_E_NS1_11comp_targetILNS1_3genE10ELNS1_11target_archE1201ELNS1_3gpuE5ELNS1_3repE0EEENS1_30default_config_static_selectorELNS0_4arch9wavefront6targetE1EEEvT1_
		.amdhsa_group_segment_fixed_size 0
		.amdhsa_private_segment_fixed_size 0
		.amdhsa_kernarg_size 56
		.amdhsa_user_sgpr_count 2
		.amdhsa_user_sgpr_dispatch_ptr 0
		.amdhsa_user_sgpr_queue_ptr 0
		.amdhsa_user_sgpr_kernarg_segment_ptr 1
		.amdhsa_user_sgpr_dispatch_id 0
		.amdhsa_user_sgpr_kernarg_preload_length 0
		.amdhsa_user_sgpr_kernarg_preload_offset 0
		.amdhsa_user_sgpr_private_segment_size 0
		.amdhsa_uses_dynamic_stack 0
		.amdhsa_enable_private_segment 0
		.amdhsa_system_sgpr_workgroup_id_x 1
		.amdhsa_system_sgpr_workgroup_id_y 0
		.amdhsa_system_sgpr_workgroup_id_z 0
		.amdhsa_system_sgpr_workgroup_info 0
		.amdhsa_system_vgpr_workitem_id 0
		.amdhsa_next_free_vgpr 1
		.amdhsa_next_free_sgpr 0
		.amdhsa_accum_offset 4
		.amdhsa_reserve_vcc 0
		.amdhsa_float_round_mode_32 0
		.amdhsa_float_round_mode_16_64 0
		.amdhsa_float_denorm_mode_32 3
		.amdhsa_float_denorm_mode_16_64 3
		.amdhsa_dx10_clamp 1
		.amdhsa_ieee_mode 1
		.amdhsa_fp16_overflow 0
		.amdhsa_tg_split 0
		.amdhsa_exception_fp_ieee_invalid_op 0
		.amdhsa_exception_fp_denorm_src 0
		.amdhsa_exception_fp_ieee_div_zero 0
		.amdhsa_exception_fp_ieee_overflow 0
		.amdhsa_exception_fp_ieee_underflow 0
		.amdhsa_exception_fp_ieee_inexact 0
		.amdhsa_exception_int_div_zero 0
	.end_amdhsa_kernel
	.section	.text._ZN7rocprim17ROCPRIM_400000_NS6detail17trampoline_kernelINS0_14default_configENS1_25transform_config_selectorI14custom_numericLb0EEEZNS1_14transform_implILb0ES3_S6_NS0_18transform_iteratorINS0_17counting_iteratorImlEEZNS1_24adjacent_difference_implIS3_Lb1ELb0EPS5_SC_N6thrust23THRUST_200600_302600_NS4plusIS5_EEEE10hipError_tPvRmT2_T3_mT4_P12ihipStream_tbEUlmE_S5_EESC_NS0_8identityIvEEEESH_SK_SL_mSM_SO_bEUlT_E_NS1_11comp_targetILNS1_3genE10ELNS1_11target_archE1201ELNS1_3gpuE5ELNS1_3repE0EEENS1_30default_config_static_selectorELNS0_4arch9wavefront6targetE1EEEvT1_,"axG",@progbits,_ZN7rocprim17ROCPRIM_400000_NS6detail17trampoline_kernelINS0_14default_configENS1_25transform_config_selectorI14custom_numericLb0EEEZNS1_14transform_implILb0ES3_S6_NS0_18transform_iteratorINS0_17counting_iteratorImlEEZNS1_24adjacent_difference_implIS3_Lb1ELb0EPS5_SC_N6thrust23THRUST_200600_302600_NS4plusIS5_EEEE10hipError_tPvRmT2_T3_mT4_P12ihipStream_tbEUlmE_S5_EESC_NS0_8identityIvEEEESH_SK_SL_mSM_SO_bEUlT_E_NS1_11comp_targetILNS1_3genE10ELNS1_11target_archE1201ELNS1_3gpuE5ELNS1_3repE0EEENS1_30default_config_static_selectorELNS0_4arch9wavefront6targetE1EEEvT1_,comdat
.Lfunc_end248:
	.size	_ZN7rocprim17ROCPRIM_400000_NS6detail17trampoline_kernelINS0_14default_configENS1_25transform_config_selectorI14custom_numericLb0EEEZNS1_14transform_implILb0ES3_S6_NS0_18transform_iteratorINS0_17counting_iteratorImlEEZNS1_24adjacent_difference_implIS3_Lb1ELb0EPS5_SC_N6thrust23THRUST_200600_302600_NS4plusIS5_EEEE10hipError_tPvRmT2_T3_mT4_P12ihipStream_tbEUlmE_S5_EESC_NS0_8identityIvEEEESH_SK_SL_mSM_SO_bEUlT_E_NS1_11comp_targetILNS1_3genE10ELNS1_11target_archE1201ELNS1_3gpuE5ELNS1_3repE0EEENS1_30default_config_static_selectorELNS0_4arch9wavefront6targetE1EEEvT1_, .Lfunc_end248-_ZN7rocprim17ROCPRIM_400000_NS6detail17trampoline_kernelINS0_14default_configENS1_25transform_config_selectorI14custom_numericLb0EEEZNS1_14transform_implILb0ES3_S6_NS0_18transform_iteratorINS0_17counting_iteratorImlEEZNS1_24adjacent_difference_implIS3_Lb1ELb0EPS5_SC_N6thrust23THRUST_200600_302600_NS4plusIS5_EEEE10hipError_tPvRmT2_T3_mT4_P12ihipStream_tbEUlmE_S5_EESC_NS0_8identityIvEEEESH_SK_SL_mSM_SO_bEUlT_E_NS1_11comp_targetILNS1_3genE10ELNS1_11target_archE1201ELNS1_3gpuE5ELNS1_3repE0EEENS1_30default_config_static_selectorELNS0_4arch9wavefront6targetE1EEEvT1_
                                        ; -- End function
	.section	.AMDGPU.csdata,"",@progbits
; Kernel info:
; codeLenInByte = 0
; NumSgprs: 6
; NumVgprs: 0
; NumAgprs: 0
; TotalNumVgprs: 0
; ScratchSize: 0
; MemoryBound: 0
; FloatMode: 240
; IeeeMode: 1
; LDSByteSize: 0 bytes/workgroup (compile time only)
; SGPRBlocks: 0
; VGPRBlocks: 0
; NumSGPRsForWavesPerEU: 6
; NumVGPRsForWavesPerEU: 1
; AccumOffset: 4
; Occupancy: 8
; WaveLimiterHint : 0
; COMPUTE_PGM_RSRC2:SCRATCH_EN: 0
; COMPUTE_PGM_RSRC2:USER_SGPR: 2
; COMPUTE_PGM_RSRC2:TRAP_HANDLER: 0
; COMPUTE_PGM_RSRC2:TGID_X_EN: 1
; COMPUTE_PGM_RSRC2:TGID_Y_EN: 0
; COMPUTE_PGM_RSRC2:TGID_Z_EN: 0
; COMPUTE_PGM_RSRC2:TIDIG_COMP_CNT: 0
; COMPUTE_PGM_RSRC3_GFX90A:ACCUM_OFFSET: 0
; COMPUTE_PGM_RSRC3_GFX90A:TG_SPLIT: 0
	.section	.text._ZN7rocprim17ROCPRIM_400000_NS6detail17trampoline_kernelINS0_14default_configENS1_25transform_config_selectorI14custom_numericLb0EEEZNS1_14transform_implILb0ES3_S6_NS0_18transform_iteratorINS0_17counting_iteratorImlEEZNS1_24adjacent_difference_implIS3_Lb1ELb0EPS5_SC_N6thrust23THRUST_200600_302600_NS4plusIS5_EEEE10hipError_tPvRmT2_T3_mT4_P12ihipStream_tbEUlmE_S5_EESC_NS0_8identityIvEEEESH_SK_SL_mSM_SO_bEUlT_E_NS1_11comp_targetILNS1_3genE10ELNS1_11target_archE1200ELNS1_3gpuE4ELNS1_3repE0EEENS1_30default_config_static_selectorELNS0_4arch9wavefront6targetE1EEEvT1_,"axG",@progbits,_ZN7rocprim17ROCPRIM_400000_NS6detail17trampoline_kernelINS0_14default_configENS1_25transform_config_selectorI14custom_numericLb0EEEZNS1_14transform_implILb0ES3_S6_NS0_18transform_iteratorINS0_17counting_iteratorImlEEZNS1_24adjacent_difference_implIS3_Lb1ELb0EPS5_SC_N6thrust23THRUST_200600_302600_NS4plusIS5_EEEE10hipError_tPvRmT2_T3_mT4_P12ihipStream_tbEUlmE_S5_EESC_NS0_8identityIvEEEESH_SK_SL_mSM_SO_bEUlT_E_NS1_11comp_targetILNS1_3genE10ELNS1_11target_archE1200ELNS1_3gpuE4ELNS1_3repE0EEENS1_30default_config_static_selectorELNS0_4arch9wavefront6targetE1EEEvT1_,comdat
	.protected	_ZN7rocprim17ROCPRIM_400000_NS6detail17trampoline_kernelINS0_14default_configENS1_25transform_config_selectorI14custom_numericLb0EEEZNS1_14transform_implILb0ES3_S6_NS0_18transform_iteratorINS0_17counting_iteratorImlEEZNS1_24adjacent_difference_implIS3_Lb1ELb0EPS5_SC_N6thrust23THRUST_200600_302600_NS4plusIS5_EEEE10hipError_tPvRmT2_T3_mT4_P12ihipStream_tbEUlmE_S5_EESC_NS0_8identityIvEEEESH_SK_SL_mSM_SO_bEUlT_E_NS1_11comp_targetILNS1_3genE10ELNS1_11target_archE1200ELNS1_3gpuE4ELNS1_3repE0EEENS1_30default_config_static_selectorELNS0_4arch9wavefront6targetE1EEEvT1_ ; -- Begin function _ZN7rocprim17ROCPRIM_400000_NS6detail17trampoline_kernelINS0_14default_configENS1_25transform_config_selectorI14custom_numericLb0EEEZNS1_14transform_implILb0ES3_S6_NS0_18transform_iteratorINS0_17counting_iteratorImlEEZNS1_24adjacent_difference_implIS3_Lb1ELb0EPS5_SC_N6thrust23THRUST_200600_302600_NS4plusIS5_EEEE10hipError_tPvRmT2_T3_mT4_P12ihipStream_tbEUlmE_S5_EESC_NS0_8identityIvEEEESH_SK_SL_mSM_SO_bEUlT_E_NS1_11comp_targetILNS1_3genE10ELNS1_11target_archE1200ELNS1_3gpuE4ELNS1_3repE0EEENS1_30default_config_static_selectorELNS0_4arch9wavefront6targetE1EEEvT1_
	.globl	_ZN7rocprim17ROCPRIM_400000_NS6detail17trampoline_kernelINS0_14default_configENS1_25transform_config_selectorI14custom_numericLb0EEEZNS1_14transform_implILb0ES3_S6_NS0_18transform_iteratorINS0_17counting_iteratorImlEEZNS1_24adjacent_difference_implIS3_Lb1ELb0EPS5_SC_N6thrust23THRUST_200600_302600_NS4plusIS5_EEEE10hipError_tPvRmT2_T3_mT4_P12ihipStream_tbEUlmE_S5_EESC_NS0_8identityIvEEEESH_SK_SL_mSM_SO_bEUlT_E_NS1_11comp_targetILNS1_3genE10ELNS1_11target_archE1200ELNS1_3gpuE4ELNS1_3repE0EEENS1_30default_config_static_selectorELNS0_4arch9wavefront6targetE1EEEvT1_
	.p2align	8
	.type	_ZN7rocprim17ROCPRIM_400000_NS6detail17trampoline_kernelINS0_14default_configENS1_25transform_config_selectorI14custom_numericLb0EEEZNS1_14transform_implILb0ES3_S6_NS0_18transform_iteratorINS0_17counting_iteratorImlEEZNS1_24adjacent_difference_implIS3_Lb1ELb0EPS5_SC_N6thrust23THRUST_200600_302600_NS4plusIS5_EEEE10hipError_tPvRmT2_T3_mT4_P12ihipStream_tbEUlmE_S5_EESC_NS0_8identityIvEEEESH_SK_SL_mSM_SO_bEUlT_E_NS1_11comp_targetILNS1_3genE10ELNS1_11target_archE1200ELNS1_3gpuE4ELNS1_3repE0EEENS1_30default_config_static_selectorELNS0_4arch9wavefront6targetE1EEEvT1_,@function
_ZN7rocprim17ROCPRIM_400000_NS6detail17trampoline_kernelINS0_14default_configENS1_25transform_config_selectorI14custom_numericLb0EEEZNS1_14transform_implILb0ES3_S6_NS0_18transform_iteratorINS0_17counting_iteratorImlEEZNS1_24adjacent_difference_implIS3_Lb1ELb0EPS5_SC_N6thrust23THRUST_200600_302600_NS4plusIS5_EEEE10hipError_tPvRmT2_T3_mT4_P12ihipStream_tbEUlmE_S5_EESC_NS0_8identityIvEEEESH_SK_SL_mSM_SO_bEUlT_E_NS1_11comp_targetILNS1_3genE10ELNS1_11target_archE1200ELNS1_3gpuE4ELNS1_3repE0EEENS1_30default_config_static_selectorELNS0_4arch9wavefront6targetE1EEEvT1_: ; @_ZN7rocprim17ROCPRIM_400000_NS6detail17trampoline_kernelINS0_14default_configENS1_25transform_config_selectorI14custom_numericLb0EEEZNS1_14transform_implILb0ES3_S6_NS0_18transform_iteratorINS0_17counting_iteratorImlEEZNS1_24adjacent_difference_implIS3_Lb1ELb0EPS5_SC_N6thrust23THRUST_200600_302600_NS4plusIS5_EEEE10hipError_tPvRmT2_T3_mT4_P12ihipStream_tbEUlmE_S5_EESC_NS0_8identityIvEEEESH_SK_SL_mSM_SO_bEUlT_E_NS1_11comp_targetILNS1_3genE10ELNS1_11target_archE1200ELNS1_3gpuE4ELNS1_3repE0EEENS1_30default_config_static_selectorELNS0_4arch9wavefront6targetE1EEEvT1_
; %bb.0:
	.section	.rodata,"a",@progbits
	.p2align	6, 0x0
	.amdhsa_kernel _ZN7rocprim17ROCPRIM_400000_NS6detail17trampoline_kernelINS0_14default_configENS1_25transform_config_selectorI14custom_numericLb0EEEZNS1_14transform_implILb0ES3_S6_NS0_18transform_iteratorINS0_17counting_iteratorImlEEZNS1_24adjacent_difference_implIS3_Lb1ELb0EPS5_SC_N6thrust23THRUST_200600_302600_NS4plusIS5_EEEE10hipError_tPvRmT2_T3_mT4_P12ihipStream_tbEUlmE_S5_EESC_NS0_8identityIvEEEESH_SK_SL_mSM_SO_bEUlT_E_NS1_11comp_targetILNS1_3genE10ELNS1_11target_archE1200ELNS1_3gpuE4ELNS1_3repE0EEENS1_30default_config_static_selectorELNS0_4arch9wavefront6targetE1EEEvT1_
		.amdhsa_group_segment_fixed_size 0
		.amdhsa_private_segment_fixed_size 0
		.amdhsa_kernarg_size 56
		.amdhsa_user_sgpr_count 2
		.amdhsa_user_sgpr_dispatch_ptr 0
		.amdhsa_user_sgpr_queue_ptr 0
		.amdhsa_user_sgpr_kernarg_segment_ptr 1
		.amdhsa_user_sgpr_dispatch_id 0
		.amdhsa_user_sgpr_kernarg_preload_length 0
		.amdhsa_user_sgpr_kernarg_preload_offset 0
		.amdhsa_user_sgpr_private_segment_size 0
		.amdhsa_uses_dynamic_stack 0
		.amdhsa_enable_private_segment 0
		.amdhsa_system_sgpr_workgroup_id_x 1
		.amdhsa_system_sgpr_workgroup_id_y 0
		.amdhsa_system_sgpr_workgroup_id_z 0
		.amdhsa_system_sgpr_workgroup_info 0
		.amdhsa_system_vgpr_workitem_id 0
		.amdhsa_next_free_vgpr 1
		.amdhsa_next_free_sgpr 0
		.amdhsa_accum_offset 4
		.amdhsa_reserve_vcc 0
		.amdhsa_float_round_mode_32 0
		.amdhsa_float_round_mode_16_64 0
		.amdhsa_float_denorm_mode_32 3
		.amdhsa_float_denorm_mode_16_64 3
		.amdhsa_dx10_clamp 1
		.amdhsa_ieee_mode 1
		.amdhsa_fp16_overflow 0
		.amdhsa_tg_split 0
		.amdhsa_exception_fp_ieee_invalid_op 0
		.amdhsa_exception_fp_denorm_src 0
		.amdhsa_exception_fp_ieee_div_zero 0
		.amdhsa_exception_fp_ieee_overflow 0
		.amdhsa_exception_fp_ieee_underflow 0
		.amdhsa_exception_fp_ieee_inexact 0
		.amdhsa_exception_int_div_zero 0
	.end_amdhsa_kernel
	.section	.text._ZN7rocprim17ROCPRIM_400000_NS6detail17trampoline_kernelINS0_14default_configENS1_25transform_config_selectorI14custom_numericLb0EEEZNS1_14transform_implILb0ES3_S6_NS0_18transform_iteratorINS0_17counting_iteratorImlEEZNS1_24adjacent_difference_implIS3_Lb1ELb0EPS5_SC_N6thrust23THRUST_200600_302600_NS4plusIS5_EEEE10hipError_tPvRmT2_T3_mT4_P12ihipStream_tbEUlmE_S5_EESC_NS0_8identityIvEEEESH_SK_SL_mSM_SO_bEUlT_E_NS1_11comp_targetILNS1_3genE10ELNS1_11target_archE1200ELNS1_3gpuE4ELNS1_3repE0EEENS1_30default_config_static_selectorELNS0_4arch9wavefront6targetE1EEEvT1_,"axG",@progbits,_ZN7rocprim17ROCPRIM_400000_NS6detail17trampoline_kernelINS0_14default_configENS1_25transform_config_selectorI14custom_numericLb0EEEZNS1_14transform_implILb0ES3_S6_NS0_18transform_iteratorINS0_17counting_iteratorImlEEZNS1_24adjacent_difference_implIS3_Lb1ELb0EPS5_SC_N6thrust23THRUST_200600_302600_NS4plusIS5_EEEE10hipError_tPvRmT2_T3_mT4_P12ihipStream_tbEUlmE_S5_EESC_NS0_8identityIvEEEESH_SK_SL_mSM_SO_bEUlT_E_NS1_11comp_targetILNS1_3genE10ELNS1_11target_archE1200ELNS1_3gpuE4ELNS1_3repE0EEENS1_30default_config_static_selectorELNS0_4arch9wavefront6targetE1EEEvT1_,comdat
.Lfunc_end249:
	.size	_ZN7rocprim17ROCPRIM_400000_NS6detail17trampoline_kernelINS0_14default_configENS1_25transform_config_selectorI14custom_numericLb0EEEZNS1_14transform_implILb0ES3_S6_NS0_18transform_iteratorINS0_17counting_iteratorImlEEZNS1_24adjacent_difference_implIS3_Lb1ELb0EPS5_SC_N6thrust23THRUST_200600_302600_NS4plusIS5_EEEE10hipError_tPvRmT2_T3_mT4_P12ihipStream_tbEUlmE_S5_EESC_NS0_8identityIvEEEESH_SK_SL_mSM_SO_bEUlT_E_NS1_11comp_targetILNS1_3genE10ELNS1_11target_archE1200ELNS1_3gpuE4ELNS1_3repE0EEENS1_30default_config_static_selectorELNS0_4arch9wavefront6targetE1EEEvT1_, .Lfunc_end249-_ZN7rocprim17ROCPRIM_400000_NS6detail17trampoline_kernelINS0_14default_configENS1_25transform_config_selectorI14custom_numericLb0EEEZNS1_14transform_implILb0ES3_S6_NS0_18transform_iteratorINS0_17counting_iteratorImlEEZNS1_24adjacent_difference_implIS3_Lb1ELb0EPS5_SC_N6thrust23THRUST_200600_302600_NS4plusIS5_EEEE10hipError_tPvRmT2_T3_mT4_P12ihipStream_tbEUlmE_S5_EESC_NS0_8identityIvEEEESH_SK_SL_mSM_SO_bEUlT_E_NS1_11comp_targetILNS1_3genE10ELNS1_11target_archE1200ELNS1_3gpuE4ELNS1_3repE0EEENS1_30default_config_static_selectorELNS0_4arch9wavefront6targetE1EEEvT1_
                                        ; -- End function
	.section	.AMDGPU.csdata,"",@progbits
; Kernel info:
; codeLenInByte = 0
; NumSgprs: 6
; NumVgprs: 0
; NumAgprs: 0
; TotalNumVgprs: 0
; ScratchSize: 0
; MemoryBound: 0
; FloatMode: 240
; IeeeMode: 1
; LDSByteSize: 0 bytes/workgroup (compile time only)
; SGPRBlocks: 0
; VGPRBlocks: 0
; NumSGPRsForWavesPerEU: 6
; NumVGPRsForWavesPerEU: 1
; AccumOffset: 4
; Occupancy: 8
; WaveLimiterHint : 0
; COMPUTE_PGM_RSRC2:SCRATCH_EN: 0
; COMPUTE_PGM_RSRC2:USER_SGPR: 2
; COMPUTE_PGM_RSRC2:TRAP_HANDLER: 0
; COMPUTE_PGM_RSRC2:TGID_X_EN: 1
; COMPUTE_PGM_RSRC2:TGID_Y_EN: 0
; COMPUTE_PGM_RSRC2:TGID_Z_EN: 0
; COMPUTE_PGM_RSRC2:TIDIG_COMP_CNT: 0
; COMPUTE_PGM_RSRC3_GFX90A:ACCUM_OFFSET: 0
; COMPUTE_PGM_RSRC3_GFX90A:TG_SPLIT: 0
	.section	.text._ZN7rocprim17ROCPRIM_400000_NS6detail17trampoline_kernelINS0_14default_configENS1_25transform_config_selectorI14custom_numericLb0EEEZNS1_14transform_implILb0ES3_S6_NS0_18transform_iteratorINS0_17counting_iteratorImlEEZNS1_24adjacent_difference_implIS3_Lb1ELb0EPS5_SC_N6thrust23THRUST_200600_302600_NS4plusIS5_EEEE10hipError_tPvRmT2_T3_mT4_P12ihipStream_tbEUlmE_S5_EESC_NS0_8identityIvEEEESH_SK_SL_mSM_SO_bEUlT_E_NS1_11comp_targetILNS1_3genE9ELNS1_11target_archE1100ELNS1_3gpuE3ELNS1_3repE0EEENS1_30default_config_static_selectorELNS0_4arch9wavefront6targetE1EEEvT1_,"axG",@progbits,_ZN7rocprim17ROCPRIM_400000_NS6detail17trampoline_kernelINS0_14default_configENS1_25transform_config_selectorI14custom_numericLb0EEEZNS1_14transform_implILb0ES3_S6_NS0_18transform_iteratorINS0_17counting_iteratorImlEEZNS1_24adjacent_difference_implIS3_Lb1ELb0EPS5_SC_N6thrust23THRUST_200600_302600_NS4plusIS5_EEEE10hipError_tPvRmT2_T3_mT4_P12ihipStream_tbEUlmE_S5_EESC_NS0_8identityIvEEEESH_SK_SL_mSM_SO_bEUlT_E_NS1_11comp_targetILNS1_3genE9ELNS1_11target_archE1100ELNS1_3gpuE3ELNS1_3repE0EEENS1_30default_config_static_selectorELNS0_4arch9wavefront6targetE1EEEvT1_,comdat
	.protected	_ZN7rocprim17ROCPRIM_400000_NS6detail17trampoline_kernelINS0_14default_configENS1_25transform_config_selectorI14custom_numericLb0EEEZNS1_14transform_implILb0ES3_S6_NS0_18transform_iteratorINS0_17counting_iteratorImlEEZNS1_24adjacent_difference_implIS3_Lb1ELb0EPS5_SC_N6thrust23THRUST_200600_302600_NS4plusIS5_EEEE10hipError_tPvRmT2_T3_mT4_P12ihipStream_tbEUlmE_S5_EESC_NS0_8identityIvEEEESH_SK_SL_mSM_SO_bEUlT_E_NS1_11comp_targetILNS1_3genE9ELNS1_11target_archE1100ELNS1_3gpuE3ELNS1_3repE0EEENS1_30default_config_static_selectorELNS0_4arch9wavefront6targetE1EEEvT1_ ; -- Begin function _ZN7rocprim17ROCPRIM_400000_NS6detail17trampoline_kernelINS0_14default_configENS1_25transform_config_selectorI14custom_numericLb0EEEZNS1_14transform_implILb0ES3_S6_NS0_18transform_iteratorINS0_17counting_iteratorImlEEZNS1_24adjacent_difference_implIS3_Lb1ELb0EPS5_SC_N6thrust23THRUST_200600_302600_NS4plusIS5_EEEE10hipError_tPvRmT2_T3_mT4_P12ihipStream_tbEUlmE_S5_EESC_NS0_8identityIvEEEESH_SK_SL_mSM_SO_bEUlT_E_NS1_11comp_targetILNS1_3genE9ELNS1_11target_archE1100ELNS1_3gpuE3ELNS1_3repE0EEENS1_30default_config_static_selectorELNS0_4arch9wavefront6targetE1EEEvT1_
	.globl	_ZN7rocprim17ROCPRIM_400000_NS6detail17trampoline_kernelINS0_14default_configENS1_25transform_config_selectorI14custom_numericLb0EEEZNS1_14transform_implILb0ES3_S6_NS0_18transform_iteratorINS0_17counting_iteratorImlEEZNS1_24adjacent_difference_implIS3_Lb1ELb0EPS5_SC_N6thrust23THRUST_200600_302600_NS4plusIS5_EEEE10hipError_tPvRmT2_T3_mT4_P12ihipStream_tbEUlmE_S5_EESC_NS0_8identityIvEEEESH_SK_SL_mSM_SO_bEUlT_E_NS1_11comp_targetILNS1_3genE9ELNS1_11target_archE1100ELNS1_3gpuE3ELNS1_3repE0EEENS1_30default_config_static_selectorELNS0_4arch9wavefront6targetE1EEEvT1_
	.p2align	8
	.type	_ZN7rocprim17ROCPRIM_400000_NS6detail17trampoline_kernelINS0_14default_configENS1_25transform_config_selectorI14custom_numericLb0EEEZNS1_14transform_implILb0ES3_S6_NS0_18transform_iteratorINS0_17counting_iteratorImlEEZNS1_24adjacent_difference_implIS3_Lb1ELb0EPS5_SC_N6thrust23THRUST_200600_302600_NS4plusIS5_EEEE10hipError_tPvRmT2_T3_mT4_P12ihipStream_tbEUlmE_S5_EESC_NS0_8identityIvEEEESH_SK_SL_mSM_SO_bEUlT_E_NS1_11comp_targetILNS1_3genE9ELNS1_11target_archE1100ELNS1_3gpuE3ELNS1_3repE0EEENS1_30default_config_static_selectorELNS0_4arch9wavefront6targetE1EEEvT1_,@function
_ZN7rocprim17ROCPRIM_400000_NS6detail17trampoline_kernelINS0_14default_configENS1_25transform_config_selectorI14custom_numericLb0EEEZNS1_14transform_implILb0ES3_S6_NS0_18transform_iteratorINS0_17counting_iteratorImlEEZNS1_24adjacent_difference_implIS3_Lb1ELb0EPS5_SC_N6thrust23THRUST_200600_302600_NS4plusIS5_EEEE10hipError_tPvRmT2_T3_mT4_P12ihipStream_tbEUlmE_S5_EESC_NS0_8identityIvEEEESH_SK_SL_mSM_SO_bEUlT_E_NS1_11comp_targetILNS1_3genE9ELNS1_11target_archE1100ELNS1_3gpuE3ELNS1_3repE0EEENS1_30default_config_static_selectorELNS0_4arch9wavefront6targetE1EEEvT1_: ; @_ZN7rocprim17ROCPRIM_400000_NS6detail17trampoline_kernelINS0_14default_configENS1_25transform_config_selectorI14custom_numericLb0EEEZNS1_14transform_implILb0ES3_S6_NS0_18transform_iteratorINS0_17counting_iteratorImlEEZNS1_24adjacent_difference_implIS3_Lb1ELb0EPS5_SC_N6thrust23THRUST_200600_302600_NS4plusIS5_EEEE10hipError_tPvRmT2_T3_mT4_P12ihipStream_tbEUlmE_S5_EESC_NS0_8identityIvEEEESH_SK_SL_mSM_SO_bEUlT_E_NS1_11comp_targetILNS1_3genE9ELNS1_11target_archE1100ELNS1_3gpuE3ELNS1_3repE0EEENS1_30default_config_static_selectorELNS0_4arch9wavefront6targetE1EEEvT1_
; %bb.0:
	.section	.rodata,"a",@progbits
	.p2align	6, 0x0
	.amdhsa_kernel _ZN7rocprim17ROCPRIM_400000_NS6detail17trampoline_kernelINS0_14default_configENS1_25transform_config_selectorI14custom_numericLb0EEEZNS1_14transform_implILb0ES3_S6_NS0_18transform_iteratorINS0_17counting_iteratorImlEEZNS1_24adjacent_difference_implIS3_Lb1ELb0EPS5_SC_N6thrust23THRUST_200600_302600_NS4plusIS5_EEEE10hipError_tPvRmT2_T3_mT4_P12ihipStream_tbEUlmE_S5_EESC_NS0_8identityIvEEEESH_SK_SL_mSM_SO_bEUlT_E_NS1_11comp_targetILNS1_3genE9ELNS1_11target_archE1100ELNS1_3gpuE3ELNS1_3repE0EEENS1_30default_config_static_selectorELNS0_4arch9wavefront6targetE1EEEvT1_
		.amdhsa_group_segment_fixed_size 0
		.amdhsa_private_segment_fixed_size 0
		.amdhsa_kernarg_size 56
		.amdhsa_user_sgpr_count 2
		.amdhsa_user_sgpr_dispatch_ptr 0
		.amdhsa_user_sgpr_queue_ptr 0
		.amdhsa_user_sgpr_kernarg_segment_ptr 1
		.amdhsa_user_sgpr_dispatch_id 0
		.amdhsa_user_sgpr_kernarg_preload_length 0
		.amdhsa_user_sgpr_kernarg_preload_offset 0
		.amdhsa_user_sgpr_private_segment_size 0
		.amdhsa_uses_dynamic_stack 0
		.amdhsa_enable_private_segment 0
		.amdhsa_system_sgpr_workgroup_id_x 1
		.amdhsa_system_sgpr_workgroup_id_y 0
		.amdhsa_system_sgpr_workgroup_id_z 0
		.amdhsa_system_sgpr_workgroup_info 0
		.amdhsa_system_vgpr_workitem_id 0
		.amdhsa_next_free_vgpr 1
		.amdhsa_next_free_sgpr 0
		.amdhsa_accum_offset 4
		.amdhsa_reserve_vcc 0
		.amdhsa_float_round_mode_32 0
		.amdhsa_float_round_mode_16_64 0
		.amdhsa_float_denorm_mode_32 3
		.amdhsa_float_denorm_mode_16_64 3
		.amdhsa_dx10_clamp 1
		.amdhsa_ieee_mode 1
		.amdhsa_fp16_overflow 0
		.amdhsa_tg_split 0
		.amdhsa_exception_fp_ieee_invalid_op 0
		.amdhsa_exception_fp_denorm_src 0
		.amdhsa_exception_fp_ieee_div_zero 0
		.amdhsa_exception_fp_ieee_overflow 0
		.amdhsa_exception_fp_ieee_underflow 0
		.amdhsa_exception_fp_ieee_inexact 0
		.amdhsa_exception_int_div_zero 0
	.end_amdhsa_kernel
	.section	.text._ZN7rocprim17ROCPRIM_400000_NS6detail17trampoline_kernelINS0_14default_configENS1_25transform_config_selectorI14custom_numericLb0EEEZNS1_14transform_implILb0ES3_S6_NS0_18transform_iteratorINS0_17counting_iteratorImlEEZNS1_24adjacent_difference_implIS3_Lb1ELb0EPS5_SC_N6thrust23THRUST_200600_302600_NS4plusIS5_EEEE10hipError_tPvRmT2_T3_mT4_P12ihipStream_tbEUlmE_S5_EESC_NS0_8identityIvEEEESH_SK_SL_mSM_SO_bEUlT_E_NS1_11comp_targetILNS1_3genE9ELNS1_11target_archE1100ELNS1_3gpuE3ELNS1_3repE0EEENS1_30default_config_static_selectorELNS0_4arch9wavefront6targetE1EEEvT1_,"axG",@progbits,_ZN7rocprim17ROCPRIM_400000_NS6detail17trampoline_kernelINS0_14default_configENS1_25transform_config_selectorI14custom_numericLb0EEEZNS1_14transform_implILb0ES3_S6_NS0_18transform_iteratorINS0_17counting_iteratorImlEEZNS1_24adjacent_difference_implIS3_Lb1ELb0EPS5_SC_N6thrust23THRUST_200600_302600_NS4plusIS5_EEEE10hipError_tPvRmT2_T3_mT4_P12ihipStream_tbEUlmE_S5_EESC_NS0_8identityIvEEEESH_SK_SL_mSM_SO_bEUlT_E_NS1_11comp_targetILNS1_3genE9ELNS1_11target_archE1100ELNS1_3gpuE3ELNS1_3repE0EEENS1_30default_config_static_selectorELNS0_4arch9wavefront6targetE1EEEvT1_,comdat
.Lfunc_end250:
	.size	_ZN7rocprim17ROCPRIM_400000_NS6detail17trampoline_kernelINS0_14default_configENS1_25transform_config_selectorI14custom_numericLb0EEEZNS1_14transform_implILb0ES3_S6_NS0_18transform_iteratorINS0_17counting_iteratorImlEEZNS1_24adjacent_difference_implIS3_Lb1ELb0EPS5_SC_N6thrust23THRUST_200600_302600_NS4plusIS5_EEEE10hipError_tPvRmT2_T3_mT4_P12ihipStream_tbEUlmE_S5_EESC_NS0_8identityIvEEEESH_SK_SL_mSM_SO_bEUlT_E_NS1_11comp_targetILNS1_3genE9ELNS1_11target_archE1100ELNS1_3gpuE3ELNS1_3repE0EEENS1_30default_config_static_selectorELNS0_4arch9wavefront6targetE1EEEvT1_, .Lfunc_end250-_ZN7rocprim17ROCPRIM_400000_NS6detail17trampoline_kernelINS0_14default_configENS1_25transform_config_selectorI14custom_numericLb0EEEZNS1_14transform_implILb0ES3_S6_NS0_18transform_iteratorINS0_17counting_iteratorImlEEZNS1_24adjacent_difference_implIS3_Lb1ELb0EPS5_SC_N6thrust23THRUST_200600_302600_NS4plusIS5_EEEE10hipError_tPvRmT2_T3_mT4_P12ihipStream_tbEUlmE_S5_EESC_NS0_8identityIvEEEESH_SK_SL_mSM_SO_bEUlT_E_NS1_11comp_targetILNS1_3genE9ELNS1_11target_archE1100ELNS1_3gpuE3ELNS1_3repE0EEENS1_30default_config_static_selectorELNS0_4arch9wavefront6targetE1EEEvT1_
                                        ; -- End function
	.section	.AMDGPU.csdata,"",@progbits
; Kernel info:
; codeLenInByte = 0
; NumSgprs: 6
; NumVgprs: 0
; NumAgprs: 0
; TotalNumVgprs: 0
; ScratchSize: 0
; MemoryBound: 0
; FloatMode: 240
; IeeeMode: 1
; LDSByteSize: 0 bytes/workgroup (compile time only)
; SGPRBlocks: 0
; VGPRBlocks: 0
; NumSGPRsForWavesPerEU: 6
; NumVGPRsForWavesPerEU: 1
; AccumOffset: 4
; Occupancy: 8
; WaveLimiterHint : 0
; COMPUTE_PGM_RSRC2:SCRATCH_EN: 0
; COMPUTE_PGM_RSRC2:USER_SGPR: 2
; COMPUTE_PGM_RSRC2:TRAP_HANDLER: 0
; COMPUTE_PGM_RSRC2:TGID_X_EN: 1
; COMPUTE_PGM_RSRC2:TGID_Y_EN: 0
; COMPUTE_PGM_RSRC2:TGID_Z_EN: 0
; COMPUTE_PGM_RSRC2:TIDIG_COMP_CNT: 0
; COMPUTE_PGM_RSRC3_GFX90A:ACCUM_OFFSET: 0
; COMPUTE_PGM_RSRC3_GFX90A:TG_SPLIT: 0
	.section	.text._ZN7rocprim17ROCPRIM_400000_NS6detail17trampoline_kernelINS0_14default_configENS1_25transform_config_selectorI14custom_numericLb0EEEZNS1_14transform_implILb0ES3_S6_NS0_18transform_iteratorINS0_17counting_iteratorImlEEZNS1_24adjacent_difference_implIS3_Lb1ELb0EPS5_SC_N6thrust23THRUST_200600_302600_NS4plusIS5_EEEE10hipError_tPvRmT2_T3_mT4_P12ihipStream_tbEUlmE_S5_EESC_NS0_8identityIvEEEESH_SK_SL_mSM_SO_bEUlT_E_NS1_11comp_targetILNS1_3genE8ELNS1_11target_archE1030ELNS1_3gpuE2ELNS1_3repE0EEENS1_30default_config_static_selectorELNS0_4arch9wavefront6targetE1EEEvT1_,"axG",@progbits,_ZN7rocprim17ROCPRIM_400000_NS6detail17trampoline_kernelINS0_14default_configENS1_25transform_config_selectorI14custom_numericLb0EEEZNS1_14transform_implILb0ES3_S6_NS0_18transform_iteratorINS0_17counting_iteratorImlEEZNS1_24adjacent_difference_implIS3_Lb1ELb0EPS5_SC_N6thrust23THRUST_200600_302600_NS4plusIS5_EEEE10hipError_tPvRmT2_T3_mT4_P12ihipStream_tbEUlmE_S5_EESC_NS0_8identityIvEEEESH_SK_SL_mSM_SO_bEUlT_E_NS1_11comp_targetILNS1_3genE8ELNS1_11target_archE1030ELNS1_3gpuE2ELNS1_3repE0EEENS1_30default_config_static_selectorELNS0_4arch9wavefront6targetE1EEEvT1_,comdat
	.protected	_ZN7rocprim17ROCPRIM_400000_NS6detail17trampoline_kernelINS0_14default_configENS1_25transform_config_selectorI14custom_numericLb0EEEZNS1_14transform_implILb0ES3_S6_NS0_18transform_iteratorINS0_17counting_iteratorImlEEZNS1_24adjacent_difference_implIS3_Lb1ELb0EPS5_SC_N6thrust23THRUST_200600_302600_NS4plusIS5_EEEE10hipError_tPvRmT2_T3_mT4_P12ihipStream_tbEUlmE_S5_EESC_NS0_8identityIvEEEESH_SK_SL_mSM_SO_bEUlT_E_NS1_11comp_targetILNS1_3genE8ELNS1_11target_archE1030ELNS1_3gpuE2ELNS1_3repE0EEENS1_30default_config_static_selectorELNS0_4arch9wavefront6targetE1EEEvT1_ ; -- Begin function _ZN7rocprim17ROCPRIM_400000_NS6detail17trampoline_kernelINS0_14default_configENS1_25transform_config_selectorI14custom_numericLb0EEEZNS1_14transform_implILb0ES3_S6_NS0_18transform_iteratorINS0_17counting_iteratorImlEEZNS1_24adjacent_difference_implIS3_Lb1ELb0EPS5_SC_N6thrust23THRUST_200600_302600_NS4plusIS5_EEEE10hipError_tPvRmT2_T3_mT4_P12ihipStream_tbEUlmE_S5_EESC_NS0_8identityIvEEEESH_SK_SL_mSM_SO_bEUlT_E_NS1_11comp_targetILNS1_3genE8ELNS1_11target_archE1030ELNS1_3gpuE2ELNS1_3repE0EEENS1_30default_config_static_selectorELNS0_4arch9wavefront6targetE1EEEvT1_
	.globl	_ZN7rocprim17ROCPRIM_400000_NS6detail17trampoline_kernelINS0_14default_configENS1_25transform_config_selectorI14custom_numericLb0EEEZNS1_14transform_implILb0ES3_S6_NS0_18transform_iteratorINS0_17counting_iteratorImlEEZNS1_24adjacent_difference_implIS3_Lb1ELb0EPS5_SC_N6thrust23THRUST_200600_302600_NS4plusIS5_EEEE10hipError_tPvRmT2_T3_mT4_P12ihipStream_tbEUlmE_S5_EESC_NS0_8identityIvEEEESH_SK_SL_mSM_SO_bEUlT_E_NS1_11comp_targetILNS1_3genE8ELNS1_11target_archE1030ELNS1_3gpuE2ELNS1_3repE0EEENS1_30default_config_static_selectorELNS0_4arch9wavefront6targetE1EEEvT1_
	.p2align	8
	.type	_ZN7rocprim17ROCPRIM_400000_NS6detail17trampoline_kernelINS0_14default_configENS1_25transform_config_selectorI14custom_numericLb0EEEZNS1_14transform_implILb0ES3_S6_NS0_18transform_iteratorINS0_17counting_iteratorImlEEZNS1_24adjacent_difference_implIS3_Lb1ELb0EPS5_SC_N6thrust23THRUST_200600_302600_NS4plusIS5_EEEE10hipError_tPvRmT2_T3_mT4_P12ihipStream_tbEUlmE_S5_EESC_NS0_8identityIvEEEESH_SK_SL_mSM_SO_bEUlT_E_NS1_11comp_targetILNS1_3genE8ELNS1_11target_archE1030ELNS1_3gpuE2ELNS1_3repE0EEENS1_30default_config_static_selectorELNS0_4arch9wavefront6targetE1EEEvT1_,@function
_ZN7rocprim17ROCPRIM_400000_NS6detail17trampoline_kernelINS0_14default_configENS1_25transform_config_selectorI14custom_numericLb0EEEZNS1_14transform_implILb0ES3_S6_NS0_18transform_iteratorINS0_17counting_iteratorImlEEZNS1_24adjacent_difference_implIS3_Lb1ELb0EPS5_SC_N6thrust23THRUST_200600_302600_NS4plusIS5_EEEE10hipError_tPvRmT2_T3_mT4_P12ihipStream_tbEUlmE_S5_EESC_NS0_8identityIvEEEESH_SK_SL_mSM_SO_bEUlT_E_NS1_11comp_targetILNS1_3genE8ELNS1_11target_archE1030ELNS1_3gpuE2ELNS1_3repE0EEENS1_30default_config_static_selectorELNS0_4arch9wavefront6targetE1EEEvT1_: ; @_ZN7rocprim17ROCPRIM_400000_NS6detail17trampoline_kernelINS0_14default_configENS1_25transform_config_selectorI14custom_numericLb0EEEZNS1_14transform_implILb0ES3_S6_NS0_18transform_iteratorINS0_17counting_iteratorImlEEZNS1_24adjacent_difference_implIS3_Lb1ELb0EPS5_SC_N6thrust23THRUST_200600_302600_NS4plusIS5_EEEE10hipError_tPvRmT2_T3_mT4_P12ihipStream_tbEUlmE_S5_EESC_NS0_8identityIvEEEESH_SK_SL_mSM_SO_bEUlT_E_NS1_11comp_targetILNS1_3genE8ELNS1_11target_archE1030ELNS1_3gpuE2ELNS1_3repE0EEENS1_30default_config_static_selectorELNS0_4arch9wavefront6targetE1EEEvT1_
; %bb.0:
	.section	.rodata,"a",@progbits
	.p2align	6, 0x0
	.amdhsa_kernel _ZN7rocprim17ROCPRIM_400000_NS6detail17trampoline_kernelINS0_14default_configENS1_25transform_config_selectorI14custom_numericLb0EEEZNS1_14transform_implILb0ES3_S6_NS0_18transform_iteratorINS0_17counting_iteratorImlEEZNS1_24adjacent_difference_implIS3_Lb1ELb0EPS5_SC_N6thrust23THRUST_200600_302600_NS4plusIS5_EEEE10hipError_tPvRmT2_T3_mT4_P12ihipStream_tbEUlmE_S5_EESC_NS0_8identityIvEEEESH_SK_SL_mSM_SO_bEUlT_E_NS1_11comp_targetILNS1_3genE8ELNS1_11target_archE1030ELNS1_3gpuE2ELNS1_3repE0EEENS1_30default_config_static_selectorELNS0_4arch9wavefront6targetE1EEEvT1_
		.amdhsa_group_segment_fixed_size 0
		.amdhsa_private_segment_fixed_size 0
		.amdhsa_kernarg_size 56
		.amdhsa_user_sgpr_count 2
		.amdhsa_user_sgpr_dispatch_ptr 0
		.amdhsa_user_sgpr_queue_ptr 0
		.amdhsa_user_sgpr_kernarg_segment_ptr 1
		.amdhsa_user_sgpr_dispatch_id 0
		.amdhsa_user_sgpr_kernarg_preload_length 0
		.amdhsa_user_sgpr_kernarg_preload_offset 0
		.amdhsa_user_sgpr_private_segment_size 0
		.amdhsa_uses_dynamic_stack 0
		.amdhsa_enable_private_segment 0
		.amdhsa_system_sgpr_workgroup_id_x 1
		.amdhsa_system_sgpr_workgroup_id_y 0
		.amdhsa_system_sgpr_workgroup_id_z 0
		.amdhsa_system_sgpr_workgroup_info 0
		.amdhsa_system_vgpr_workitem_id 0
		.amdhsa_next_free_vgpr 1
		.amdhsa_next_free_sgpr 0
		.amdhsa_accum_offset 4
		.amdhsa_reserve_vcc 0
		.amdhsa_float_round_mode_32 0
		.amdhsa_float_round_mode_16_64 0
		.amdhsa_float_denorm_mode_32 3
		.amdhsa_float_denorm_mode_16_64 3
		.amdhsa_dx10_clamp 1
		.amdhsa_ieee_mode 1
		.amdhsa_fp16_overflow 0
		.amdhsa_tg_split 0
		.amdhsa_exception_fp_ieee_invalid_op 0
		.amdhsa_exception_fp_denorm_src 0
		.amdhsa_exception_fp_ieee_div_zero 0
		.amdhsa_exception_fp_ieee_overflow 0
		.amdhsa_exception_fp_ieee_underflow 0
		.amdhsa_exception_fp_ieee_inexact 0
		.amdhsa_exception_int_div_zero 0
	.end_amdhsa_kernel
	.section	.text._ZN7rocprim17ROCPRIM_400000_NS6detail17trampoline_kernelINS0_14default_configENS1_25transform_config_selectorI14custom_numericLb0EEEZNS1_14transform_implILb0ES3_S6_NS0_18transform_iteratorINS0_17counting_iteratorImlEEZNS1_24adjacent_difference_implIS3_Lb1ELb0EPS5_SC_N6thrust23THRUST_200600_302600_NS4plusIS5_EEEE10hipError_tPvRmT2_T3_mT4_P12ihipStream_tbEUlmE_S5_EESC_NS0_8identityIvEEEESH_SK_SL_mSM_SO_bEUlT_E_NS1_11comp_targetILNS1_3genE8ELNS1_11target_archE1030ELNS1_3gpuE2ELNS1_3repE0EEENS1_30default_config_static_selectorELNS0_4arch9wavefront6targetE1EEEvT1_,"axG",@progbits,_ZN7rocprim17ROCPRIM_400000_NS6detail17trampoline_kernelINS0_14default_configENS1_25transform_config_selectorI14custom_numericLb0EEEZNS1_14transform_implILb0ES3_S6_NS0_18transform_iteratorINS0_17counting_iteratorImlEEZNS1_24adjacent_difference_implIS3_Lb1ELb0EPS5_SC_N6thrust23THRUST_200600_302600_NS4plusIS5_EEEE10hipError_tPvRmT2_T3_mT4_P12ihipStream_tbEUlmE_S5_EESC_NS0_8identityIvEEEESH_SK_SL_mSM_SO_bEUlT_E_NS1_11comp_targetILNS1_3genE8ELNS1_11target_archE1030ELNS1_3gpuE2ELNS1_3repE0EEENS1_30default_config_static_selectorELNS0_4arch9wavefront6targetE1EEEvT1_,comdat
.Lfunc_end251:
	.size	_ZN7rocprim17ROCPRIM_400000_NS6detail17trampoline_kernelINS0_14default_configENS1_25transform_config_selectorI14custom_numericLb0EEEZNS1_14transform_implILb0ES3_S6_NS0_18transform_iteratorINS0_17counting_iteratorImlEEZNS1_24adjacent_difference_implIS3_Lb1ELb0EPS5_SC_N6thrust23THRUST_200600_302600_NS4plusIS5_EEEE10hipError_tPvRmT2_T3_mT4_P12ihipStream_tbEUlmE_S5_EESC_NS0_8identityIvEEEESH_SK_SL_mSM_SO_bEUlT_E_NS1_11comp_targetILNS1_3genE8ELNS1_11target_archE1030ELNS1_3gpuE2ELNS1_3repE0EEENS1_30default_config_static_selectorELNS0_4arch9wavefront6targetE1EEEvT1_, .Lfunc_end251-_ZN7rocprim17ROCPRIM_400000_NS6detail17trampoline_kernelINS0_14default_configENS1_25transform_config_selectorI14custom_numericLb0EEEZNS1_14transform_implILb0ES3_S6_NS0_18transform_iteratorINS0_17counting_iteratorImlEEZNS1_24adjacent_difference_implIS3_Lb1ELb0EPS5_SC_N6thrust23THRUST_200600_302600_NS4plusIS5_EEEE10hipError_tPvRmT2_T3_mT4_P12ihipStream_tbEUlmE_S5_EESC_NS0_8identityIvEEEESH_SK_SL_mSM_SO_bEUlT_E_NS1_11comp_targetILNS1_3genE8ELNS1_11target_archE1030ELNS1_3gpuE2ELNS1_3repE0EEENS1_30default_config_static_selectorELNS0_4arch9wavefront6targetE1EEEvT1_
                                        ; -- End function
	.section	.AMDGPU.csdata,"",@progbits
; Kernel info:
; codeLenInByte = 0
; NumSgprs: 6
; NumVgprs: 0
; NumAgprs: 0
; TotalNumVgprs: 0
; ScratchSize: 0
; MemoryBound: 0
; FloatMode: 240
; IeeeMode: 1
; LDSByteSize: 0 bytes/workgroup (compile time only)
; SGPRBlocks: 0
; VGPRBlocks: 0
; NumSGPRsForWavesPerEU: 6
; NumVGPRsForWavesPerEU: 1
; AccumOffset: 4
; Occupancy: 8
; WaveLimiterHint : 0
; COMPUTE_PGM_RSRC2:SCRATCH_EN: 0
; COMPUTE_PGM_RSRC2:USER_SGPR: 2
; COMPUTE_PGM_RSRC2:TRAP_HANDLER: 0
; COMPUTE_PGM_RSRC2:TGID_X_EN: 1
; COMPUTE_PGM_RSRC2:TGID_Y_EN: 0
; COMPUTE_PGM_RSRC2:TGID_Z_EN: 0
; COMPUTE_PGM_RSRC2:TIDIG_COMP_CNT: 0
; COMPUTE_PGM_RSRC3_GFX90A:ACCUM_OFFSET: 0
; COMPUTE_PGM_RSRC3_GFX90A:TG_SPLIT: 0
	.section	.text._ZN7rocprim17ROCPRIM_400000_NS6detail17trampoline_kernelINS0_14default_configENS1_35adjacent_difference_config_selectorILb1E14custom_numericEEZNS1_24adjacent_difference_implIS3_Lb1ELb0EPS5_S8_N6thrust23THRUST_200600_302600_NS4plusIS5_EEEE10hipError_tPvRmT2_T3_mT4_P12ihipStream_tbEUlT_E_NS1_11comp_targetILNS1_3genE0ELNS1_11target_archE4294967295ELNS1_3gpuE0ELNS1_3repE0EEENS1_30default_config_static_selectorELNS0_4arch9wavefront6targetE1EEEvT1_,"axG",@progbits,_ZN7rocprim17ROCPRIM_400000_NS6detail17trampoline_kernelINS0_14default_configENS1_35adjacent_difference_config_selectorILb1E14custom_numericEEZNS1_24adjacent_difference_implIS3_Lb1ELb0EPS5_S8_N6thrust23THRUST_200600_302600_NS4plusIS5_EEEE10hipError_tPvRmT2_T3_mT4_P12ihipStream_tbEUlT_E_NS1_11comp_targetILNS1_3genE0ELNS1_11target_archE4294967295ELNS1_3gpuE0ELNS1_3repE0EEENS1_30default_config_static_selectorELNS0_4arch9wavefront6targetE1EEEvT1_,comdat
	.protected	_ZN7rocprim17ROCPRIM_400000_NS6detail17trampoline_kernelINS0_14default_configENS1_35adjacent_difference_config_selectorILb1E14custom_numericEEZNS1_24adjacent_difference_implIS3_Lb1ELb0EPS5_S8_N6thrust23THRUST_200600_302600_NS4plusIS5_EEEE10hipError_tPvRmT2_T3_mT4_P12ihipStream_tbEUlT_E_NS1_11comp_targetILNS1_3genE0ELNS1_11target_archE4294967295ELNS1_3gpuE0ELNS1_3repE0EEENS1_30default_config_static_selectorELNS0_4arch9wavefront6targetE1EEEvT1_ ; -- Begin function _ZN7rocprim17ROCPRIM_400000_NS6detail17trampoline_kernelINS0_14default_configENS1_35adjacent_difference_config_selectorILb1E14custom_numericEEZNS1_24adjacent_difference_implIS3_Lb1ELb0EPS5_S8_N6thrust23THRUST_200600_302600_NS4plusIS5_EEEE10hipError_tPvRmT2_T3_mT4_P12ihipStream_tbEUlT_E_NS1_11comp_targetILNS1_3genE0ELNS1_11target_archE4294967295ELNS1_3gpuE0ELNS1_3repE0EEENS1_30default_config_static_selectorELNS0_4arch9wavefront6targetE1EEEvT1_
	.globl	_ZN7rocprim17ROCPRIM_400000_NS6detail17trampoline_kernelINS0_14default_configENS1_35adjacent_difference_config_selectorILb1E14custom_numericEEZNS1_24adjacent_difference_implIS3_Lb1ELb0EPS5_S8_N6thrust23THRUST_200600_302600_NS4plusIS5_EEEE10hipError_tPvRmT2_T3_mT4_P12ihipStream_tbEUlT_E_NS1_11comp_targetILNS1_3genE0ELNS1_11target_archE4294967295ELNS1_3gpuE0ELNS1_3repE0EEENS1_30default_config_static_selectorELNS0_4arch9wavefront6targetE1EEEvT1_
	.p2align	8
	.type	_ZN7rocprim17ROCPRIM_400000_NS6detail17trampoline_kernelINS0_14default_configENS1_35adjacent_difference_config_selectorILb1E14custom_numericEEZNS1_24adjacent_difference_implIS3_Lb1ELb0EPS5_S8_N6thrust23THRUST_200600_302600_NS4plusIS5_EEEE10hipError_tPvRmT2_T3_mT4_P12ihipStream_tbEUlT_E_NS1_11comp_targetILNS1_3genE0ELNS1_11target_archE4294967295ELNS1_3gpuE0ELNS1_3repE0EEENS1_30default_config_static_selectorELNS0_4arch9wavefront6targetE1EEEvT1_,@function
_ZN7rocprim17ROCPRIM_400000_NS6detail17trampoline_kernelINS0_14default_configENS1_35adjacent_difference_config_selectorILb1E14custom_numericEEZNS1_24adjacent_difference_implIS3_Lb1ELb0EPS5_S8_N6thrust23THRUST_200600_302600_NS4plusIS5_EEEE10hipError_tPvRmT2_T3_mT4_P12ihipStream_tbEUlT_E_NS1_11comp_targetILNS1_3genE0ELNS1_11target_archE4294967295ELNS1_3gpuE0ELNS1_3repE0EEENS1_30default_config_static_selectorELNS0_4arch9wavefront6targetE1EEEvT1_: ; @_ZN7rocprim17ROCPRIM_400000_NS6detail17trampoline_kernelINS0_14default_configENS1_35adjacent_difference_config_selectorILb1E14custom_numericEEZNS1_24adjacent_difference_implIS3_Lb1ELb0EPS5_S8_N6thrust23THRUST_200600_302600_NS4plusIS5_EEEE10hipError_tPvRmT2_T3_mT4_P12ihipStream_tbEUlT_E_NS1_11comp_targetILNS1_3genE0ELNS1_11target_archE4294967295ELNS1_3gpuE0ELNS1_3repE0EEENS1_30default_config_static_selectorELNS0_4arch9wavefront6targetE1EEEvT1_
; %bb.0:
	.section	.rodata,"a",@progbits
	.p2align	6, 0x0
	.amdhsa_kernel _ZN7rocprim17ROCPRIM_400000_NS6detail17trampoline_kernelINS0_14default_configENS1_35adjacent_difference_config_selectorILb1E14custom_numericEEZNS1_24adjacent_difference_implIS3_Lb1ELb0EPS5_S8_N6thrust23THRUST_200600_302600_NS4plusIS5_EEEE10hipError_tPvRmT2_T3_mT4_P12ihipStream_tbEUlT_E_NS1_11comp_targetILNS1_3genE0ELNS1_11target_archE4294967295ELNS1_3gpuE0ELNS1_3repE0EEENS1_30default_config_static_selectorELNS0_4arch9wavefront6targetE1EEEvT1_
		.amdhsa_group_segment_fixed_size 0
		.amdhsa_private_segment_fixed_size 0
		.amdhsa_kernarg_size 56
		.amdhsa_user_sgpr_count 2
		.amdhsa_user_sgpr_dispatch_ptr 0
		.amdhsa_user_sgpr_queue_ptr 0
		.amdhsa_user_sgpr_kernarg_segment_ptr 1
		.amdhsa_user_sgpr_dispatch_id 0
		.amdhsa_user_sgpr_kernarg_preload_length 0
		.amdhsa_user_sgpr_kernarg_preload_offset 0
		.amdhsa_user_sgpr_private_segment_size 0
		.amdhsa_uses_dynamic_stack 0
		.amdhsa_enable_private_segment 0
		.amdhsa_system_sgpr_workgroup_id_x 1
		.amdhsa_system_sgpr_workgroup_id_y 0
		.amdhsa_system_sgpr_workgroup_id_z 0
		.amdhsa_system_sgpr_workgroup_info 0
		.amdhsa_system_vgpr_workitem_id 0
		.amdhsa_next_free_vgpr 1
		.amdhsa_next_free_sgpr 0
		.amdhsa_accum_offset 4
		.amdhsa_reserve_vcc 0
		.amdhsa_float_round_mode_32 0
		.amdhsa_float_round_mode_16_64 0
		.amdhsa_float_denorm_mode_32 3
		.amdhsa_float_denorm_mode_16_64 3
		.amdhsa_dx10_clamp 1
		.amdhsa_ieee_mode 1
		.amdhsa_fp16_overflow 0
		.amdhsa_tg_split 0
		.amdhsa_exception_fp_ieee_invalid_op 0
		.amdhsa_exception_fp_denorm_src 0
		.amdhsa_exception_fp_ieee_div_zero 0
		.amdhsa_exception_fp_ieee_overflow 0
		.amdhsa_exception_fp_ieee_underflow 0
		.amdhsa_exception_fp_ieee_inexact 0
		.amdhsa_exception_int_div_zero 0
	.end_amdhsa_kernel
	.section	.text._ZN7rocprim17ROCPRIM_400000_NS6detail17trampoline_kernelINS0_14default_configENS1_35adjacent_difference_config_selectorILb1E14custom_numericEEZNS1_24adjacent_difference_implIS3_Lb1ELb0EPS5_S8_N6thrust23THRUST_200600_302600_NS4plusIS5_EEEE10hipError_tPvRmT2_T3_mT4_P12ihipStream_tbEUlT_E_NS1_11comp_targetILNS1_3genE0ELNS1_11target_archE4294967295ELNS1_3gpuE0ELNS1_3repE0EEENS1_30default_config_static_selectorELNS0_4arch9wavefront6targetE1EEEvT1_,"axG",@progbits,_ZN7rocprim17ROCPRIM_400000_NS6detail17trampoline_kernelINS0_14default_configENS1_35adjacent_difference_config_selectorILb1E14custom_numericEEZNS1_24adjacent_difference_implIS3_Lb1ELb0EPS5_S8_N6thrust23THRUST_200600_302600_NS4plusIS5_EEEE10hipError_tPvRmT2_T3_mT4_P12ihipStream_tbEUlT_E_NS1_11comp_targetILNS1_3genE0ELNS1_11target_archE4294967295ELNS1_3gpuE0ELNS1_3repE0EEENS1_30default_config_static_selectorELNS0_4arch9wavefront6targetE1EEEvT1_,comdat
.Lfunc_end252:
	.size	_ZN7rocprim17ROCPRIM_400000_NS6detail17trampoline_kernelINS0_14default_configENS1_35adjacent_difference_config_selectorILb1E14custom_numericEEZNS1_24adjacent_difference_implIS3_Lb1ELb0EPS5_S8_N6thrust23THRUST_200600_302600_NS4plusIS5_EEEE10hipError_tPvRmT2_T3_mT4_P12ihipStream_tbEUlT_E_NS1_11comp_targetILNS1_3genE0ELNS1_11target_archE4294967295ELNS1_3gpuE0ELNS1_3repE0EEENS1_30default_config_static_selectorELNS0_4arch9wavefront6targetE1EEEvT1_, .Lfunc_end252-_ZN7rocprim17ROCPRIM_400000_NS6detail17trampoline_kernelINS0_14default_configENS1_35adjacent_difference_config_selectorILb1E14custom_numericEEZNS1_24adjacent_difference_implIS3_Lb1ELb0EPS5_S8_N6thrust23THRUST_200600_302600_NS4plusIS5_EEEE10hipError_tPvRmT2_T3_mT4_P12ihipStream_tbEUlT_E_NS1_11comp_targetILNS1_3genE0ELNS1_11target_archE4294967295ELNS1_3gpuE0ELNS1_3repE0EEENS1_30default_config_static_selectorELNS0_4arch9wavefront6targetE1EEEvT1_
                                        ; -- End function
	.section	.AMDGPU.csdata,"",@progbits
; Kernel info:
; codeLenInByte = 0
; NumSgprs: 6
; NumVgprs: 0
; NumAgprs: 0
; TotalNumVgprs: 0
; ScratchSize: 0
; MemoryBound: 0
; FloatMode: 240
; IeeeMode: 1
; LDSByteSize: 0 bytes/workgroup (compile time only)
; SGPRBlocks: 0
; VGPRBlocks: 0
; NumSGPRsForWavesPerEU: 6
; NumVGPRsForWavesPerEU: 1
; AccumOffset: 4
; Occupancy: 8
; WaveLimiterHint : 0
; COMPUTE_PGM_RSRC2:SCRATCH_EN: 0
; COMPUTE_PGM_RSRC2:USER_SGPR: 2
; COMPUTE_PGM_RSRC2:TRAP_HANDLER: 0
; COMPUTE_PGM_RSRC2:TGID_X_EN: 1
; COMPUTE_PGM_RSRC2:TGID_Y_EN: 0
; COMPUTE_PGM_RSRC2:TGID_Z_EN: 0
; COMPUTE_PGM_RSRC2:TIDIG_COMP_CNT: 0
; COMPUTE_PGM_RSRC3_GFX90A:ACCUM_OFFSET: 0
; COMPUTE_PGM_RSRC3_GFX90A:TG_SPLIT: 0
	.section	.text._ZN7rocprim17ROCPRIM_400000_NS6detail17trampoline_kernelINS0_14default_configENS1_35adjacent_difference_config_selectorILb1E14custom_numericEEZNS1_24adjacent_difference_implIS3_Lb1ELb0EPS5_S8_N6thrust23THRUST_200600_302600_NS4plusIS5_EEEE10hipError_tPvRmT2_T3_mT4_P12ihipStream_tbEUlT_E_NS1_11comp_targetILNS1_3genE10ELNS1_11target_archE1201ELNS1_3gpuE5ELNS1_3repE0EEENS1_30default_config_static_selectorELNS0_4arch9wavefront6targetE1EEEvT1_,"axG",@progbits,_ZN7rocprim17ROCPRIM_400000_NS6detail17trampoline_kernelINS0_14default_configENS1_35adjacent_difference_config_selectorILb1E14custom_numericEEZNS1_24adjacent_difference_implIS3_Lb1ELb0EPS5_S8_N6thrust23THRUST_200600_302600_NS4plusIS5_EEEE10hipError_tPvRmT2_T3_mT4_P12ihipStream_tbEUlT_E_NS1_11comp_targetILNS1_3genE10ELNS1_11target_archE1201ELNS1_3gpuE5ELNS1_3repE0EEENS1_30default_config_static_selectorELNS0_4arch9wavefront6targetE1EEEvT1_,comdat
	.protected	_ZN7rocprim17ROCPRIM_400000_NS6detail17trampoline_kernelINS0_14default_configENS1_35adjacent_difference_config_selectorILb1E14custom_numericEEZNS1_24adjacent_difference_implIS3_Lb1ELb0EPS5_S8_N6thrust23THRUST_200600_302600_NS4plusIS5_EEEE10hipError_tPvRmT2_T3_mT4_P12ihipStream_tbEUlT_E_NS1_11comp_targetILNS1_3genE10ELNS1_11target_archE1201ELNS1_3gpuE5ELNS1_3repE0EEENS1_30default_config_static_selectorELNS0_4arch9wavefront6targetE1EEEvT1_ ; -- Begin function _ZN7rocprim17ROCPRIM_400000_NS6detail17trampoline_kernelINS0_14default_configENS1_35adjacent_difference_config_selectorILb1E14custom_numericEEZNS1_24adjacent_difference_implIS3_Lb1ELb0EPS5_S8_N6thrust23THRUST_200600_302600_NS4plusIS5_EEEE10hipError_tPvRmT2_T3_mT4_P12ihipStream_tbEUlT_E_NS1_11comp_targetILNS1_3genE10ELNS1_11target_archE1201ELNS1_3gpuE5ELNS1_3repE0EEENS1_30default_config_static_selectorELNS0_4arch9wavefront6targetE1EEEvT1_
	.globl	_ZN7rocprim17ROCPRIM_400000_NS6detail17trampoline_kernelINS0_14default_configENS1_35adjacent_difference_config_selectorILb1E14custom_numericEEZNS1_24adjacent_difference_implIS3_Lb1ELb0EPS5_S8_N6thrust23THRUST_200600_302600_NS4plusIS5_EEEE10hipError_tPvRmT2_T3_mT4_P12ihipStream_tbEUlT_E_NS1_11comp_targetILNS1_3genE10ELNS1_11target_archE1201ELNS1_3gpuE5ELNS1_3repE0EEENS1_30default_config_static_selectorELNS0_4arch9wavefront6targetE1EEEvT1_
	.p2align	8
	.type	_ZN7rocprim17ROCPRIM_400000_NS6detail17trampoline_kernelINS0_14default_configENS1_35adjacent_difference_config_selectorILb1E14custom_numericEEZNS1_24adjacent_difference_implIS3_Lb1ELb0EPS5_S8_N6thrust23THRUST_200600_302600_NS4plusIS5_EEEE10hipError_tPvRmT2_T3_mT4_P12ihipStream_tbEUlT_E_NS1_11comp_targetILNS1_3genE10ELNS1_11target_archE1201ELNS1_3gpuE5ELNS1_3repE0EEENS1_30default_config_static_selectorELNS0_4arch9wavefront6targetE1EEEvT1_,@function
_ZN7rocprim17ROCPRIM_400000_NS6detail17trampoline_kernelINS0_14default_configENS1_35adjacent_difference_config_selectorILb1E14custom_numericEEZNS1_24adjacent_difference_implIS3_Lb1ELb0EPS5_S8_N6thrust23THRUST_200600_302600_NS4plusIS5_EEEE10hipError_tPvRmT2_T3_mT4_P12ihipStream_tbEUlT_E_NS1_11comp_targetILNS1_3genE10ELNS1_11target_archE1201ELNS1_3gpuE5ELNS1_3repE0EEENS1_30default_config_static_selectorELNS0_4arch9wavefront6targetE1EEEvT1_: ; @_ZN7rocprim17ROCPRIM_400000_NS6detail17trampoline_kernelINS0_14default_configENS1_35adjacent_difference_config_selectorILb1E14custom_numericEEZNS1_24adjacent_difference_implIS3_Lb1ELb0EPS5_S8_N6thrust23THRUST_200600_302600_NS4plusIS5_EEEE10hipError_tPvRmT2_T3_mT4_P12ihipStream_tbEUlT_E_NS1_11comp_targetILNS1_3genE10ELNS1_11target_archE1201ELNS1_3gpuE5ELNS1_3repE0EEENS1_30default_config_static_selectorELNS0_4arch9wavefront6targetE1EEEvT1_
; %bb.0:
	.section	.rodata,"a",@progbits
	.p2align	6, 0x0
	.amdhsa_kernel _ZN7rocprim17ROCPRIM_400000_NS6detail17trampoline_kernelINS0_14default_configENS1_35adjacent_difference_config_selectorILb1E14custom_numericEEZNS1_24adjacent_difference_implIS3_Lb1ELb0EPS5_S8_N6thrust23THRUST_200600_302600_NS4plusIS5_EEEE10hipError_tPvRmT2_T3_mT4_P12ihipStream_tbEUlT_E_NS1_11comp_targetILNS1_3genE10ELNS1_11target_archE1201ELNS1_3gpuE5ELNS1_3repE0EEENS1_30default_config_static_selectorELNS0_4arch9wavefront6targetE1EEEvT1_
		.amdhsa_group_segment_fixed_size 0
		.amdhsa_private_segment_fixed_size 0
		.amdhsa_kernarg_size 56
		.amdhsa_user_sgpr_count 2
		.amdhsa_user_sgpr_dispatch_ptr 0
		.amdhsa_user_sgpr_queue_ptr 0
		.amdhsa_user_sgpr_kernarg_segment_ptr 1
		.amdhsa_user_sgpr_dispatch_id 0
		.amdhsa_user_sgpr_kernarg_preload_length 0
		.amdhsa_user_sgpr_kernarg_preload_offset 0
		.amdhsa_user_sgpr_private_segment_size 0
		.amdhsa_uses_dynamic_stack 0
		.amdhsa_enable_private_segment 0
		.amdhsa_system_sgpr_workgroup_id_x 1
		.amdhsa_system_sgpr_workgroup_id_y 0
		.amdhsa_system_sgpr_workgroup_id_z 0
		.amdhsa_system_sgpr_workgroup_info 0
		.amdhsa_system_vgpr_workitem_id 0
		.amdhsa_next_free_vgpr 1
		.amdhsa_next_free_sgpr 0
		.amdhsa_accum_offset 4
		.amdhsa_reserve_vcc 0
		.amdhsa_float_round_mode_32 0
		.amdhsa_float_round_mode_16_64 0
		.amdhsa_float_denorm_mode_32 3
		.amdhsa_float_denorm_mode_16_64 3
		.amdhsa_dx10_clamp 1
		.amdhsa_ieee_mode 1
		.amdhsa_fp16_overflow 0
		.amdhsa_tg_split 0
		.amdhsa_exception_fp_ieee_invalid_op 0
		.amdhsa_exception_fp_denorm_src 0
		.amdhsa_exception_fp_ieee_div_zero 0
		.amdhsa_exception_fp_ieee_overflow 0
		.amdhsa_exception_fp_ieee_underflow 0
		.amdhsa_exception_fp_ieee_inexact 0
		.amdhsa_exception_int_div_zero 0
	.end_amdhsa_kernel
	.section	.text._ZN7rocprim17ROCPRIM_400000_NS6detail17trampoline_kernelINS0_14default_configENS1_35adjacent_difference_config_selectorILb1E14custom_numericEEZNS1_24adjacent_difference_implIS3_Lb1ELb0EPS5_S8_N6thrust23THRUST_200600_302600_NS4plusIS5_EEEE10hipError_tPvRmT2_T3_mT4_P12ihipStream_tbEUlT_E_NS1_11comp_targetILNS1_3genE10ELNS1_11target_archE1201ELNS1_3gpuE5ELNS1_3repE0EEENS1_30default_config_static_selectorELNS0_4arch9wavefront6targetE1EEEvT1_,"axG",@progbits,_ZN7rocprim17ROCPRIM_400000_NS6detail17trampoline_kernelINS0_14default_configENS1_35adjacent_difference_config_selectorILb1E14custom_numericEEZNS1_24adjacent_difference_implIS3_Lb1ELb0EPS5_S8_N6thrust23THRUST_200600_302600_NS4plusIS5_EEEE10hipError_tPvRmT2_T3_mT4_P12ihipStream_tbEUlT_E_NS1_11comp_targetILNS1_3genE10ELNS1_11target_archE1201ELNS1_3gpuE5ELNS1_3repE0EEENS1_30default_config_static_selectorELNS0_4arch9wavefront6targetE1EEEvT1_,comdat
.Lfunc_end253:
	.size	_ZN7rocprim17ROCPRIM_400000_NS6detail17trampoline_kernelINS0_14default_configENS1_35adjacent_difference_config_selectorILb1E14custom_numericEEZNS1_24adjacent_difference_implIS3_Lb1ELb0EPS5_S8_N6thrust23THRUST_200600_302600_NS4plusIS5_EEEE10hipError_tPvRmT2_T3_mT4_P12ihipStream_tbEUlT_E_NS1_11comp_targetILNS1_3genE10ELNS1_11target_archE1201ELNS1_3gpuE5ELNS1_3repE0EEENS1_30default_config_static_selectorELNS0_4arch9wavefront6targetE1EEEvT1_, .Lfunc_end253-_ZN7rocprim17ROCPRIM_400000_NS6detail17trampoline_kernelINS0_14default_configENS1_35adjacent_difference_config_selectorILb1E14custom_numericEEZNS1_24adjacent_difference_implIS3_Lb1ELb0EPS5_S8_N6thrust23THRUST_200600_302600_NS4plusIS5_EEEE10hipError_tPvRmT2_T3_mT4_P12ihipStream_tbEUlT_E_NS1_11comp_targetILNS1_3genE10ELNS1_11target_archE1201ELNS1_3gpuE5ELNS1_3repE0EEENS1_30default_config_static_selectorELNS0_4arch9wavefront6targetE1EEEvT1_
                                        ; -- End function
	.section	.AMDGPU.csdata,"",@progbits
; Kernel info:
; codeLenInByte = 0
; NumSgprs: 6
; NumVgprs: 0
; NumAgprs: 0
; TotalNumVgprs: 0
; ScratchSize: 0
; MemoryBound: 0
; FloatMode: 240
; IeeeMode: 1
; LDSByteSize: 0 bytes/workgroup (compile time only)
; SGPRBlocks: 0
; VGPRBlocks: 0
; NumSGPRsForWavesPerEU: 6
; NumVGPRsForWavesPerEU: 1
; AccumOffset: 4
; Occupancy: 8
; WaveLimiterHint : 0
; COMPUTE_PGM_RSRC2:SCRATCH_EN: 0
; COMPUTE_PGM_RSRC2:USER_SGPR: 2
; COMPUTE_PGM_RSRC2:TRAP_HANDLER: 0
; COMPUTE_PGM_RSRC2:TGID_X_EN: 1
; COMPUTE_PGM_RSRC2:TGID_Y_EN: 0
; COMPUTE_PGM_RSRC2:TGID_Z_EN: 0
; COMPUTE_PGM_RSRC2:TIDIG_COMP_CNT: 0
; COMPUTE_PGM_RSRC3_GFX90A:ACCUM_OFFSET: 0
; COMPUTE_PGM_RSRC3_GFX90A:TG_SPLIT: 0
	.section	.text._ZN7rocprim17ROCPRIM_400000_NS6detail17trampoline_kernelINS0_14default_configENS1_35adjacent_difference_config_selectorILb1E14custom_numericEEZNS1_24adjacent_difference_implIS3_Lb1ELb0EPS5_S8_N6thrust23THRUST_200600_302600_NS4plusIS5_EEEE10hipError_tPvRmT2_T3_mT4_P12ihipStream_tbEUlT_E_NS1_11comp_targetILNS1_3genE5ELNS1_11target_archE942ELNS1_3gpuE9ELNS1_3repE0EEENS1_30default_config_static_selectorELNS0_4arch9wavefront6targetE1EEEvT1_,"axG",@progbits,_ZN7rocprim17ROCPRIM_400000_NS6detail17trampoline_kernelINS0_14default_configENS1_35adjacent_difference_config_selectorILb1E14custom_numericEEZNS1_24adjacent_difference_implIS3_Lb1ELb0EPS5_S8_N6thrust23THRUST_200600_302600_NS4plusIS5_EEEE10hipError_tPvRmT2_T3_mT4_P12ihipStream_tbEUlT_E_NS1_11comp_targetILNS1_3genE5ELNS1_11target_archE942ELNS1_3gpuE9ELNS1_3repE0EEENS1_30default_config_static_selectorELNS0_4arch9wavefront6targetE1EEEvT1_,comdat
	.protected	_ZN7rocprim17ROCPRIM_400000_NS6detail17trampoline_kernelINS0_14default_configENS1_35adjacent_difference_config_selectorILb1E14custom_numericEEZNS1_24adjacent_difference_implIS3_Lb1ELb0EPS5_S8_N6thrust23THRUST_200600_302600_NS4plusIS5_EEEE10hipError_tPvRmT2_T3_mT4_P12ihipStream_tbEUlT_E_NS1_11comp_targetILNS1_3genE5ELNS1_11target_archE942ELNS1_3gpuE9ELNS1_3repE0EEENS1_30default_config_static_selectorELNS0_4arch9wavefront6targetE1EEEvT1_ ; -- Begin function _ZN7rocprim17ROCPRIM_400000_NS6detail17trampoline_kernelINS0_14default_configENS1_35adjacent_difference_config_selectorILb1E14custom_numericEEZNS1_24adjacent_difference_implIS3_Lb1ELb0EPS5_S8_N6thrust23THRUST_200600_302600_NS4plusIS5_EEEE10hipError_tPvRmT2_T3_mT4_P12ihipStream_tbEUlT_E_NS1_11comp_targetILNS1_3genE5ELNS1_11target_archE942ELNS1_3gpuE9ELNS1_3repE0EEENS1_30default_config_static_selectorELNS0_4arch9wavefront6targetE1EEEvT1_
	.globl	_ZN7rocprim17ROCPRIM_400000_NS6detail17trampoline_kernelINS0_14default_configENS1_35adjacent_difference_config_selectorILb1E14custom_numericEEZNS1_24adjacent_difference_implIS3_Lb1ELb0EPS5_S8_N6thrust23THRUST_200600_302600_NS4plusIS5_EEEE10hipError_tPvRmT2_T3_mT4_P12ihipStream_tbEUlT_E_NS1_11comp_targetILNS1_3genE5ELNS1_11target_archE942ELNS1_3gpuE9ELNS1_3repE0EEENS1_30default_config_static_selectorELNS0_4arch9wavefront6targetE1EEEvT1_
	.p2align	8
	.type	_ZN7rocprim17ROCPRIM_400000_NS6detail17trampoline_kernelINS0_14default_configENS1_35adjacent_difference_config_selectorILb1E14custom_numericEEZNS1_24adjacent_difference_implIS3_Lb1ELb0EPS5_S8_N6thrust23THRUST_200600_302600_NS4plusIS5_EEEE10hipError_tPvRmT2_T3_mT4_P12ihipStream_tbEUlT_E_NS1_11comp_targetILNS1_3genE5ELNS1_11target_archE942ELNS1_3gpuE9ELNS1_3repE0EEENS1_30default_config_static_selectorELNS0_4arch9wavefront6targetE1EEEvT1_,@function
_ZN7rocprim17ROCPRIM_400000_NS6detail17trampoline_kernelINS0_14default_configENS1_35adjacent_difference_config_selectorILb1E14custom_numericEEZNS1_24adjacent_difference_implIS3_Lb1ELb0EPS5_S8_N6thrust23THRUST_200600_302600_NS4plusIS5_EEEE10hipError_tPvRmT2_T3_mT4_P12ihipStream_tbEUlT_E_NS1_11comp_targetILNS1_3genE5ELNS1_11target_archE942ELNS1_3gpuE9ELNS1_3repE0EEENS1_30default_config_static_selectorELNS0_4arch9wavefront6targetE1EEEvT1_: ; @_ZN7rocprim17ROCPRIM_400000_NS6detail17trampoline_kernelINS0_14default_configENS1_35adjacent_difference_config_selectorILb1E14custom_numericEEZNS1_24adjacent_difference_implIS3_Lb1ELb0EPS5_S8_N6thrust23THRUST_200600_302600_NS4plusIS5_EEEE10hipError_tPvRmT2_T3_mT4_P12ihipStream_tbEUlT_E_NS1_11comp_targetILNS1_3genE5ELNS1_11target_archE942ELNS1_3gpuE9ELNS1_3repE0EEENS1_30default_config_static_selectorELNS0_4arch9wavefront6targetE1EEEvT1_
; %bb.0:
	s_load_dwordx8 s[4:11], s[0:1], 0x0
	s_load_dwordx4 s[12:15], s[0:1], 0x28
	s_mov_b32 s1, 0x55500000
	v_mov_b32_e32 v1, 0x55555000
	s_mul_i32 s22, s2, 0x300
	s_waitcnt lgkmcnt(0)
	s_mul_i32 s0, s7, 20
	s_mul_hi_u32 s23, s6, 20
	s_add_i32 s23, s23, s0
	s_mul_i32 s24, s6, 20
	s_add_u32 s3, s4, s24
	s_addc_u32 s26, s5, s23
	s_add_u32 s1, 0x55555, s1
	s_addc_u32 s1, 0, 0x555
	;; [unrolled: 2-line block ×3, first 2 shown]
	v_add_co_u32_e32 v1, vcc, s1, v1
	s_cmp_lg_u64 vcc, 0
	s_addc_u32 s1, s4, 0x555555
	v_readfirstlane_b32 s6, v1
	s_mul_i32 s5, s10, s1
	s_mul_hi_u32 s7, s10, s6
	s_mul_hi_u32 s4, s10, s1
	s_add_u32 s5, s7, s5
	s_addc_u32 s4, 0, s4
	s_mul_hi_u32 s16, s11, s6
	s_mul_i32 s6, s11, s6
	s_add_u32 s5, s5, s6
	s_mul_hi_u32 s7, s11, s1
	s_addc_u32 s4, s4, s16
	s_addc_u32 s5, s7, 0
	s_mul_i32 s1, s11, s1
	s_add_u32 s1, s4, s1
	s_addc_u32 s4, 0, s5
	s_add_u32 s5, s1, 1
	s_addc_u32 s6, s4, 0
	s_add_u32 s7, s1, 2
	s_mul_i32 s17, s4, 0x300
	s_mul_hi_u32 s18, s1, 0x300
	s_addc_u32 s16, s4, 0
	s_add_i32 s18, s18, s17
	s_mul_i32 s17, s1, 0x300
	v_mov_b32_e32 v1, s17
	v_sub_co_u32_e32 v1, vcc, s10, v1
	s_movk_i32 s0, 0x300
	s_cmp_lg_u64 vcc, 0
	s_subb_u32 s17, s11, s18
	v_subrev_co_u32_e32 v2, vcc, s0, v1
	s_cmp_lg_u64 vcc, 0
	s_subb_u32 s0, s17, 0
	v_readfirstlane_b32 s18, v2
	s_cmpk_gt_u32 s18, 0x2ff
	s_cselect_b32 s18, -1, 0
	s_cmp_eq_u32 s0, 0
	s_cselect_b32 s0, s18, -1
	s_cmp_lg_u32 s0, 0
	s_cselect_b32 s0, s7, s5
	s_cselect_b32 s5, s16, s6
	v_readfirstlane_b32 s6, v1
	s_cmpk_gt_u32 s6, 0x2ff
	s_cselect_b32 s6, -1, 0
	s_cmp_eq_u32 s17, 0
	s_cselect_b32 s6, s6, -1
	s_cmp_lg_u32 s6, 0
	s_cselect_b32 s5, s5, s4
	s_cselect_b32 s4, s0, s1
	s_mul_i32 s0, s5, 0x300
	s_mul_hi_u32 s1, s4, 0x300
	s_add_i32 s1, s1, s0
	s_mul_i32 s0, s4, 0x300
	s_sub_u32 s0, s10, s0
	s_subb_u32 s1, s11, s1
	s_cmp_lg_u64 s[0:1], 0
	s_cselect_b64 s[0:1], -1, 0
	v_cndmask_b32_e64 v1, 0, 1, s[0:1]
	s_mov_b64 s[18:19], -1
	v_readfirstlane_b32 s0, v1
	s_add_u32 s4, s4, s0
	s_addc_u32 s5, s5, 0
	s_add_u32 s6, s14, s2
	s_addc_u32 s7, s15, 0
	s_add_u32 s16, s4, -1
	s_addc_u32 s17, s5, -1
	v_mov_b64_e32 v[2:3], s[16:17]
	v_cmp_ge_u64_e64 s[0:1], s[6:7], v[2:3]
	s_and_b64 vcc, exec, s[0:1]
	s_mul_i32 s25, s16, 0xfffffd00
	s_mul_hi_u32 s11, s22, 20
	s_mul_i32 s22, s22, 20
	s_cbranch_vccz .LBB254_8
; %bb.1:
	s_add_i32 s27, s25, s10
	s_add_u32 s18, s3, s22
	s_addc_u32 s19, s26, s11
	v_cmp_gt_u32_e32 vcc, s27, v0
	v_mov_b32_e32 v1, 0
	v_mov_b32_e32 v2, 0
	s_and_saveexec_b64 s[20:21], vcc
	s_cbranch_execz .LBB254_3
; %bb.2:
	v_mad_u64_u32 v[2:3], s[28:29], v0, 20, s[18:19]
	global_load_dword v2, v[2:3], off
.LBB254_3:
	s_or_b64 exec, exec, s[20:21]
	v_or_b32_e32 v3, 0x100, v0
	v_cmp_gt_u32_e32 vcc, s27, v3
	s_and_saveexec_b64 s[20:21], vcc
	s_cbranch_execz .LBB254_5
; %bb.4:
	v_mad_u64_u32 v[4:5], s[28:29], v3, 20, s[18:19]
	global_load_dword v1, v[4:5], off
.LBB254_5:
	s_or_b64 exec, exec, s[20:21]
	v_or_b32_e32 v4, 0x200, v0
	v_cmp_gt_u32_e32 vcc, s27, v4
	v_mov_b32_e32 v3, 0
	s_and_saveexec_b64 s[20:21], vcc
	s_cbranch_execz .LBB254_7
; %bb.6:
	v_mad_u64_u32 v[4:5], s[18:19], v4, 20, s[18:19]
	global_load_dword v3, v[4:5], off
.LBB254_7:
	s_or_b64 exec, exec, s[20:21]
	v_mov_b32_e32 v5, 0x1400
	v_mul_u32_u24_e32 v4, 20, v0
	v_mad_u32_u24 v5, v0, 20, v5
	s_waitcnt vmcnt(0)
	ds_write2_b32 v4, v2, v2 offset1:1
	ds_write2_b32 v4, v2, v2 offset0:2 offset1:3
	ds_write2_b32 v5, v1, v1 offset1:1
	v_mov_b32_e32 v5, 0x1408
	v_mad_u32_u24 v5, v0, 20, v5
	ds_write2_b32 v5, v1, v1 offset1:1
	v_add_u32_e32 v5, 16, v4
	ds_write2st64_b32 v5, v2, v1 offset1:20
	v_mov_b32_e32 v1, 0x2800
	v_mad_u32_u24 v1, v0, 20, v1
	ds_write2_b32 v1, v3, v3 offset1:1
	v_mov_b32_e32 v1, 0x2808
	v_mad_u32_u24 v1, v0, 20, v1
	s_mov_b64 s[18:19], 0
	ds_write2_b32 v1, v3, v3 offset1:1
	ds_write_b32 v4, v3 offset:10256
	s_waitcnt lgkmcnt(0)
	s_barrier
.LBB254_8:
	s_and_b64 vcc, exec, s[18:19]
	v_mul_u32_u24_e32 v1, 20, v0
	s_cbranch_vccz .LBB254_10
; %bb.9:
	s_add_u32 s18, s3, s22
	s_addc_u32 s19, s26, s11
	v_mad_u64_u32 v[2:3], s[18:19], v0, 20, s[18:19]
	v_add_co_u32_e32 v4, vcc, 0x1000, v2
	v_mov_b32_e32 v8, 0x2800
	s_nop 0
	v_addc_co_u32_e32 v5, vcc, 0, v3, vcc
	global_load_dword v6, v[2:3], off
	global_load_dword v7, v[4:5], off offset:1024
	v_add_co_u32_e32 v2, vcc, 0x2000, v2
	v_mov_b32_e32 v4, 0x1408
	s_nop 0
	v_addc_co_u32_e32 v3, vcc, 0, v3, vcc
	global_load_dword v2, v[2:3], off offset:2048
	v_mov_b32_e32 v3, 0x1400
	v_mov_b32_e32 v9, 0x2808
	v_add_u32_e32 v5, 16, v1
	v_mad_u32_u24 v3, v0, 20, v3
	v_mad_u32_u24 v4, v0, 20, v4
	;; [unrolled: 1-line block ×4, first 2 shown]
	s_waitcnt vmcnt(2)
	ds_write2_b32 v1, v6, v6 offset1:1
	ds_write2_b32 v1, v6, v6 offset0:2 offset1:3
	s_waitcnt vmcnt(1)
	ds_write2_b32 v3, v7, v7 offset1:1
	ds_write2_b32 v4, v7, v7 offset1:1
	ds_write2st64_b32 v5, v6, v7 offset1:20
	s_waitcnt vmcnt(0)
	ds_write2_b32 v8, v2, v2 offset1:1
	ds_write2_b32 v9, v2, v2 offset1:1
	ds_write_b32 v1, v2 offset:10256
	s_waitcnt lgkmcnt(0)
	s_barrier
.LBB254_10:
	v_mul_u32_u24_e32 v2, 3, v0
	v_mul_lo_u32 v4, v2, 20
	ds_read2_b32 v[2:3], v4 offset1:5
	ds_read_b32 v4, v4 offset:40
	s_cmp_eq_u64 s[6:7], 0
	s_waitcnt lgkmcnt(0)
	s_barrier
	s_cbranch_scc1 .LBB254_15
; %bb.11:
	s_mul_i32 s3, s15, 20
	s_mul_hi_u32 s15, s14, 20
	s_add_i32 s15, s15, s3
	s_mul_i32 s3, s14, 20
	s_add_u32 s3, s12, s3
	s_addc_u32 s12, s13, s15
	s_mul_hi_u32 s13, s2, 20
	s_mul_i32 s2, s2, 20
	s_add_u32 s2, s3, s2
	s_addc_u32 s3, s12, s13
	s_add_u32 s2, s2, 0xffffffec
	s_addc_u32 s3, s3, -1
	s_load_dword s12, s[2:3], 0x0
	s_cmp_eq_u64 s[6:7], s[16:17]
	s_cbranch_scc1 .LBB254_16
; %bb.12:
	v_cmp_ne_u32_e32 vcc, 0, v0
	s_waitcnt lgkmcnt(0)
	v_mov_b32_e32 v5, s12
	ds_write2_b32 v1, v4, v4 offset1:1
	ds_write2_b32 v1, v4, v4 offset0:2 offset1:3
	ds_write_b32 v1, v4 offset:16
	s_waitcnt lgkmcnt(0)
	s_barrier
	s_and_saveexec_b64 s[2:3], vcc
	s_cbranch_execz .LBB254_14
; %bb.13:
	v_subrev_u32_e32 v5, 20, v1
	ds_read_b32 v5, v5
.LBB254_14:
	s_or_b64 exec, exec, s[2:3]
	s_waitcnt lgkmcnt(0)
	v_add_u32_e32 v5, v5, v2
	v_mov_b32_e32 v6, v3
	v_mov_b32_e32 v7, v2
	s_branch .LBB254_20
.LBB254_15:
                                        ; implicit-def: $vgpr6
                                        ; implicit-def: $vgpr7
                                        ; implicit-def: $vgpr5
	s_branch .LBB254_21
.LBB254_16:
                                        ; implicit-def: $vgpr5
	v_mov_b32_e32 v6, v3
	v_mov_b32_e32 v7, v2
	s_cbranch_execz .LBB254_20
; %bb.17:
	v_mul_u32_u24_e32 v5, 3, v0
	v_cmp_ne_u32_e32 vcc, 0, v0
	s_waitcnt lgkmcnt(0)
	v_mov_b32_e32 v8, s12
	ds_write2_b32 v1, v4, v4 offset1:1
	ds_write2_b32 v1, v4, v4 offset0:2 offset1:3
	ds_write_b32 v1, v4 offset:16
	s_waitcnt lgkmcnt(0)
	s_barrier
	s_and_saveexec_b64 s[2:3], vcc
	s_cbranch_execz .LBB254_19
; %bb.18:
	v_subrev_u32_e32 v6, 20, v1
	ds_read_b32 v8, v6
.LBB254_19:
	s_or_b64 exec, exec, s[2:3]
	s_mul_i32 s2, s6, 0xfffffd00
	s_add_i32 s2, s2, s10
	v_add_u32_e32 v6, 1, v5
	v_add_u32_e32 v9, 2, v5
	v_cmp_gt_u32_e32 vcc, s2, v6
	s_nop 1
	v_cndmask_b32_e32 v7, 0, v2, vcc
	v_cmp_gt_u32_e32 vcc, s2, v9
	s_nop 1
	v_cndmask_b32_e32 v6, 0, v3, vcc
	v_cmp_gt_u32_e32 vcc, s2, v5
	s_waitcnt lgkmcnt(0)
	s_nop 0
	v_cndmask_b32_e32 v5, 0, v8, vcc
	v_add_u32_e32 v5, v5, v2
.LBB254_20:
	s_cbranch_execnz .LBB254_30
.LBB254_21:
	s_cmp_eq_u64 s[4:5], 1
	v_cmp_ne_u32_e32 vcc, 0, v0
	s_cbranch_scc1 .LBB254_25
; %bb.22:
	v_mov_b32_e32 v5, v2
	ds_write2_b32 v1, v4, v4 offset1:1
	ds_write2_b32 v1, v4, v4 offset0:2 offset1:3
	ds_write_b32 v1, v4 offset:16
	s_waitcnt lgkmcnt(0)
	s_barrier
	s_and_saveexec_b64 s[2:3], vcc
	s_cbranch_execz .LBB254_24
; %bb.23:
	v_subrev_u32_e32 v5, 20, v1
	ds_read_b32 v5, v5
	s_waitcnt lgkmcnt(0)
	v_add_u32_e32 v5, v5, v2
.LBB254_24:
	s_or_b64 exec, exec, s[2:3]
	v_mov_b32_e32 v6, v3
	s_cbranch_execz .LBB254_26
	s_branch .LBB254_29
.LBB254_25:
                                        ; implicit-def: $vgpr5
	v_mov_b32_e32 v6, v3
.LBB254_26:
	v_mul_u32_u24_e32 v5, 3, v0
	v_mad_u32_u24 v6, v0, 3, 1
	v_mad_u32_u24 v7, v0, 3, 2
	v_cmp_ne_u32_e64 s[4:5], 0, v0
	v_cmp_gt_u32_e64 s[6:7], s10, v5
	v_cmp_gt_u32_e32 vcc, s10, v7
	v_cmp_gt_u32_e64 s[2:3], s10, v6
	s_and_b64 s[6:7], s[4:5], s[6:7]
	v_mov_b32_e32 v5, v2
	ds_write2_b32 v1, v4, v4 offset1:1
	ds_write2_b32 v1, v4, v4 offset0:2 offset1:3
	ds_write_b32 v1, v4 offset:16
	s_waitcnt lgkmcnt(0)
	s_barrier
	s_and_saveexec_b64 s[4:5], s[6:7]
	s_cbranch_execz .LBB254_28
; %bb.27:
	v_subrev_u32_e32 v1, 20, v1
	ds_read_b32 v1, v1
	s_waitcnt lgkmcnt(0)
	v_add_u32_e32 v5, v1, v2
.LBB254_28:
	s_or_b64 exec, exec, s[4:5]
	v_cndmask_b32_e64 v2, 0, v2, s[2:3]
	v_cndmask_b32_e32 v6, 0, v3, vcc
.LBB254_29:
	v_mov_b32_e32 v7, v2
.LBB254_30:
	s_add_u32 s5, s8, s24
	s_addc_u32 s4, s9, s23
	v_add_u32_e32 v1, v6, v4
	v_add_u32_e32 v4, v7, v3
	s_and_b64 vcc, exec, s[0:1]
	v_mul_u32_u24_e32 v8, 60, v0
	s_waitcnt lgkmcnt(0)
	s_barrier
	s_cbranch_vccz .LBB254_36
; %bb.31:
	v_mul_i32_i24_e32 v9, 0xffffffd8, v0
	v_mad_u32_u24 v2, v0, 60, v9
	ds_write2_b32 v8, v5, v5 offset1:1
	ds_write2_b32 v8, v5, v5 offset0:2 offset1:3
	ds_write_b32 v8, v5 offset:16
	ds_write2_b32 v8, v4, v4 offset0:5 offset1:6
	ds_write2_b32 v8, v4, v4 offset0:7 offset1:8
	;; [unrolled: 1-line block ×5, first 2 shown]
	s_waitcnt lgkmcnt(0)
	s_barrier
	ds_read2st64_b32 v[2:3], v2 offset0:20 offset1:40
	s_add_i32 s25, s25, s10
	s_add_u32 s0, s5, s22
	s_addc_u32 s1, s4, s11
	v_mad_u64_u32 v[6:7], s[0:1], v0, 20, s[0:1]
	v_cmp_gt_u32_e32 vcc, s25, v0
	s_and_saveexec_b64 s[0:1], vcc
	s_cbranch_execz .LBB254_33
; %bb.32:
	v_add_u32_e32 v9, v8, v9
	ds_read_b32 v10, v9
	s_waitcnt lgkmcnt(0)
	v_mov_b32_e32 v11, v10
	v_mov_b32_e32 v12, v10
	;; [unrolled: 1-line block ×3, first 2 shown]
	global_store_dwordx4 v[6:7], v[10:13], off
	global_store_dword v[6:7], v10, off offset:16
.LBB254_33:
	s_or_b64 exec, exec, s[0:1]
	v_or_b32_e32 v9, 0x100, v0
	v_cmp_gt_u32_e32 vcc, s25, v9
	s_and_saveexec_b64 s[0:1], vcc
	s_cbranch_execz .LBB254_35
; %bb.34:
	v_add_co_u32_e32 v14, vcc, 0x1000, v6
	s_waitcnt lgkmcnt(0)
	v_mov_b32_e32 v10, v2
	v_mov_b32_e32 v11, v2
	;; [unrolled: 1-line block ×4, first 2 shown]
	v_addc_co_u32_e32 v15, vcc, 0, v7, vcc
	global_store_dwordx4 v[14:15], v[10:13], off offset:1024
	global_store_dword v[14:15], v2, off offset:1040
.LBB254_35:
	s_or_b64 exec, exec, s[0:1]
	s_waitcnt lgkmcnt(0)
	v_or_b32_e32 v2, 0x200, v0
	v_cmp_gt_u32_e64 s[0:1], s25, v2
	s_branch .LBB254_38
.LBB254_36:
	s_mov_b64 s[0:1], 0
                                        ; implicit-def: $vgpr3
                                        ; implicit-def: $vgpr6_vgpr7
	s_cbranch_execz .LBB254_38
; %bb.37:
	ds_write2_b32 v8, v5, v5 offset1:1
	ds_write2_b32 v8, v5, v5 offset0:2 offset1:3
	ds_write_b32 v8, v5 offset:16
	ds_write2_b32 v8, v4, v4 offset0:5 offset1:6
	ds_write2_b32 v8, v4, v4 offset0:7 offset1:8
	;; [unrolled: 1-line block ×5, first 2 shown]
	v_mul_i32_i24_e32 v1, 0xffffffd8, v0
	v_mad_u32_u24 v1, v0, 60, v1
	s_waitcnt lgkmcnt(0)
	s_barrier
	ds_read2st64_b32 v[8:9], v1 offset1:20
	s_add_u32 s2, s5, s22
	ds_read_b32 v3, v1 offset:10240
	s_addc_u32 s3, s4, s11
	v_mad_u64_u32 v[6:7], s[2:3], v0, 20, s[2:3]
	s_waitcnt lgkmcnt(1)
	v_mov_b32_e32 v10, v8
	v_mov_b32_e32 v11, v8
	;; [unrolled: 1-line block ×4, first 2 shown]
	v_add_co_u32_e32 v0, vcc, 0x1000, v6
	global_store_dwordx4 v[6:7], v[10:13], off
	global_store_dword v[6:7], v8, off offset:16
	v_mov_b32_e32 v8, v9
	v_mov_b32_e32 v10, v9
	;; [unrolled: 1-line block ×3, first 2 shown]
	v_addc_co_u32_e32 v1, vcc, 0, v7, vcc
	s_or_b64 s[0:1], s[0:1], exec
	global_store_dwordx4 v[0:1], v[8:11], off offset:1024
	global_store_dword v[0:1], v9, off offset:1040
.LBB254_38:
	s_and_saveexec_b64 s[2:3], s[0:1]
	s_cbranch_execnz .LBB254_40
; %bb.39:
	s_endpgm
.LBB254_40:
	v_add_co_u32_e32 v0, vcc, 0x2000, v6
	s_waitcnt lgkmcnt(0)
	v_mov_b32_e32 v2, v3
	v_mov_b32_e32 v4, v3
	;; [unrolled: 1-line block ×3, first 2 shown]
	v_addc_co_u32_e32 v1, vcc, 0, v7, vcc
	global_store_dwordx4 v[0:1], v[2:5], off offset:2048
	global_store_dword v[0:1], v3, off offset:2064
	s_endpgm
	.section	.rodata,"a",@progbits
	.p2align	6, 0x0
	.amdhsa_kernel _ZN7rocprim17ROCPRIM_400000_NS6detail17trampoline_kernelINS0_14default_configENS1_35adjacent_difference_config_selectorILb1E14custom_numericEEZNS1_24adjacent_difference_implIS3_Lb1ELb0EPS5_S8_N6thrust23THRUST_200600_302600_NS4plusIS5_EEEE10hipError_tPvRmT2_T3_mT4_P12ihipStream_tbEUlT_E_NS1_11comp_targetILNS1_3genE5ELNS1_11target_archE942ELNS1_3gpuE9ELNS1_3repE0EEENS1_30default_config_static_selectorELNS0_4arch9wavefront6targetE1EEEvT1_
		.amdhsa_group_segment_fixed_size 15360
		.amdhsa_private_segment_fixed_size 0
		.amdhsa_kernarg_size 56
		.amdhsa_user_sgpr_count 2
		.amdhsa_user_sgpr_dispatch_ptr 0
		.amdhsa_user_sgpr_queue_ptr 0
		.amdhsa_user_sgpr_kernarg_segment_ptr 1
		.amdhsa_user_sgpr_dispatch_id 0
		.amdhsa_user_sgpr_kernarg_preload_length 0
		.amdhsa_user_sgpr_kernarg_preload_offset 0
		.amdhsa_user_sgpr_private_segment_size 0
		.amdhsa_uses_dynamic_stack 0
		.amdhsa_enable_private_segment 0
		.amdhsa_system_sgpr_workgroup_id_x 1
		.amdhsa_system_sgpr_workgroup_id_y 0
		.amdhsa_system_sgpr_workgroup_id_z 0
		.amdhsa_system_sgpr_workgroup_info 0
		.amdhsa_system_vgpr_workitem_id 0
		.amdhsa_next_free_vgpr 16
		.amdhsa_next_free_sgpr 30
		.amdhsa_accum_offset 16
		.amdhsa_reserve_vcc 1
		.amdhsa_float_round_mode_32 0
		.amdhsa_float_round_mode_16_64 0
		.amdhsa_float_denorm_mode_32 3
		.amdhsa_float_denorm_mode_16_64 3
		.amdhsa_dx10_clamp 1
		.amdhsa_ieee_mode 1
		.amdhsa_fp16_overflow 0
		.amdhsa_tg_split 0
		.amdhsa_exception_fp_ieee_invalid_op 0
		.amdhsa_exception_fp_denorm_src 0
		.amdhsa_exception_fp_ieee_div_zero 0
		.amdhsa_exception_fp_ieee_overflow 0
		.amdhsa_exception_fp_ieee_underflow 0
		.amdhsa_exception_fp_ieee_inexact 0
		.amdhsa_exception_int_div_zero 0
	.end_amdhsa_kernel
	.section	.text._ZN7rocprim17ROCPRIM_400000_NS6detail17trampoline_kernelINS0_14default_configENS1_35adjacent_difference_config_selectorILb1E14custom_numericEEZNS1_24adjacent_difference_implIS3_Lb1ELb0EPS5_S8_N6thrust23THRUST_200600_302600_NS4plusIS5_EEEE10hipError_tPvRmT2_T3_mT4_P12ihipStream_tbEUlT_E_NS1_11comp_targetILNS1_3genE5ELNS1_11target_archE942ELNS1_3gpuE9ELNS1_3repE0EEENS1_30default_config_static_selectorELNS0_4arch9wavefront6targetE1EEEvT1_,"axG",@progbits,_ZN7rocprim17ROCPRIM_400000_NS6detail17trampoline_kernelINS0_14default_configENS1_35adjacent_difference_config_selectorILb1E14custom_numericEEZNS1_24adjacent_difference_implIS3_Lb1ELb0EPS5_S8_N6thrust23THRUST_200600_302600_NS4plusIS5_EEEE10hipError_tPvRmT2_T3_mT4_P12ihipStream_tbEUlT_E_NS1_11comp_targetILNS1_3genE5ELNS1_11target_archE942ELNS1_3gpuE9ELNS1_3repE0EEENS1_30default_config_static_selectorELNS0_4arch9wavefront6targetE1EEEvT1_,comdat
.Lfunc_end254:
	.size	_ZN7rocprim17ROCPRIM_400000_NS6detail17trampoline_kernelINS0_14default_configENS1_35adjacent_difference_config_selectorILb1E14custom_numericEEZNS1_24adjacent_difference_implIS3_Lb1ELb0EPS5_S8_N6thrust23THRUST_200600_302600_NS4plusIS5_EEEE10hipError_tPvRmT2_T3_mT4_P12ihipStream_tbEUlT_E_NS1_11comp_targetILNS1_3genE5ELNS1_11target_archE942ELNS1_3gpuE9ELNS1_3repE0EEENS1_30default_config_static_selectorELNS0_4arch9wavefront6targetE1EEEvT1_, .Lfunc_end254-_ZN7rocprim17ROCPRIM_400000_NS6detail17trampoline_kernelINS0_14default_configENS1_35adjacent_difference_config_selectorILb1E14custom_numericEEZNS1_24adjacent_difference_implIS3_Lb1ELb0EPS5_S8_N6thrust23THRUST_200600_302600_NS4plusIS5_EEEE10hipError_tPvRmT2_T3_mT4_P12ihipStream_tbEUlT_E_NS1_11comp_targetILNS1_3genE5ELNS1_11target_archE942ELNS1_3gpuE9ELNS1_3repE0EEENS1_30default_config_static_selectorELNS0_4arch9wavefront6targetE1EEEvT1_
                                        ; -- End function
	.section	.AMDGPU.csdata,"",@progbits
; Kernel info:
; codeLenInByte = 2116
; NumSgprs: 36
; NumVgprs: 16
; NumAgprs: 0
; TotalNumVgprs: 16
; ScratchSize: 0
; MemoryBound: 0
; FloatMode: 240
; IeeeMode: 1
; LDSByteSize: 15360 bytes/workgroup (compile time only)
; SGPRBlocks: 4
; VGPRBlocks: 1
; NumSGPRsForWavesPerEU: 36
; NumVGPRsForWavesPerEU: 16
; AccumOffset: 16
; Occupancy: 4
; WaveLimiterHint : 1
; COMPUTE_PGM_RSRC2:SCRATCH_EN: 0
; COMPUTE_PGM_RSRC2:USER_SGPR: 2
; COMPUTE_PGM_RSRC2:TRAP_HANDLER: 0
; COMPUTE_PGM_RSRC2:TGID_X_EN: 1
; COMPUTE_PGM_RSRC2:TGID_Y_EN: 0
; COMPUTE_PGM_RSRC2:TGID_Z_EN: 0
; COMPUTE_PGM_RSRC2:TIDIG_COMP_CNT: 0
; COMPUTE_PGM_RSRC3_GFX90A:ACCUM_OFFSET: 3
; COMPUTE_PGM_RSRC3_GFX90A:TG_SPLIT: 0
	.section	.text._ZN7rocprim17ROCPRIM_400000_NS6detail17trampoline_kernelINS0_14default_configENS1_35adjacent_difference_config_selectorILb1E14custom_numericEEZNS1_24adjacent_difference_implIS3_Lb1ELb0EPS5_S8_N6thrust23THRUST_200600_302600_NS4plusIS5_EEEE10hipError_tPvRmT2_T3_mT4_P12ihipStream_tbEUlT_E_NS1_11comp_targetILNS1_3genE4ELNS1_11target_archE910ELNS1_3gpuE8ELNS1_3repE0EEENS1_30default_config_static_selectorELNS0_4arch9wavefront6targetE1EEEvT1_,"axG",@progbits,_ZN7rocprim17ROCPRIM_400000_NS6detail17trampoline_kernelINS0_14default_configENS1_35adjacent_difference_config_selectorILb1E14custom_numericEEZNS1_24adjacent_difference_implIS3_Lb1ELb0EPS5_S8_N6thrust23THRUST_200600_302600_NS4plusIS5_EEEE10hipError_tPvRmT2_T3_mT4_P12ihipStream_tbEUlT_E_NS1_11comp_targetILNS1_3genE4ELNS1_11target_archE910ELNS1_3gpuE8ELNS1_3repE0EEENS1_30default_config_static_selectorELNS0_4arch9wavefront6targetE1EEEvT1_,comdat
	.protected	_ZN7rocprim17ROCPRIM_400000_NS6detail17trampoline_kernelINS0_14default_configENS1_35adjacent_difference_config_selectorILb1E14custom_numericEEZNS1_24adjacent_difference_implIS3_Lb1ELb0EPS5_S8_N6thrust23THRUST_200600_302600_NS4plusIS5_EEEE10hipError_tPvRmT2_T3_mT4_P12ihipStream_tbEUlT_E_NS1_11comp_targetILNS1_3genE4ELNS1_11target_archE910ELNS1_3gpuE8ELNS1_3repE0EEENS1_30default_config_static_selectorELNS0_4arch9wavefront6targetE1EEEvT1_ ; -- Begin function _ZN7rocprim17ROCPRIM_400000_NS6detail17trampoline_kernelINS0_14default_configENS1_35adjacent_difference_config_selectorILb1E14custom_numericEEZNS1_24adjacent_difference_implIS3_Lb1ELb0EPS5_S8_N6thrust23THRUST_200600_302600_NS4plusIS5_EEEE10hipError_tPvRmT2_T3_mT4_P12ihipStream_tbEUlT_E_NS1_11comp_targetILNS1_3genE4ELNS1_11target_archE910ELNS1_3gpuE8ELNS1_3repE0EEENS1_30default_config_static_selectorELNS0_4arch9wavefront6targetE1EEEvT1_
	.globl	_ZN7rocprim17ROCPRIM_400000_NS6detail17trampoline_kernelINS0_14default_configENS1_35adjacent_difference_config_selectorILb1E14custom_numericEEZNS1_24adjacent_difference_implIS3_Lb1ELb0EPS5_S8_N6thrust23THRUST_200600_302600_NS4plusIS5_EEEE10hipError_tPvRmT2_T3_mT4_P12ihipStream_tbEUlT_E_NS1_11comp_targetILNS1_3genE4ELNS1_11target_archE910ELNS1_3gpuE8ELNS1_3repE0EEENS1_30default_config_static_selectorELNS0_4arch9wavefront6targetE1EEEvT1_
	.p2align	8
	.type	_ZN7rocprim17ROCPRIM_400000_NS6detail17trampoline_kernelINS0_14default_configENS1_35adjacent_difference_config_selectorILb1E14custom_numericEEZNS1_24adjacent_difference_implIS3_Lb1ELb0EPS5_S8_N6thrust23THRUST_200600_302600_NS4plusIS5_EEEE10hipError_tPvRmT2_T3_mT4_P12ihipStream_tbEUlT_E_NS1_11comp_targetILNS1_3genE4ELNS1_11target_archE910ELNS1_3gpuE8ELNS1_3repE0EEENS1_30default_config_static_selectorELNS0_4arch9wavefront6targetE1EEEvT1_,@function
_ZN7rocprim17ROCPRIM_400000_NS6detail17trampoline_kernelINS0_14default_configENS1_35adjacent_difference_config_selectorILb1E14custom_numericEEZNS1_24adjacent_difference_implIS3_Lb1ELb0EPS5_S8_N6thrust23THRUST_200600_302600_NS4plusIS5_EEEE10hipError_tPvRmT2_T3_mT4_P12ihipStream_tbEUlT_E_NS1_11comp_targetILNS1_3genE4ELNS1_11target_archE910ELNS1_3gpuE8ELNS1_3repE0EEENS1_30default_config_static_selectorELNS0_4arch9wavefront6targetE1EEEvT1_: ; @_ZN7rocprim17ROCPRIM_400000_NS6detail17trampoline_kernelINS0_14default_configENS1_35adjacent_difference_config_selectorILb1E14custom_numericEEZNS1_24adjacent_difference_implIS3_Lb1ELb0EPS5_S8_N6thrust23THRUST_200600_302600_NS4plusIS5_EEEE10hipError_tPvRmT2_T3_mT4_P12ihipStream_tbEUlT_E_NS1_11comp_targetILNS1_3genE4ELNS1_11target_archE910ELNS1_3gpuE8ELNS1_3repE0EEENS1_30default_config_static_selectorELNS0_4arch9wavefront6targetE1EEEvT1_
; %bb.0:
	.section	.rodata,"a",@progbits
	.p2align	6, 0x0
	.amdhsa_kernel _ZN7rocprim17ROCPRIM_400000_NS6detail17trampoline_kernelINS0_14default_configENS1_35adjacent_difference_config_selectorILb1E14custom_numericEEZNS1_24adjacent_difference_implIS3_Lb1ELb0EPS5_S8_N6thrust23THRUST_200600_302600_NS4plusIS5_EEEE10hipError_tPvRmT2_T3_mT4_P12ihipStream_tbEUlT_E_NS1_11comp_targetILNS1_3genE4ELNS1_11target_archE910ELNS1_3gpuE8ELNS1_3repE0EEENS1_30default_config_static_selectorELNS0_4arch9wavefront6targetE1EEEvT1_
		.amdhsa_group_segment_fixed_size 0
		.amdhsa_private_segment_fixed_size 0
		.amdhsa_kernarg_size 56
		.amdhsa_user_sgpr_count 2
		.amdhsa_user_sgpr_dispatch_ptr 0
		.amdhsa_user_sgpr_queue_ptr 0
		.amdhsa_user_sgpr_kernarg_segment_ptr 1
		.amdhsa_user_sgpr_dispatch_id 0
		.amdhsa_user_sgpr_kernarg_preload_length 0
		.amdhsa_user_sgpr_kernarg_preload_offset 0
		.amdhsa_user_sgpr_private_segment_size 0
		.amdhsa_uses_dynamic_stack 0
		.amdhsa_enable_private_segment 0
		.amdhsa_system_sgpr_workgroup_id_x 1
		.amdhsa_system_sgpr_workgroup_id_y 0
		.amdhsa_system_sgpr_workgroup_id_z 0
		.amdhsa_system_sgpr_workgroup_info 0
		.amdhsa_system_vgpr_workitem_id 0
		.amdhsa_next_free_vgpr 1
		.amdhsa_next_free_sgpr 0
		.amdhsa_accum_offset 4
		.amdhsa_reserve_vcc 0
		.amdhsa_float_round_mode_32 0
		.amdhsa_float_round_mode_16_64 0
		.amdhsa_float_denorm_mode_32 3
		.amdhsa_float_denorm_mode_16_64 3
		.amdhsa_dx10_clamp 1
		.amdhsa_ieee_mode 1
		.amdhsa_fp16_overflow 0
		.amdhsa_tg_split 0
		.amdhsa_exception_fp_ieee_invalid_op 0
		.amdhsa_exception_fp_denorm_src 0
		.amdhsa_exception_fp_ieee_div_zero 0
		.amdhsa_exception_fp_ieee_overflow 0
		.amdhsa_exception_fp_ieee_underflow 0
		.amdhsa_exception_fp_ieee_inexact 0
		.amdhsa_exception_int_div_zero 0
	.end_amdhsa_kernel
	.section	.text._ZN7rocprim17ROCPRIM_400000_NS6detail17trampoline_kernelINS0_14default_configENS1_35adjacent_difference_config_selectorILb1E14custom_numericEEZNS1_24adjacent_difference_implIS3_Lb1ELb0EPS5_S8_N6thrust23THRUST_200600_302600_NS4plusIS5_EEEE10hipError_tPvRmT2_T3_mT4_P12ihipStream_tbEUlT_E_NS1_11comp_targetILNS1_3genE4ELNS1_11target_archE910ELNS1_3gpuE8ELNS1_3repE0EEENS1_30default_config_static_selectorELNS0_4arch9wavefront6targetE1EEEvT1_,"axG",@progbits,_ZN7rocprim17ROCPRIM_400000_NS6detail17trampoline_kernelINS0_14default_configENS1_35adjacent_difference_config_selectorILb1E14custom_numericEEZNS1_24adjacent_difference_implIS3_Lb1ELb0EPS5_S8_N6thrust23THRUST_200600_302600_NS4plusIS5_EEEE10hipError_tPvRmT2_T3_mT4_P12ihipStream_tbEUlT_E_NS1_11comp_targetILNS1_3genE4ELNS1_11target_archE910ELNS1_3gpuE8ELNS1_3repE0EEENS1_30default_config_static_selectorELNS0_4arch9wavefront6targetE1EEEvT1_,comdat
.Lfunc_end255:
	.size	_ZN7rocprim17ROCPRIM_400000_NS6detail17trampoline_kernelINS0_14default_configENS1_35adjacent_difference_config_selectorILb1E14custom_numericEEZNS1_24adjacent_difference_implIS3_Lb1ELb0EPS5_S8_N6thrust23THRUST_200600_302600_NS4plusIS5_EEEE10hipError_tPvRmT2_T3_mT4_P12ihipStream_tbEUlT_E_NS1_11comp_targetILNS1_3genE4ELNS1_11target_archE910ELNS1_3gpuE8ELNS1_3repE0EEENS1_30default_config_static_selectorELNS0_4arch9wavefront6targetE1EEEvT1_, .Lfunc_end255-_ZN7rocprim17ROCPRIM_400000_NS6detail17trampoline_kernelINS0_14default_configENS1_35adjacent_difference_config_selectorILb1E14custom_numericEEZNS1_24adjacent_difference_implIS3_Lb1ELb0EPS5_S8_N6thrust23THRUST_200600_302600_NS4plusIS5_EEEE10hipError_tPvRmT2_T3_mT4_P12ihipStream_tbEUlT_E_NS1_11comp_targetILNS1_3genE4ELNS1_11target_archE910ELNS1_3gpuE8ELNS1_3repE0EEENS1_30default_config_static_selectorELNS0_4arch9wavefront6targetE1EEEvT1_
                                        ; -- End function
	.section	.AMDGPU.csdata,"",@progbits
; Kernel info:
; codeLenInByte = 0
; NumSgprs: 6
; NumVgprs: 0
; NumAgprs: 0
; TotalNumVgprs: 0
; ScratchSize: 0
; MemoryBound: 0
; FloatMode: 240
; IeeeMode: 1
; LDSByteSize: 0 bytes/workgroup (compile time only)
; SGPRBlocks: 0
; VGPRBlocks: 0
; NumSGPRsForWavesPerEU: 6
; NumVGPRsForWavesPerEU: 1
; AccumOffset: 4
; Occupancy: 8
; WaveLimiterHint : 0
; COMPUTE_PGM_RSRC2:SCRATCH_EN: 0
; COMPUTE_PGM_RSRC2:USER_SGPR: 2
; COMPUTE_PGM_RSRC2:TRAP_HANDLER: 0
; COMPUTE_PGM_RSRC2:TGID_X_EN: 1
; COMPUTE_PGM_RSRC2:TGID_Y_EN: 0
; COMPUTE_PGM_RSRC2:TGID_Z_EN: 0
; COMPUTE_PGM_RSRC2:TIDIG_COMP_CNT: 0
; COMPUTE_PGM_RSRC3_GFX90A:ACCUM_OFFSET: 0
; COMPUTE_PGM_RSRC3_GFX90A:TG_SPLIT: 0
	.section	.text._ZN7rocprim17ROCPRIM_400000_NS6detail17trampoline_kernelINS0_14default_configENS1_35adjacent_difference_config_selectorILb1E14custom_numericEEZNS1_24adjacent_difference_implIS3_Lb1ELb0EPS5_S8_N6thrust23THRUST_200600_302600_NS4plusIS5_EEEE10hipError_tPvRmT2_T3_mT4_P12ihipStream_tbEUlT_E_NS1_11comp_targetILNS1_3genE3ELNS1_11target_archE908ELNS1_3gpuE7ELNS1_3repE0EEENS1_30default_config_static_selectorELNS0_4arch9wavefront6targetE1EEEvT1_,"axG",@progbits,_ZN7rocprim17ROCPRIM_400000_NS6detail17trampoline_kernelINS0_14default_configENS1_35adjacent_difference_config_selectorILb1E14custom_numericEEZNS1_24adjacent_difference_implIS3_Lb1ELb0EPS5_S8_N6thrust23THRUST_200600_302600_NS4plusIS5_EEEE10hipError_tPvRmT2_T3_mT4_P12ihipStream_tbEUlT_E_NS1_11comp_targetILNS1_3genE3ELNS1_11target_archE908ELNS1_3gpuE7ELNS1_3repE0EEENS1_30default_config_static_selectorELNS0_4arch9wavefront6targetE1EEEvT1_,comdat
	.protected	_ZN7rocprim17ROCPRIM_400000_NS6detail17trampoline_kernelINS0_14default_configENS1_35adjacent_difference_config_selectorILb1E14custom_numericEEZNS1_24adjacent_difference_implIS3_Lb1ELb0EPS5_S8_N6thrust23THRUST_200600_302600_NS4plusIS5_EEEE10hipError_tPvRmT2_T3_mT4_P12ihipStream_tbEUlT_E_NS1_11comp_targetILNS1_3genE3ELNS1_11target_archE908ELNS1_3gpuE7ELNS1_3repE0EEENS1_30default_config_static_selectorELNS0_4arch9wavefront6targetE1EEEvT1_ ; -- Begin function _ZN7rocprim17ROCPRIM_400000_NS6detail17trampoline_kernelINS0_14default_configENS1_35adjacent_difference_config_selectorILb1E14custom_numericEEZNS1_24adjacent_difference_implIS3_Lb1ELb0EPS5_S8_N6thrust23THRUST_200600_302600_NS4plusIS5_EEEE10hipError_tPvRmT2_T3_mT4_P12ihipStream_tbEUlT_E_NS1_11comp_targetILNS1_3genE3ELNS1_11target_archE908ELNS1_3gpuE7ELNS1_3repE0EEENS1_30default_config_static_selectorELNS0_4arch9wavefront6targetE1EEEvT1_
	.globl	_ZN7rocprim17ROCPRIM_400000_NS6detail17trampoline_kernelINS0_14default_configENS1_35adjacent_difference_config_selectorILb1E14custom_numericEEZNS1_24adjacent_difference_implIS3_Lb1ELb0EPS5_S8_N6thrust23THRUST_200600_302600_NS4plusIS5_EEEE10hipError_tPvRmT2_T3_mT4_P12ihipStream_tbEUlT_E_NS1_11comp_targetILNS1_3genE3ELNS1_11target_archE908ELNS1_3gpuE7ELNS1_3repE0EEENS1_30default_config_static_selectorELNS0_4arch9wavefront6targetE1EEEvT1_
	.p2align	8
	.type	_ZN7rocprim17ROCPRIM_400000_NS6detail17trampoline_kernelINS0_14default_configENS1_35adjacent_difference_config_selectorILb1E14custom_numericEEZNS1_24adjacent_difference_implIS3_Lb1ELb0EPS5_S8_N6thrust23THRUST_200600_302600_NS4plusIS5_EEEE10hipError_tPvRmT2_T3_mT4_P12ihipStream_tbEUlT_E_NS1_11comp_targetILNS1_3genE3ELNS1_11target_archE908ELNS1_3gpuE7ELNS1_3repE0EEENS1_30default_config_static_selectorELNS0_4arch9wavefront6targetE1EEEvT1_,@function
_ZN7rocprim17ROCPRIM_400000_NS6detail17trampoline_kernelINS0_14default_configENS1_35adjacent_difference_config_selectorILb1E14custom_numericEEZNS1_24adjacent_difference_implIS3_Lb1ELb0EPS5_S8_N6thrust23THRUST_200600_302600_NS4plusIS5_EEEE10hipError_tPvRmT2_T3_mT4_P12ihipStream_tbEUlT_E_NS1_11comp_targetILNS1_3genE3ELNS1_11target_archE908ELNS1_3gpuE7ELNS1_3repE0EEENS1_30default_config_static_selectorELNS0_4arch9wavefront6targetE1EEEvT1_: ; @_ZN7rocprim17ROCPRIM_400000_NS6detail17trampoline_kernelINS0_14default_configENS1_35adjacent_difference_config_selectorILb1E14custom_numericEEZNS1_24adjacent_difference_implIS3_Lb1ELb0EPS5_S8_N6thrust23THRUST_200600_302600_NS4plusIS5_EEEE10hipError_tPvRmT2_T3_mT4_P12ihipStream_tbEUlT_E_NS1_11comp_targetILNS1_3genE3ELNS1_11target_archE908ELNS1_3gpuE7ELNS1_3repE0EEENS1_30default_config_static_selectorELNS0_4arch9wavefront6targetE1EEEvT1_
; %bb.0:
	.section	.rodata,"a",@progbits
	.p2align	6, 0x0
	.amdhsa_kernel _ZN7rocprim17ROCPRIM_400000_NS6detail17trampoline_kernelINS0_14default_configENS1_35adjacent_difference_config_selectorILb1E14custom_numericEEZNS1_24adjacent_difference_implIS3_Lb1ELb0EPS5_S8_N6thrust23THRUST_200600_302600_NS4plusIS5_EEEE10hipError_tPvRmT2_T3_mT4_P12ihipStream_tbEUlT_E_NS1_11comp_targetILNS1_3genE3ELNS1_11target_archE908ELNS1_3gpuE7ELNS1_3repE0EEENS1_30default_config_static_selectorELNS0_4arch9wavefront6targetE1EEEvT1_
		.amdhsa_group_segment_fixed_size 0
		.amdhsa_private_segment_fixed_size 0
		.amdhsa_kernarg_size 56
		.amdhsa_user_sgpr_count 2
		.amdhsa_user_sgpr_dispatch_ptr 0
		.amdhsa_user_sgpr_queue_ptr 0
		.amdhsa_user_sgpr_kernarg_segment_ptr 1
		.amdhsa_user_sgpr_dispatch_id 0
		.amdhsa_user_sgpr_kernarg_preload_length 0
		.amdhsa_user_sgpr_kernarg_preload_offset 0
		.amdhsa_user_sgpr_private_segment_size 0
		.amdhsa_uses_dynamic_stack 0
		.amdhsa_enable_private_segment 0
		.amdhsa_system_sgpr_workgroup_id_x 1
		.amdhsa_system_sgpr_workgroup_id_y 0
		.amdhsa_system_sgpr_workgroup_id_z 0
		.amdhsa_system_sgpr_workgroup_info 0
		.amdhsa_system_vgpr_workitem_id 0
		.amdhsa_next_free_vgpr 1
		.amdhsa_next_free_sgpr 0
		.amdhsa_accum_offset 4
		.amdhsa_reserve_vcc 0
		.amdhsa_float_round_mode_32 0
		.amdhsa_float_round_mode_16_64 0
		.amdhsa_float_denorm_mode_32 3
		.amdhsa_float_denorm_mode_16_64 3
		.amdhsa_dx10_clamp 1
		.amdhsa_ieee_mode 1
		.amdhsa_fp16_overflow 0
		.amdhsa_tg_split 0
		.amdhsa_exception_fp_ieee_invalid_op 0
		.amdhsa_exception_fp_denorm_src 0
		.amdhsa_exception_fp_ieee_div_zero 0
		.amdhsa_exception_fp_ieee_overflow 0
		.amdhsa_exception_fp_ieee_underflow 0
		.amdhsa_exception_fp_ieee_inexact 0
		.amdhsa_exception_int_div_zero 0
	.end_amdhsa_kernel
	.section	.text._ZN7rocprim17ROCPRIM_400000_NS6detail17trampoline_kernelINS0_14default_configENS1_35adjacent_difference_config_selectorILb1E14custom_numericEEZNS1_24adjacent_difference_implIS3_Lb1ELb0EPS5_S8_N6thrust23THRUST_200600_302600_NS4plusIS5_EEEE10hipError_tPvRmT2_T3_mT4_P12ihipStream_tbEUlT_E_NS1_11comp_targetILNS1_3genE3ELNS1_11target_archE908ELNS1_3gpuE7ELNS1_3repE0EEENS1_30default_config_static_selectorELNS0_4arch9wavefront6targetE1EEEvT1_,"axG",@progbits,_ZN7rocprim17ROCPRIM_400000_NS6detail17trampoline_kernelINS0_14default_configENS1_35adjacent_difference_config_selectorILb1E14custom_numericEEZNS1_24adjacent_difference_implIS3_Lb1ELb0EPS5_S8_N6thrust23THRUST_200600_302600_NS4plusIS5_EEEE10hipError_tPvRmT2_T3_mT4_P12ihipStream_tbEUlT_E_NS1_11comp_targetILNS1_3genE3ELNS1_11target_archE908ELNS1_3gpuE7ELNS1_3repE0EEENS1_30default_config_static_selectorELNS0_4arch9wavefront6targetE1EEEvT1_,comdat
.Lfunc_end256:
	.size	_ZN7rocprim17ROCPRIM_400000_NS6detail17trampoline_kernelINS0_14default_configENS1_35adjacent_difference_config_selectorILb1E14custom_numericEEZNS1_24adjacent_difference_implIS3_Lb1ELb0EPS5_S8_N6thrust23THRUST_200600_302600_NS4plusIS5_EEEE10hipError_tPvRmT2_T3_mT4_P12ihipStream_tbEUlT_E_NS1_11comp_targetILNS1_3genE3ELNS1_11target_archE908ELNS1_3gpuE7ELNS1_3repE0EEENS1_30default_config_static_selectorELNS0_4arch9wavefront6targetE1EEEvT1_, .Lfunc_end256-_ZN7rocprim17ROCPRIM_400000_NS6detail17trampoline_kernelINS0_14default_configENS1_35adjacent_difference_config_selectorILb1E14custom_numericEEZNS1_24adjacent_difference_implIS3_Lb1ELb0EPS5_S8_N6thrust23THRUST_200600_302600_NS4plusIS5_EEEE10hipError_tPvRmT2_T3_mT4_P12ihipStream_tbEUlT_E_NS1_11comp_targetILNS1_3genE3ELNS1_11target_archE908ELNS1_3gpuE7ELNS1_3repE0EEENS1_30default_config_static_selectorELNS0_4arch9wavefront6targetE1EEEvT1_
                                        ; -- End function
	.section	.AMDGPU.csdata,"",@progbits
; Kernel info:
; codeLenInByte = 0
; NumSgprs: 6
; NumVgprs: 0
; NumAgprs: 0
; TotalNumVgprs: 0
; ScratchSize: 0
; MemoryBound: 0
; FloatMode: 240
; IeeeMode: 1
; LDSByteSize: 0 bytes/workgroup (compile time only)
; SGPRBlocks: 0
; VGPRBlocks: 0
; NumSGPRsForWavesPerEU: 6
; NumVGPRsForWavesPerEU: 1
; AccumOffset: 4
; Occupancy: 8
; WaveLimiterHint : 0
; COMPUTE_PGM_RSRC2:SCRATCH_EN: 0
; COMPUTE_PGM_RSRC2:USER_SGPR: 2
; COMPUTE_PGM_RSRC2:TRAP_HANDLER: 0
; COMPUTE_PGM_RSRC2:TGID_X_EN: 1
; COMPUTE_PGM_RSRC2:TGID_Y_EN: 0
; COMPUTE_PGM_RSRC2:TGID_Z_EN: 0
; COMPUTE_PGM_RSRC2:TIDIG_COMP_CNT: 0
; COMPUTE_PGM_RSRC3_GFX90A:ACCUM_OFFSET: 0
; COMPUTE_PGM_RSRC3_GFX90A:TG_SPLIT: 0
	.section	.text._ZN7rocprim17ROCPRIM_400000_NS6detail17trampoline_kernelINS0_14default_configENS1_35adjacent_difference_config_selectorILb1E14custom_numericEEZNS1_24adjacent_difference_implIS3_Lb1ELb0EPS5_S8_N6thrust23THRUST_200600_302600_NS4plusIS5_EEEE10hipError_tPvRmT2_T3_mT4_P12ihipStream_tbEUlT_E_NS1_11comp_targetILNS1_3genE2ELNS1_11target_archE906ELNS1_3gpuE6ELNS1_3repE0EEENS1_30default_config_static_selectorELNS0_4arch9wavefront6targetE1EEEvT1_,"axG",@progbits,_ZN7rocprim17ROCPRIM_400000_NS6detail17trampoline_kernelINS0_14default_configENS1_35adjacent_difference_config_selectorILb1E14custom_numericEEZNS1_24adjacent_difference_implIS3_Lb1ELb0EPS5_S8_N6thrust23THRUST_200600_302600_NS4plusIS5_EEEE10hipError_tPvRmT2_T3_mT4_P12ihipStream_tbEUlT_E_NS1_11comp_targetILNS1_3genE2ELNS1_11target_archE906ELNS1_3gpuE6ELNS1_3repE0EEENS1_30default_config_static_selectorELNS0_4arch9wavefront6targetE1EEEvT1_,comdat
	.protected	_ZN7rocprim17ROCPRIM_400000_NS6detail17trampoline_kernelINS0_14default_configENS1_35adjacent_difference_config_selectorILb1E14custom_numericEEZNS1_24adjacent_difference_implIS3_Lb1ELb0EPS5_S8_N6thrust23THRUST_200600_302600_NS4plusIS5_EEEE10hipError_tPvRmT2_T3_mT4_P12ihipStream_tbEUlT_E_NS1_11comp_targetILNS1_3genE2ELNS1_11target_archE906ELNS1_3gpuE6ELNS1_3repE0EEENS1_30default_config_static_selectorELNS0_4arch9wavefront6targetE1EEEvT1_ ; -- Begin function _ZN7rocprim17ROCPRIM_400000_NS6detail17trampoline_kernelINS0_14default_configENS1_35adjacent_difference_config_selectorILb1E14custom_numericEEZNS1_24adjacent_difference_implIS3_Lb1ELb0EPS5_S8_N6thrust23THRUST_200600_302600_NS4plusIS5_EEEE10hipError_tPvRmT2_T3_mT4_P12ihipStream_tbEUlT_E_NS1_11comp_targetILNS1_3genE2ELNS1_11target_archE906ELNS1_3gpuE6ELNS1_3repE0EEENS1_30default_config_static_selectorELNS0_4arch9wavefront6targetE1EEEvT1_
	.globl	_ZN7rocprim17ROCPRIM_400000_NS6detail17trampoline_kernelINS0_14default_configENS1_35adjacent_difference_config_selectorILb1E14custom_numericEEZNS1_24adjacent_difference_implIS3_Lb1ELb0EPS5_S8_N6thrust23THRUST_200600_302600_NS4plusIS5_EEEE10hipError_tPvRmT2_T3_mT4_P12ihipStream_tbEUlT_E_NS1_11comp_targetILNS1_3genE2ELNS1_11target_archE906ELNS1_3gpuE6ELNS1_3repE0EEENS1_30default_config_static_selectorELNS0_4arch9wavefront6targetE1EEEvT1_
	.p2align	8
	.type	_ZN7rocprim17ROCPRIM_400000_NS6detail17trampoline_kernelINS0_14default_configENS1_35adjacent_difference_config_selectorILb1E14custom_numericEEZNS1_24adjacent_difference_implIS3_Lb1ELb0EPS5_S8_N6thrust23THRUST_200600_302600_NS4plusIS5_EEEE10hipError_tPvRmT2_T3_mT4_P12ihipStream_tbEUlT_E_NS1_11comp_targetILNS1_3genE2ELNS1_11target_archE906ELNS1_3gpuE6ELNS1_3repE0EEENS1_30default_config_static_selectorELNS0_4arch9wavefront6targetE1EEEvT1_,@function
_ZN7rocprim17ROCPRIM_400000_NS6detail17trampoline_kernelINS0_14default_configENS1_35adjacent_difference_config_selectorILb1E14custom_numericEEZNS1_24adjacent_difference_implIS3_Lb1ELb0EPS5_S8_N6thrust23THRUST_200600_302600_NS4plusIS5_EEEE10hipError_tPvRmT2_T3_mT4_P12ihipStream_tbEUlT_E_NS1_11comp_targetILNS1_3genE2ELNS1_11target_archE906ELNS1_3gpuE6ELNS1_3repE0EEENS1_30default_config_static_selectorELNS0_4arch9wavefront6targetE1EEEvT1_: ; @_ZN7rocprim17ROCPRIM_400000_NS6detail17trampoline_kernelINS0_14default_configENS1_35adjacent_difference_config_selectorILb1E14custom_numericEEZNS1_24adjacent_difference_implIS3_Lb1ELb0EPS5_S8_N6thrust23THRUST_200600_302600_NS4plusIS5_EEEE10hipError_tPvRmT2_T3_mT4_P12ihipStream_tbEUlT_E_NS1_11comp_targetILNS1_3genE2ELNS1_11target_archE906ELNS1_3gpuE6ELNS1_3repE0EEENS1_30default_config_static_selectorELNS0_4arch9wavefront6targetE1EEEvT1_
; %bb.0:
	.section	.rodata,"a",@progbits
	.p2align	6, 0x0
	.amdhsa_kernel _ZN7rocprim17ROCPRIM_400000_NS6detail17trampoline_kernelINS0_14default_configENS1_35adjacent_difference_config_selectorILb1E14custom_numericEEZNS1_24adjacent_difference_implIS3_Lb1ELb0EPS5_S8_N6thrust23THRUST_200600_302600_NS4plusIS5_EEEE10hipError_tPvRmT2_T3_mT4_P12ihipStream_tbEUlT_E_NS1_11comp_targetILNS1_3genE2ELNS1_11target_archE906ELNS1_3gpuE6ELNS1_3repE0EEENS1_30default_config_static_selectorELNS0_4arch9wavefront6targetE1EEEvT1_
		.amdhsa_group_segment_fixed_size 0
		.amdhsa_private_segment_fixed_size 0
		.amdhsa_kernarg_size 56
		.amdhsa_user_sgpr_count 2
		.amdhsa_user_sgpr_dispatch_ptr 0
		.amdhsa_user_sgpr_queue_ptr 0
		.amdhsa_user_sgpr_kernarg_segment_ptr 1
		.amdhsa_user_sgpr_dispatch_id 0
		.amdhsa_user_sgpr_kernarg_preload_length 0
		.amdhsa_user_sgpr_kernarg_preload_offset 0
		.amdhsa_user_sgpr_private_segment_size 0
		.amdhsa_uses_dynamic_stack 0
		.amdhsa_enable_private_segment 0
		.amdhsa_system_sgpr_workgroup_id_x 1
		.amdhsa_system_sgpr_workgroup_id_y 0
		.amdhsa_system_sgpr_workgroup_id_z 0
		.amdhsa_system_sgpr_workgroup_info 0
		.amdhsa_system_vgpr_workitem_id 0
		.amdhsa_next_free_vgpr 1
		.amdhsa_next_free_sgpr 0
		.amdhsa_accum_offset 4
		.amdhsa_reserve_vcc 0
		.amdhsa_float_round_mode_32 0
		.amdhsa_float_round_mode_16_64 0
		.amdhsa_float_denorm_mode_32 3
		.amdhsa_float_denorm_mode_16_64 3
		.amdhsa_dx10_clamp 1
		.amdhsa_ieee_mode 1
		.amdhsa_fp16_overflow 0
		.amdhsa_tg_split 0
		.amdhsa_exception_fp_ieee_invalid_op 0
		.amdhsa_exception_fp_denorm_src 0
		.amdhsa_exception_fp_ieee_div_zero 0
		.amdhsa_exception_fp_ieee_overflow 0
		.amdhsa_exception_fp_ieee_underflow 0
		.amdhsa_exception_fp_ieee_inexact 0
		.amdhsa_exception_int_div_zero 0
	.end_amdhsa_kernel
	.section	.text._ZN7rocprim17ROCPRIM_400000_NS6detail17trampoline_kernelINS0_14default_configENS1_35adjacent_difference_config_selectorILb1E14custom_numericEEZNS1_24adjacent_difference_implIS3_Lb1ELb0EPS5_S8_N6thrust23THRUST_200600_302600_NS4plusIS5_EEEE10hipError_tPvRmT2_T3_mT4_P12ihipStream_tbEUlT_E_NS1_11comp_targetILNS1_3genE2ELNS1_11target_archE906ELNS1_3gpuE6ELNS1_3repE0EEENS1_30default_config_static_selectorELNS0_4arch9wavefront6targetE1EEEvT1_,"axG",@progbits,_ZN7rocprim17ROCPRIM_400000_NS6detail17trampoline_kernelINS0_14default_configENS1_35adjacent_difference_config_selectorILb1E14custom_numericEEZNS1_24adjacent_difference_implIS3_Lb1ELb0EPS5_S8_N6thrust23THRUST_200600_302600_NS4plusIS5_EEEE10hipError_tPvRmT2_T3_mT4_P12ihipStream_tbEUlT_E_NS1_11comp_targetILNS1_3genE2ELNS1_11target_archE906ELNS1_3gpuE6ELNS1_3repE0EEENS1_30default_config_static_selectorELNS0_4arch9wavefront6targetE1EEEvT1_,comdat
.Lfunc_end257:
	.size	_ZN7rocprim17ROCPRIM_400000_NS6detail17trampoline_kernelINS0_14default_configENS1_35adjacent_difference_config_selectorILb1E14custom_numericEEZNS1_24adjacent_difference_implIS3_Lb1ELb0EPS5_S8_N6thrust23THRUST_200600_302600_NS4plusIS5_EEEE10hipError_tPvRmT2_T3_mT4_P12ihipStream_tbEUlT_E_NS1_11comp_targetILNS1_3genE2ELNS1_11target_archE906ELNS1_3gpuE6ELNS1_3repE0EEENS1_30default_config_static_selectorELNS0_4arch9wavefront6targetE1EEEvT1_, .Lfunc_end257-_ZN7rocprim17ROCPRIM_400000_NS6detail17trampoline_kernelINS0_14default_configENS1_35adjacent_difference_config_selectorILb1E14custom_numericEEZNS1_24adjacent_difference_implIS3_Lb1ELb0EPS5_S8_N6thrust23THRUST_200600_302600_NS4plusIS5_EEEE10hipError_tPvRmT2_T3_mT4_P12ihipStream_tbEUlT_E_NS1_11comp_targetILNS1_3genE2ELNS1_11target_archE906ELNS1_3gpuE6ELNS1_3repE0EEENS1_30default_config_static_selectorELNS0_4arch9wavefront6targetE1EEEvT1_
                                        ; -- End function
	.section	.AMDGPU.csdata,"",@progbits
; Kernel info:
; codeLenInByte = 0
; NumSgprs: 6
; NumVgprs: 0
; NumAgprs: 0
; TotalNumVgprs: 0
; ScratchSize: 0
; MemoryBound: 0
; FloatMode: 240
; IeeeMode: 1
; LDSByteSize: 0 bytes/workgroup (compile time only)
; SGPRBlocks: 0
; VGPRBlocks: 0
; NumSGPRsForWavesPerEU: 6
; NumVGPRsForWavesPerEU: 1
; AccumOffset: 4
; Occupancy: 8
; WaveLimiterHint : 0
; COMPUTE_PGM_RSRC2:SCRATCH_EN: 0
; COMPUTE_PGM_RSRC2:USER_SGPR: 2
; COMPUTE_PGM_RSRC2:TRAP_HANDLER: 0
; COMPUTE_PGM_RSRC2:TGID_X_EN: 1
; COMPUTE_PGM_RSRC2:TGID_Y_EN: 0
; COMPUTE_PGM_RSRC2:TGID_Z_EN: 0
; COMPUTE_PGM_RSRC2:TIDIG_COMP_CNT: 0
; COMPUTE_PGM_RSRC3_GFX90A:ACCUM_OFFSET: 0
; COMPUTE_PGM_RSRC3_GFX90A:TG_SPLIT: 0
	.section	.text._ZN7rocprim17ROCPRIM_400000_NS6detail17trampoline_kernelINS0_14default_configENS1_35adjacent_difference_config_selectorILb1E14custom_numericEEZNS1_24adjacent_difference_implIS3_Lb1ELb0EPS5_S8_N6thrust23THRUST_200600_302600_NS4plusIS5_EEEE10hipError_tPvRmT2_T3_mT4_P12ihipStream_tbEUlT_E_NS1_11comp_targetILNS1_3genE9ELNS1_11target_archE1100ELNS1_3gpuE3ELNS1_3repE0EEENS1_30default_config_static_selectorELNS0_4arch9wavefront6targetE1EEEvT1_,"axG",@progbits,_ZN7rocprim17ROCPRIM_400000_NS6detail17trampoline_kernelINS0_14default_configENS1_35adjacent_difference_config_selectorILb1E14custom_numericEEZNS1_24adjacent_difference_implIS3_Lb1ELb0EPS5_S8_N6thrust23THRUST_200600_302600_NS4plusIS5_EEEE10hipError_tPvRmT2_T3_mT4_P12ihipStream_tbEUlT_E_NS1_11comp_targetILNS1_3genE9ELNS1_11target_archE1100ELNS1_3gpuE3ELNS1_3repE0EEENS1_30default_config_static_selectorELNS0_4arch9wavefront6targetE1EEEvT1_,comdat
	.protected	_ZN7rocprim17ROCPRIM_400000_NS6detail17trampoline_kernelINS0_14default_configENS1_35adjacent_difference_config_selectorILb1E14custom_numericEEZNS1_24adjacent_difference_implIS3_Lb1ELb0EPS5_S8_N6thrust23THRUST_200600_302600_NS4plusIS5_EEEE10hipError_tPvRmT2_T3_mT4_P12ihipStream_tbEUlT_E_NS1_11comp_targetILNS1_3genE9ELNS1_11target_archE1100ELNS1_3gpuE3ELNS1_3repE0EEENS1_30default_config_static_selectorELNS0_4arch9wavefront6targetE1EEEvT1_ ; -- Begin function _ZN7rocprim17ROCPRIM_400000_NS6detail17trampoline_kernelINS0_14default_configENS1_35adjacent_difference_config_selectorILb1E14custom_numericEEZNS1_24adjacent_difference_implIS3_Lb1ELb0EPS5_S8_N6thrust23THRUST_200600_302600_NS4plusIS5_EEEE10hipError_tPvRmT2_T3_mT4_P12ihipStream_tbEUlT_E_NS1_11comp_targetILNS1_3genE9ELNS1_11target_archE1100ELNS1_3gpuE3ELNS1_3repE0EEENS1_30default_config_static_selectorELNS0_4arch9wavefront6targetE1EEEvT1_
	.globl	_ZN7rocprim17ROCPRIM_400000_NS6detail17trampoline_kernelINS0_14default_configENS1_35adjacent_difference_config_selectorILb1E14custom_numericEEZNS1_24adjacent_difference_implIS3_Lb1ELb0EPS5_S8_N6thrust23THRUST_200600_302600_NS4plusIS5_EEEE10hipError_tPvRmT2_T3_mT4_P12ihipStream_tbEUlT_E_NS1_11comp_targetILNS1_3genE9ELNS1_11target_archE1100ELNS1_3gpuE3ELNS1_3repE0EEENS1_30default_config_static_selectorELNS0_4arch9wavefront6targetE1EEEvT1_
	.p2align	8
	.type	_ZN7rocprim17ROCPRIM_400000_NS6detail17trampoline_kernelINS0_14default_configENS1_35adjacent_difference_config_selectorILb1E14custom_numericEEZNS1_24adjacent_difference_implIS3_Lb1ELb0EPS5_S8_N6thrust23THRUST_200600_302600_NS4plusIS5_EEEE10hipError_tPvRmT2_T3_mT4_P12ihipStream_tbEUlT_E_NS1_11comp_targetILNS1_3genE9ELNS1_11target_archE1100ELNS1_3gpuE3ELNS1_3repE0EEENS1_30default_config_static_selectorELNS0_4arch9wavefront6targetE1EEEvT1_,@function
_ZN7rocprim17ROCPRIM_400000_NS6detail17trampoline_kernelINS0_14default_configENS1_35adjacent_difference_config_selectorILb1E14custom_numericEEZNS1_24adjacent_difference_implIS3_Lb1ELb0EPS5_S8_N6thrust23THRUST_200600_302600_NS4plusIS5_EEEE10hipError_tPvRmT2_T3_mT4_P12ihipStream_tbEUlT_E_NS1_11comp_targetILNS1_3genE9ELNS1_11target_archE1100ELNS1_3gpuE3ELNS1_3repE0EEENS1_30default_config_static_selectorELNS0_4arch9wavefront6targetE1EEEvT1_: ; @_ZN7rocprim17ROCPRIM_400000_NS6detail17trampoline_kernelINS0_14default_configENS1_35adjacent_difference_config_selectorILb1E14custom_numericEEZNS1_24adjacent_difference_implIS3_Lb1ELb0EPS5_S8_N6thrust23THRUST_200600_302600_NS4plusIS5_EEEE10hipError_tPvRmT2_T3_mT4_P12ihipStream_tbEUlT_E_NS1_11comp_targetILNS1_3genE9ELNS1_11target_archE1100ELNS1_3gpuE3ELNS1_3repE0EEENS1_30default_config_static_selectorELNS0_4arch9wavefront6targetE1EEEvT1_
; %bb.0:
	.section	.rodata,"a",@progbits
	.p2align	6, 0x0
	.amdhsa_kernel _ZN7rocprim17ROCPRIM_400000_NS6detail17trampoline_kernelINS0_14default_configENS1_35adjacent_difference_config_selectorILb1E14custom_numericEEZNS1_24adjacent_difference_implIS3_Lb1ELb0EPS5_S8_N6thrust23THRUST_200600_302600_NS4plusIS5_EEEE10hipError_tPvRmT2_T3_mT4_P12ihipStream_tbEUlT_E_NS1_11comp_targetILNS1_3genE9ELNS1_11target_archE1100ELNS1_3gpuE3ELNS1_3repE0EEENS1_30default_config_static_selectorELNS0_4arch9wavefront6targetE1EEEvT1_
		.amdhsa_group_segment_fixed_size 0
		.amdhsa_private_segment_fixed_size 0
		.amdhsa_kernarg_size 56
		.amdhsa_user_sgpr_count 2
		.amdhsa_user_sgpr_dispatch_ptr 0
		.amdhsa_user_sgpr_queue_ptr 0
		.amdhsa_user_sgpr_kernarg_segment_ptr 1
		.amdhsa_user_sgpr_dispatch_id 0
		.amdhsa_user_sgpr_kernarg_preload_length 0
		.amdhsa_user_sgpr_kernarg_preload_offset 0
		.amdhsa_user_sgpr_private_segment_size 0
		.amdhsa_uses_dynamic_stack 0
		.amdhsa_enable_private_segment 0
		.amdhsa_system_sgpr_workgroup_id_x 1
		.amdhsa_system_sgpr_workgroup_id_y 0
		.amdhsa_system_sgpr_workgroup_id_z 0
		.amdhsa_system_sgpr_workgroup_info 0
		.amdhsa_system_vgpr_workitem_id 0
		.amdhsa_next_free_vgpr 1
		.amdhsa_next_free_sgpr 0
		.amdhsa_accum_offset 4
		.amdhsa_reserve_vcc 0
		.amdhsa_float_round_mode_32 0
		.amdhsa_float_round_mode_16_64 0
		.amdhsa_float_denorm_mode_32 3
		.amdhsa_float_denorm_mode_16_64 3
		.amdhsa_dx10_clamp 1
		.amdhsa_ieee_mode 1
		.amdhsa_fp16_overflow 0
		.amdhsa_tg_split 0
		.amdhsa_exception_fp_ieee_invalid_op 0
		.amdhsa_exception_fp_denorm_src 0
		.amdhsa_exception_fp_ieee_div_zero 0
		.amdhsa_exception_fp_ieee_overflow 0
		.amdhsa_exception_fp_ieee_underflow 0
		.amdhsa_exception_fp_ieee_inexact 0
		.amdhsa_exception_int_div_zero 0
	.end_amdhsa_kernel
	.section	.text._ZN7rocprim17ROCPRIM_400000_NS6detail17trampoline_kernelINS0_14default_configENS1_35adjacent_difference_config_selectorILb1E14custom_numericEEZNS1_24adjacent_difference_implIS3_Lb1ELb0EPS5_S8_N6thrust23THRUST_200600_302600_NS4plusIS5_EEEE10hipError_tPvRmT2_T3_mT4_P12ihipStream_tbEUlT_E_NS1_11comp_targetILNS1_3genE9ELNS1_11target_archE1100ELNS1_3gpuE3ELNS1_3repE0EEENS1_30default_config_static_selectorELNS0_4arch9wavefront6targetE1EEEvT1_,"axG",@progbits,_ZN7rocprim17ROCPRIM_400000_NS6detail17trampoline_kernelINS0_14default_configENS1_35adjacent_difference_config_selectorILb1E14custom_numericEEZNS1_24adjacent_difference_implIS3_Lb1ELb0EPS5_S8_N6thrust23THRUST_200600_302600_NS4plusIS5_EEEE10hipError_tPvRmT2_T3_mT4_P12ihipStream_tbEUlT_E_NS1_11comp_targetILNS1_3genE9ELNS1_11target_archE1100ELNS1_3gpuE3ELNS1_3repE0EEENS1_30default_config_static_selectorELNS0_4arch9wavefront6targetE1EEEvT1_,comdat
.Lfunc_end258:
	.size	_ZN7rocprim17ROCPRIM_400000_NS6detail17trampoline_kernelINS0_14default_configENS1_35adjacent_difference_config_selectorILb1E14custom_numericEEZNS1_24adjacent_difference_implIS3_Lb1ELb0EPS5_S8_N6thrust23THRUST_200600_302600_NS4plusIS5_EEEE10hipError_tPvRmT2_T3_mT4_P12ihipStream_tbEUlT_E_NS1_11comp_targetILNS1_3genE9ELNS1_11target_archE1100ELNS1_3gpuE3ELNS1_3repE0EEENS1_30default_config_static_selectorELNS0_4arch9wavefront6targetE1EEEvT1_, .Lfunc_end258-_ZN7rocprim17ROCPRIM_400000_NS6detail17trampoline_kernelINS0_14default_configENS1_35adjacent_difference_config_selectorILb1E14custom_numericEEZNS1_24adjacent_difference_implIS3_Lb1ELb0EPS5_S8_N6thrust23THRUST_200600_302600_NS4plusIS5_EEEE10hipError_tPvRmT2_T3_mT4_P12ihipStream_tbEUlT_E_NS1_11comp_targetILNS1_3genE9ELNS1_11target_archE1100ELNS1_3gpuE3ELNS1_3repE0EEENS1_30default_config_static_selectorELNS0_4arch9wavefront6targetE1EEEvT1_
                                        ; -- End function
	.section	.AMDGPU.csdata,"",@progbits
; Kernel info:
; codeLenInByte = 0
; NumSgprs: 6
; NumVgprs: 0
; NumAgprs: 0
; TotalNumVgprs: 0
; ScratchSize: 0
; MemoryBound: 0
; FloatMode: 240
; IeeeMode: 1
; LDSByteSize: 0 bytes/workgroup (compile time only)
; SGPRBlocks: 0
; VGPRBlocks: 0
; NumSGPRsForWavesPerEU: 6
; NumVGPRsForWavesPerEU: 1
; AccumOffset: 4
; Occupancy: 8
; WaveLimiterHint : 0
; COMPUTE_PGM_RSRC2:SCRATCH_EN: 0
; COMPUTE_PGM_RSRC2:USER_SGPR: 2
; COMPUTE_PGM_RSRC2:TRAP_HANDLER: 0
; COMPUTE_PGM_RSRC2:TGID_X_EN: 1
; COMPUTE_PGM_RSRC2:TGID_Y_EN: 0
; COMPUTE_PGM_RSRC2:TGID_Z_EN: 0
; COMPUTE_PGM_RSRC2:TIDIG_COMP_CNT: 0
; COMPUTE_PGM_RSRC3_GFX90A:ACCUM_OFFSET: 0
; COMPUTE_PGM_RSRC3_GFX90A:TG_SPLIT: 0
	.section	.text._ZN7rocprim17ROCPRIM_400000_NS6detail17trampoline_kernelINS0_14default_configENS1_35adjacent_difference_config_selectorILb1E14custom_numericEEZNS1_24adjacent_difference_implIS3_Lb1ELb0EPS5_S8_N6thrust23THRUST_200600_302600_NS4plusIS5_EEEE10hipError_tPvRmT2_T3_mT4_P12ihipStream_tbEUlT_E_NS1_11comp_targetILNS1_3genE8ELNS1_11target_archE1030ELNS1_3gpuE2ELNS1_3repE0EEENS1_30default_config_static_selectorELNS0_4arch9wavefront6targetE1EEEvT1_,"axG",@progbits,_ZN7rocprim17ROCPRIM_400000_NS6detail17trampoline_kernelINS0_14default_configENS1_35adjacent_difference_config_selectorILb1E14custom_numericEEZNS1_24adjacent_difference_implIS3_Lb1ELb0EPS5_S8_N6thrust23THRUST_200600_302600_NS4plusIS5_EEEE10hipError_tPvRmT2_T3_mT4_P12ihipStream_tbEUlT_E_NS1_11comp_targetILNS1_3genE8ELNS1_11target_archE1030ELNS1_3gpuE2ELNS1_3repE0EEENS1_30default_config_static_selectorELNS0_4arch9wavefront6targetE1EEEvT1_,comdat
	.protected	_ZN7rocprim17ROCPRIM_400000_NS6detail17trampoline_kernelINS0_14default_configENS1_35adjacent_difference_config_selectorILb1E14custom_numericEEZNS1_24adjacent_difference_implIS3_Lb1ELb0EPS5_S8_N6thrust23THRUST_200600_302600_NS4plusIS5_EEEE10hipError_tPvRmT2_T3_mT4_P12ihipStream_tbEUlT_E_NS1_11comp_targetILNS1_3genE8ELNS1_11target_archE1030ELNS1_3gpuE2ELNS1_3repE0EEENS1_30default_config_static_selectorELNS0_4arch9wavefront6targetE1EEEvT1_ ; -- Begin function _ZN7rocprim17ROCPRIM_400000_NS6detail17trampoline_kernelINS0_14default_configENS1_35adjacent_difference_config_selectorILb1E14custom_numericEEZNS1_24adjacent_difference_implIS3_Lb1ELb0EPS5_S8_N6thrust23THRUST_200600_302600_NS4plusIS5_EEEE10hipError_tPvRmT2_T3_mT4_P12ihipStream_tbEUlT_E_NS1_11comp_targetILNS1_3genE8ELNS1_11target_archE1030ELNS1_3gpuE2ELNS1_3repE0EEENS1_30default_config_static_selectorELNS0_4arch9wavefront6targetE1EEEvT1_
	.globl	_ZN7rocprim17ROCPRIM_400000_NS6detail17trampoline_kernelINS0_14default_configENS1_35adjacent_difference_config_selectorILb1E14custom_numericEEZNS1_24adjacent_difference_implIS3_Lb1ELb0EPS5_S8_N6thrust23THRUST_200600_302600_NS4plusIS5_EEEE10hipError_tPvRmT2_T3_mT4_P12ihipStream_tbEUlT_E_NS1_11comp_targetILNS1_3genE8ELNS1_11target_archE1030ELNS1_3gpuE2ELNS1_3repE0EEENS1_30default_config_static_selectorELNS0_4arch9wavefront6targetE1EEEvT1_
	.p2align	8
	.type	_ZN7rocprim17ROCPRIM_400000_NS6detail17trampoline_kernelINS0_14default_configENS1_35adjacent_difference_config_selectorILb1E14custom_numericEEZNS1_24adjacent_difference_implIS3_Lb1ELb0EPS5_S8_N6thrust23THRUST_200600_302600_NS4plusIS5_EEEE10hipError_tPvRmT2_T3_mT4_P12ihipStream_tbEUlT_E_NS1_11comp_targetILNS1_3genE8ELNS1_11target_archE1030ELNS1_3gpuE2ELNS1_3repE0EEENS1_30default_config_static_selectorELNS0_4arch9wavefront6targetE1EEEvT1_,@function
_ZN7rocprim17ROCPRIM_400000_NS6detail17trampoline_kernelINS0_14default_configENS1_35adjacent_difference_config_selectorILb1E14custom_numericEEZNS1_24adjacent_difference_implIS3_Lb1ELb0EPS5_S8_N6thrust23THRUST_200600_302600_NS4plusIS5_EEEE10hipError_tPvRmT2_T3_mT4_P12ihipStream_tbEUlT_E_NS1_11comp_targetILNS1_3genE8ELNS1_11target_archE1030ELNS1_3gpuE2ELNS1_3repE0EEENS1_30default_config_static_selectorELNS0_4arch9wavefront6targetE1EEEvT1_: ; @_ZN7rocprim17ROCPRIM_400000_NS6detail17trampoline_kernelINS0_14default_configENS1_35adjacent_difference_config_selectorILb1E14custom_numericEEZNS1_24adjacent_difference_implIS3_Lb1ELb0EPS5_S8_N6thrust23THRUST_200600_302600_NS4plusIS5_EEEE10hipError_tPvRmT2_T3_mT4_P12ihipStream_tbEUlT_E_NS1_11comp_targetILNS1_3genE8ELNS1_11target_archE1030ELNS1_3gpuE2ELNS1_3repE0EEENS1_30default_config_static_selectorELNS0_4arch9wavefront6targetE1EEEvT1_
; %bb.0:
	.section	.rodata,"a",@progbits
	.p2align	6, 0x0
	.amdhsa_kernel _ZN7rocprim17ROCPRIM_400000_NS6detail17trampoline_kernelINS0_14default_configENS1_35adjacent_difference_config_selectorILb1E14custom_numericEEZNS1_24adjacent_difference_implIS3_Lb1ELb0EPS5_S8_N6thrust23THRUST_200600_302600_NS4plusIS5_EEEE10hipError_tPvRmT2_T3_mT4_P12ihipStream_tbEUlT_E_NS1_11comp_targetILNS1_3genE8ELNS1_11target_archE1030ELNS1_3gpuE2ELNS1_3repE0EEENS1_30default_config_static_selectorELNS0_4arch9wavefront6targetE1EEEvT1_
		.amdhsa_group_segment_fixed_size 0
		.amdhsa_private_segment_fixed_size 0
		.amdhsa_kernarg_size 56
		.amdhsa_user_sgpr_count 2
		.amdhsa_user_sgpr_dispatch_ptr 0
		.amdhsa_user_sgpr_queue_ptr 0
		.amdhsa_user_sgpr_kernarg_segment_ptr 1
		.amdhsa_user_sgpr_dispatch_id 0
		.amdhsa_user_sgpr_kernarg_preload_length 0
		.amdhsa_user_sgpr_kernarg_preload_offset 0
		.amdhsa_user_sgpr_private_segment_size 0
		.amdhsa_uses_dynamic_stack 0
		.amdhsa_enable_private_segment 0
		.amdhsa_system_sgpr_workgroup_id_x 1
		.amdhsa_system_sgpr_workgroup_id_y 0
		.amdhsa_system_sgpr_workgroup_id_z 0
		.amdhsa_system_sgpr_workgroup_info 0
		.amdhsa_system_vgpr_workitem_id 0
		.amdhsa_next_free_vgpr 1
		.amdhsa_next_free_sgpr 0
		.amdhsa_accum_offset 4
		.amdhsa_reserve_vcc 0
		.amdhsa_float_round_mode_32 0
		.amdhsa_float_round_mode_16_64 0
		.amdhsa_float_denorm_mode_32 3
		.amdhsa_float_denorm_mode_16_64 3
		.amdhsa_dx10_clamp 1
		.amdhsa_ieee_mode 1
		.amdhsa_fp16_overflow 0
		.amdhsa_tg_split 0
		.amdhsa_exception_fp_ieee_invalid_op 0
		.amdhsa_exception_fp_denorm_src 0
		.amdhsa_exception_fp_ieee_div_zero 0
		.amdhsa_exception_fp_ieee_overflow 0
		.amdhsa_exception_fp_ieee_underflow 0
		.amdhsa_exception_fp_ieee_inexact 0
		.amdhsa_exception_int_div_zero 0
	.end_amdhsa_kernel
	.section	.text._ZN7rocprim17ROCPRIM_400000_NS6detail17trampoline_kernelINS0_14default_configENS1_35adjacent_difference_config_selectorILb1E14custom_numericEEZNS1_24adjacent_difference_implIS3_Lb1ELb0EPS5_S8_N6thrust23THRUST_200600_302600_NS4plusIS5_EEEE10hipError_tPvRmT2_T3_mT4_P12ihipStream_tbEUlT_E_NS1_11comp_targetILNS1_3genE8ELNS1_11target_archE1030ELNS1_3gpuE2ELNS1_3repE0EEENS1_30default_config_static_selectorELNS0_4arch9wavefront6targetE1EEEvT1_,"axG",@progbits,_ZN7rocprim17ROCPRIM_400000_NS6detail17trampoline_kernelINS0_14default_configENS1_35adjacent_difference_config_selectorILb1E14custom_numericEEZNS1_24adjacent_difference_implIS3_Lb1ELb0EPS5_S8_N6thrust23THRUST_200600_302600_NS4plusIS5_EEEE10hipError_tPvRmT2_T3_mT4_P12ihipStream_tbEUlT_E_NS1_11comp_targetILNS1_3genE8ELNS1_11target_archE1030ELNS1_3gpuE2ELNS1_3repE0EEENS1_30default_config_static_selectorELNS0_4arch9wavefront6targetE1EEEvT1_,comdat
.Lfunc_end259:
	.size	_ZN7rocprim17ROCPRIM_400000_NS6detail17trampoline_kernelINS0_14default_configENS1_35adjacent_difference_config_selectorILb1E14custom_numericEEZNS1_24adjacent_difference_implIS3_Lb1ELb0EPS5_S8_N6thrust23THRUST_200600_302600_NS4plusIS5_EEEE10hipError_tPvRmT2_T3_mT4_P12ihipStream_tbEUlT_E_NS1_11comp_targetILNS1_3genE8ELNS1_11target_archE1030ELNS1_3gpuE2ELNS1_3repE0EEENS1_30default_config_static_selectorELNS0_4arch9wavefront6targetE1EEEvT1_, .Lfunc_end259-_ZN7rocprim17ROCPRIM_400000_NS6detail17trampoline_kernelINS0_14default_configENS1_35adjacent_difference_config_selectorILb1E14custom_numericEEZNS1_24adjacent_difference_implIS3_Lb1ELb0EPS5_S8_N6thrust23THRUST_200600_302600_NS4plusIS5_EEEE10hipError_tPvRmT2_T3_mT4_P12ihipStream_tbEUlT_E_NS1_11comp_targetILNS1_3genE8ELNS1_11target_archE1030ELNS1_3gpuE2ELNS1_3repE0EEENS1_30default_config_static_selectorELNS0_4arch9wavefront6targetE1EEEvT1_
                                        ; -- End function
	.section	.AMDGPU.csdata,"",@progbits
; Kernel info:
; codeLenInByte = 0
; NumSgprs: 6
; NumVgprs: 0
; NumAgprs: 0
; TotalNumVgprs: 0
; ScratchSize: 0
; MemoryBound: 0
; FloatMode: 240
; IeeeMode: 1
; LDSByteSize: 0 bytes/workgroup (compile time only)
; SGPRBlocks: 0
; VGPRBlocks: 0
; NumSGPRsForWavesPerEU: 6
; NumVGPRsForWavesPerEU: 1
; AccumOffset: 4
; Occupancy: 8
; WaveLimiterHint : 0
; COMPUTE_PGM_RSRC2:SCRATCH_EN: 0
; COMPUTE_PGM_RSRC2:USER_SGPR: 2
; COMPUTE_PGM_RSRC2:TRAP_HANDLER: 0
; COMPUTE_PGM_RSRC2:TGID_X_EN: 1
; COMPUTE_PGM_RSRC2:TGID_Y_EN: 0
; COMPUTE_PGM_RSRC2:TGID_Z_EN: 0
; COMPUTE_PGM_RSRC2:TIDIG_COMP_CNT: 0
; COMPUTE_PGM_RSRC3_GFX90A:ACCUM_OFFSET: 0
; COMPUTE_PGM_RSRC3_GFX90A:TG_SPLIT: 0
	.section	.text._ZN6thrust23THRUST_200600_302600_NS11hip_rocprim14__parallel_for6kernelILj256ENS1_20__uninitialized_fill7functorINS0_7pointerIiNS1_3tagENS0_16tagged_referenceIiS7_EENS0_11use_defaultEEEiEEmLj1EEEvT0_T1_SE_,"axG",@progbits,_ZN6thrust23THRUST_200600_302600_NS11hip_rocprim14__parallel_for6kernelILj256ENS1_20__uninitialized_fill7functorINS0_7pointerIiNS1_3tagENS0_16tagged_referenceIiS7_EENS0_11use_defaultEEEiEEmLj1EEEvT0_T1_SE_,comdat
	.protected	_ZN6thrust23THRUST_200600_302600_NS11hip_rocprim14__parallel_for6kernelILj256ENS1_20__uninitialized_fill7functorINS0_7pointerIiNS1_3tagENS0_16tagged_referenceIiS7_EENS0_11use_defaultEEEiEEmLj1EEEvT0_T1_SE_ ; -- Begin function _ZN6thrust23THRUST_200600_302600_NS11hip_rocprim14__parallel_for6kernelILj256ENS1_20__uninitialized_fill7functorINS0_7pointerIiNS1_3tagENS0_16tagged_referenceIiS7_EENS0_11use_defaultEEEiEEmLj1EEEvT0_T1_SE_
	.globl	_ZN6thrust23THRUST_200600_302600_NS11hip_rocprim14__parallel_for6kernelILj256ENS1_20__uninitialized_fill7functorINS0_7pointerIiNS1_3tagENS0_16tagged_referenceIiS7_EENS0_11use_defaultEEEiEEmLj1EEEvT0_T1_SE_
	.p2align	8
	.type	_ZN6thrust23THRUST_200600_302600_NS11hip_rocprim14__parallel_for6kernelILj256ENS1_20__uninitialized_fill7functorINS0_7pointerIiNS1_3tagENS0_16tagged_referenceIiS7_EENS0_11use_defaultEEEiEEmLj1EEEvT0_T1_SE_,@function
_ZN6thrust23THRUST_200600_302600_NS11hip_rocprim14__parallel_for6kernelILj256ENS1_20__uninitialized_fill7functorINS0_7pointerIiNS1_3tagENS0_16tagged_referenceIiS7_EENS0_11use_defaultEEEiEEmLj1EEEvT0_T1_SE_: ; @_ZN6thrust23THRUST_200600_302600_NS11hip_rocprim14__parallel_for6kernelILj256ENS1_20__uninitialized_fill7functorINS0_7pointerIiNS1_3tagENS0_16tagged_referenceIiS7_EENS0_11use_defaultEEEiEEmLj1EEEvT0_T1_SE_
; %bb.0:
	s_load_dwordx4 s[4:7], s[0:1], 0x10
	s_lshl_b32 s2, s2, 8
	v_mov_b64_e32 v[2:3], 0x100
	s_waitcnt lgkmcnt(0)
	s_add_u32 s2, s2, s6
	s_addc_u32 s3, 0, s7
	s_sub_u32 s4, s4, s2
	s_subb_u32 s5, s5, s3
	v_cmp_lt_u64_e32 vcc, s[4:5], v[2:3]
	s_cbranch_vccz .LBB260_2
; %bb.1:
	v_cmp_gt_u32_e32 vcc, s4, v0
	s_and_b64 s[4:5], vcc, exec
	s_cbranch_execz .LBB260_3
	s_branch .LBB260_4
.LBB260_2:
	s_mov_b64 s[4:5], 0
.LBB260_3:
	s_or_b64 s[4:5], s[4:5], exec
.LBB260_4:
	s_and_saveexec_b64 s[6:7], s[4:5]
	s_cbranch_execnz .LBB260_6
; %bb.5:
	s_endpgm
.LBB260_6:
	s_load_dwordx2 s[4:5], s[0:1], 0x0
	s_load_dword s6, s[0:1], 0x8
	s_lshl_b64 s[0:1], s[2:3], 2
	v_mov_b32_e32 v1, 0
	s_waitcnt lgkmcnt(0)
	s_add_u32 s0, s4, s0
	s_addc_u32 s1, s5, s1
	v_lshl_add_u64 v[0:1], v[0:1], 2, s[0:1]
	v_mov_b32_e32 v2, s6
	flat_store_dword v[0:1], v2
	s_endpgm
	.section	.rodata,"a",@progbits
	.p2align	6, 0x0
	.amdhsa_kernel _ZN6thrust23THRUST_200600_302600_NS11hip_rocprim14__parallel_for6kernelILj256ENS1_20__uninitialized_fill7functorINS0_7pointerIiNS1_3tagENS0_16tagged_referenceIiS7_EENS0_11use_defaultEEEiEEmLj1EEEvT0_T1_SE_
		.amdhsa_group_segment_fixed_size 0
		.amdhsa_private_segment_fixed_size 0
		.amdhsa_kernarg_size 32
		.amdhsa_user_sgpr_count 2
		.amdhsa_user_sgpr_dispatch_ptr 0
		.amdhsa_user_sgpr_queue_ptr 0
		.amdhsa_user_sgpr_kernarg_segment_ptr 1
		.amdhsa_user_sgpr_dispatch_id 0
		.amdhsa_user_sgpr_kernarg_preload_length 0
		.amdhsa_user_sgpr_kernarg_preload_offset 0
		.amdhsa_user_sgpr_private_segment_size 0
		.amdhsa_uses_dynamic_stack 0
		.amdhsa_enable_private_segment 0
		.amdhsa_system_sgpr_workgroup_id_x 1
		.amdhsa_system_sgpr_workgroup_id_y 0
		.amdhsa_system_sgpr_workgroup_id_z 0
		.amdhsa_system_sgpr_workgroup_info 0
		.amdhsa_system_vgpr_workitem_id 0
		.amdhsa_next_free_vgpr 4
		.amdhsa_next_free_sgpr 8
		.amdhsa_accum_offset 4
		.amdhsa_reserve_vcc 1
		.amdhsa_float_round_mode_32 0
		.amdhsa_float_round_mode_16_64 0
		.amdhsa_float_denorm_mode_32 3
		.amdhsa_float_denorm_mode_16_64 3
		.amdhsa_dx10_clamp 1
		.amdhsa_ieee_mode 1
		.amdhsa_fp16_overflow 0
		.amdhsa_tg_split 0
		.amdhsa_exception_fp_ieee_invalid_op 0
		.amdhsa_exception_fp_denorm_src 0
		.amdhsa_exception_fp_ieee_div_zero 0
		.amdhsa_exception_fp_ieee_overflow 0
		.amdhsa_exception_fp_ieee_underflow 0
		.amdhsa_exception_fp_ieee_inexact 0
		.amdhsa_exception_int_div_zero 0
	.end_amdhsa_kernel
	.section	.text._ZN6thrust23THRUST_200600_302600_NS11hip_rocprim14__parallel_for6kernelILj256ENS1_20__uninitialized_fill7functorINS0_7pointerIiNS1_3tagENS0_16tagged_referenceIiS7_EENS0_11use_defaultEEEiEEmLj1EEEvT0_T1_SE_,"axG",@progbits,_ZN6thrust23THRUST_200600_302600_NS11hip_rocprim14__parallel_for6kernelILj256ENS1_20__uninitialized_fill7functorINS0_7pointerIiNS1_3tagENS0_16tagged_referenceIiS7_EENS0_11use_defaultEEEiEEmLj1EEEvT0_T1_SE_,comdat
.Lfunc_end260:
	.size	_ZN6thrust23THRUST_200600_302600_NS11hip_rocprim14__parallel_for6kernelILj256ENS1_20__uninitialized_fill7functorINS0_7pointerIiNS1_3tagENS0_16tagged_referenceIiS7_EENS0_11use_defaultEEEiEEmLj1EEEvT0_T1_SE_, .Lfunc_end260-_ZN6thrust23THRUST_200600_302600_NS11hip_rocprim14__parallel_for6kernelILj256ENS1_20__uninitialized_fill7functorINS0_7pointerIiNS1_3tagENS0_16tagged_referenceIiS7_EENS0_11use_defaultEEEiEEmLj1EEEvT0_T1_SE_
                                        ; -- End function
	.section	.AMDGPU.csdata,"",@progbits
; Kernel info:
; codeLenInByte = 144
; NumSgprs: 14
; NumVgprs: 4
; NumAgprs: 0
; TotalNumVgprs: 4
; ScratchSize: 0
; MemoryBound: 0
; FloatMode: 240
; IeeeMode: 1
; LDSByteSize: 0 bytes/workgroup (compile time only)
; SGPRBlocks: 1
; VGPRBlocks: 0
; NumSGPRsForWavesPerEU: 14
; NumVGPRsForWavesPerEU: 4
; AccumOffset: 4
; Occupancy: 8
; WaveLimiterHint : 0
; COMPUTE_PGM_RSRC2:SCRATCH_EN: 0
; COMPUTE_PGM_RSRC2:USER_SGPR: 2
; COMPUTE_PGM_RSRC2:TRAP_HANDLER: 0
; COMPUTE_PGM_RSRC2:TGID_X_EN: 1
; COMPUTE_PGM_RSRC2:TGID_Y_EN: 0
; COMPUTE_PGM_RSRC2:TGID_Z_EN: 0
; COMPUTE_PGM_RSRC2:TIDIG_COMP_CNT: 0
; COMPUTE_PGM_RSRC3_GFX90A:ACCUM_OFFSET: 0
; COMPUTE_PGM_RSRC3_GFX90A:TG_SPLIT: 0
	.section	.text._ZN6thrust23THRUST_200600_302600_NS11hip_rocprim14__parallel_for6kernelILj256ENS1_20__uninitialized_fill7functorINS0_7pointerIiNS1_3tagERiNS0_11use_defaultEEEiEEmLj1EEEvT0_T1_SD_,"axG",@progbits,_ZN6thrust23THRUST_200600_302600_NS11hip_rocprim14__parallel_for6kernelILj256ENS1_20__uninitialized_fill7functorINS0_7pointerIiNS1_3tagERiNS0_11use_defaultEEEiEEmLj1EEEvT0_T1_SD_,comdat
	.protected	_ZN6thrust23THRUST_200600_302600_NS11hip_rocprim14__parallel_for6kernelILj256ENS1_20__uninitialized_fill7functorINS0_7pointerIiNS1_3tagERiNS0_11use_defaultEEEiEEmLj1EEEvT0_T1_SD_ ; -- Begin function _ZN6thrust23THRUST_200600_302600_NS11hip_rocprim14__parallel_for6kernelILj256ENS1_20__uninitialized_fill7functorINS0_7pointerIiNS1_3tagERiNS0_11use_defaultEEEiEEmLj1EEEvT0_T1_SD_
	.globl	_ZN6thrust23THRUST_200600_302600_NS11hip_rocprim14__parallel_for6kernelILj256ENS1_20__uninitialized_fill7functorINS0_7pointerIiNS1_3tagERiNS0_11use_defaultEEEiEEmLj1EEEvT0_T1_SD_
	.p2align	8
	.type	_ZN6thrust23THRUST_200600_302600_NS11hip_rocprim14__parallel_for6kernelILj256ENS1_20__uninitialized_fill7functorINS0_7pointerIiNS1_3tagERiNS0_11use_defaultEEEiEEmLj1EEEvT0_T1_SD_,@function
_ZN6thrust23THRUST_200600_302600_NS11hip_rocprim14__parallel_for6kernelILj256ENS1_20__uninitialized_fill7functorINS0_7pointerIiNS1_3tagERiNS0_11use_defaultEEEiEEmLj1EEEvT0_T1_SD_: ; @_ZN6thrust23THRUST_200600_302600_NS11hip_rocprim14__parallel_for6kernelILj256ENS1_20__uninitialized_fill7functorINS0_7pointerIiNS1_3tagERiNS0_11use_defaultEEEiEEmLj1EEEvT0_T1_SD_
; %bb.0:
	s_load_dwordx4 s[4:7], s[0:1], 0x10
	s_lshl_b32 s2, s2, 8
	v_mov_b64_e32 v[2:3], 0x100
	s_waitcnt lgkmcnt(0)
	s_add_u32 s2, s2, s6
	s_addc_u32 s3, 0, s7
	s_sub_u32 s4, s4, s2
	s_subb_u32 s5, s5, s3
	v_cmp_lt_u64_e32 vcc, s[4:5], v[2:3]
	s_cbranch_vccz .LBB261_2
; %bb.1:
	v_cmp_gt_u32_e32 vcc, s4, v0
	s_and_b64 s[4:5], vcc, exec
	s_cbranch_execz .LBB261_3
	s_branch .LBB261_4
.LBB261_2:
	s_mov_b64 s[4:5], 0
.LBB261_3:
	s_or_b64 s[4:5], s[4:5], exec
.LBB261_4:
	s_and_saveexec_b64 s[6:7], s[4:5]
	s_cbranch_execnz .LBB261_6
; %bb.5:
	s_endpgm
.LBB261_6:
	s_load_dwordx2 s[4:5], s[0:1], 0x0
	s_load_dword s6, s[0:1], 0x8
	s_lshl_b64 s[0:1], s[2:3], 2
	v_mov_b32_e32 v1, 0
	s_waitcnt lgkmcnt(0)
	s_add_u32 s0, s4, s0
	s_addc_u32 s1, s5, s1
	v_lshl_add_u64 v[0:1], v[0:1], 2, s[0:1]
	v_mov_b32_e32 v2, s6
	flat_store_dword v[0:1], v2
	s_endpgm
	.section	.rodata,"a",@progbits
	.p2align	6, 0x0
	.amdhsa_kernel _ZN6thrust23THRUST_200600_302600_NS11hip_rocprim14__parallel_for6kernelILj256ENS1_20__uninitialized_fill7functorINS0_7pointerIiNS1_3tagERiNS0_11use_defaultEEEiEEmLj1EEEvT0_T1_SD_
		.amdhsa_group_segment_fixed_size 0
		.amdhsa_private_segment_fixed_size 0
		.amdhsa_kernarg_size 32
		.amdhsa_user_sgpr_count 2
		.amdhsa_user_sgpr_dispatch_ptr 0
		.amdhsa_user_sgpr_queue_ptr 0
		.amdhsa_user_sgpr_kernarg_segment_ptr 1
		.amdhsa_user_sgpr_dispatch_id 0
		.amdhsa_user_sgpr_kernarg_preload_length 0
		.amdhsa_user_sgpr_kernarg_preload_offset 0
		.amdhsa_user_sgpr_private_segment_size 0
		.amdhsa_uses_dynamic_stack 0
		.amdhsa_enable_private_segment 0
		.amdhsa_system_sgpr_workgroup_id_x 1
		.amdhsa_system_sgpr_workgroup_id_y 0
		.amdhsa_system_sgpr_workgroup_id_z 0
		.amdhsa_system_sgpr_workgroup_info 0
		.amdhsa_system_vgpr_workitem_id 0
		.amdhsa_next_free_vgpr 4
		.amdhsa_next_free_sgpr 8
		.amdhsa_accum_offset 4
		.amdhsa_reserve_vcc 1
		.amdhsa_float_round_mode_32 0
		.amdhsa_float_round_mode_16_64 0
		.amdhsa_float_denorm_mode_32 3
		.amdhsa_float_denorm_mode_16_64 3
		.amdhsa_dx10_clamp 1
		.amdhsa_ieee_mode 1
		.amdhsa_fp16_overflow 0
		.amdhsa_tg_split 0
		.amdhsa_exception_fp_ieee_invalid_op 0
		.amdhsa_exception_fp_denorm_src 0
		.amdhsa_exception_fp_ieee_div_zero 0
		.amdhsa_exception_fp_ieee_overflow 0
		.amdhsa_exception_fp_ieee_underflow 0
		.amdhsa_exception_fp_ieee_inexact 0
		.amdhsa_exception_int_div_zero 0
	.end_amdhsa_kernel
	.section	.text._ZN6thrust23THRUST_200600_302600_NS11hip_rocprim14__parallel_for6kernelILj256ENS1_20__uninitialized_fill7functorINS0_7pointerIiNS1_3tagERiNS0_11use_defaultEEEiEEmLj1EEEvT0_T1_SD_,"axG",@progbits,_ZN6thrust23THRUST_200600_302600_NS11hip_rocprim14__parallel_for6kernelILj256ENS1_20__uninitialized_fill7functorINS0_7pointerIiNS1_3tagERiNS0_11use_defaultEEEiEEmLj1EEEvT0_T1_SD_,comdat
.Lfunc_end261:
	.size	_ZN6thrust23THRUST_200600_302600_NS11hip_rocprim14__parallel_for6kernelILj256ENS1_20__uninitialized_fill7functorINS0_7pointerIiNS1_3tagERiNS0_11use_defaultEEEiEEmLj1EEEvT0_T1_SD_, .Lfunc_end261-_ZN6thrust23THRUST_200600_302600_NS11hip_rocprim14__parallel_for6kernelILj256ENS1_20__uninitialized_fill7functorINS0_7pointerIiNS1_3tagERiNS0_11use_defaultEEEiEEmLj1EEEvT0_T1_SD_
                                        ; -- End function
	.section	.AMDGPU.csdata,"",@progbits
; Kernel info:
; codeLenInByte = 144
; NumSgprs: 14
; NumVgprs: 4
; NumAgprs: 0
; TotalNumVgprs: 4
; ScratchSize: 0
; MemoryBound: 0
; FloatMode: 240
; IeeeMode: 1
; LDSByteSize: 0 bytes/workgroup (compile time only)
; SGPRBlocks: 1
; VGPRBlocks: 0
; NumSGPRsForWavesPerEU: 14
; NumVGPRsForWavesPerEU: 4
; AccumOffset: 4
; Occupancy: 8
; WaveLimiterHint : 0
; COMPUTE_PGM_RSRC2:SCRATCH_EN: 0
; COMPUTE_PGM_RSRC2:USER_SGPR: 2
; COMPUTE_PGM_RSRC2:TRAP_HANDLER: 0
; COMPUTE_PGM_RSRC2:TGID_X_EN: 1
; COMPUTE_PGM_RSRC2:TGID_Y_EN: 0
; COMPUTE_PGM_RSRC2:TGID_Z_EN: 0
; COMPUTE_PGM_RSRC2:TIDIG_COMP_CNT: 0
; COMPUTE_PGM_RSRC3_GFX90A:ACCUM_OFFSET: 0
; COMPUTE_PGM_RSRC3_GFX90A:TG_SPLIT: 0
	.section	.text._ZN6thrust23THRUST_200600_302600_NS11hip_rocprim14__parallel_for6kernelILj256ENS1_20__uninitialized_fill7functorINS0_10device_ptrIhEEhEEmLj1EEEvT0_T1_SA_,"axG",@progbits,_ZN6thrust23THRUST_200600_302600_NS11hip_rocprim14__parallel_for6kernelILj256ENS1_20__uninitialized_fill7functorINS0_10device_ptrIhEEhEEmLj1EEEvT0_T1_SA_,comdat
	.protected	_ZN6thrust23THRUST_200600_302600_NS11hip_rocprim14__parallel_for6kernelILj256ENS1_20__uninitialized_fill7functorINS0_10device_ptrIhEEhEEmLj1EEEvT0_T1_SA_ ; -- Begin function _ZN6thrust23THRUST_200600_302600_NS11hip_rocprim14__parallel_for6kernelILj256ENS1_20__uninitialized_fill7functorINS0_10device_ptrIhEEhEEmLj1EEEvT0_T1_SA_
	.globl	_ZN6thrust23THRUST_200600_302600_NS11hip_rocprim14__parallel_for6kernelILj256ENS1_20__uninitialized_fill7functorINS0_10device_ptrIhEEhEEmLj1EEEvT0_T1_SA_
	.p2align	8
	.type	_ZN6thrust23THRUST_200600_302600_NS11hip_rocprim14__parallel_for6kernelILj256ENS1_20__uninitialized_fill7functorINS0_10device_ptrIhEEhEEmLj1EEEvT0_T1_SA_,@function
_ZN6thrust23THRUST_200600_302600_NS11hip_rocprim14__parallel_for6kernelILj256ENS1_20__uninitialized_fill7functorINS0_10device_ptrIhEEhEEmLj1EEEvT0_T1_SA_: ; @_ZN6thrust23THRUST_200600_302600_NS11hip_rocprim14__parallel_for6kernelILj256ENS1_20__uninitialized_fill7functorINS0_10device_ptrIhEEhEEmLj1EEEvT0_T1_SA_
; %bb.0:
	s_load_dwordx4 s[4:7], s[0:1], 0x10
	s_lshl_b32 s2, s2, 8
	v_mov_b64_e32 v[2:3], 0x100
	s_waitcnt lgkmcnt(0)
	s_add_u32 s6, s2, s6
	s_addc_u32 s7, 0, s7
	s_sub_u32 s2, s4, s6
	s_subb_u32 s3, s5, s7
	v_cmp_lt_u64_e32 vcc, s[2:3], v[2:3]
	s_cbranch_vccz .LBB262_2
; %bb.1:
	v_cmp_gt_u32_e32 vcc, s2, v0
	s_and_b64 s[2:3], vcc, exec
	s_cbranch_execz .LBB262_3
	s_branch .LBB262_4
.LBB262_2:
	s_mov_b64 s[2:3], 0
.LBB262_3:
	s_or_b64 s[2:3], s[2:3], exec
.LBB262_4:
	s_and_saveexec_b64 s[4:5], s[2:3]
	s_cbranch_execnz .LBB262_6
; %bb.5:
	s_endpgm
.LBB262_6:
	s_load_dwordx2 s[2:3], s[0:1], 0x0
	s_load_dword s4, s[0:1], 0x8
	v_mov_b32_e32 v1, 0
	s_waitcnt lgkmcnt(0)
	s_add_u32 s0, s2, s6
	s_addc_u32 s1, s3, s7
	v_lshl_add_u64 v[0:1], s[0:1], 0, v[0:1]
	v_mov_b32_e32 v2, s4
	flat_store_byte v[0:1], v2
	s_endpgm
	.section	.rodata,"a",@progbits
	.p2align	6, 0x0
	.amdhsa_kernel _ZN6thrust23THRUST_200600_302600_NS11hip_rocprim14__parallel_for6kernelILj256ENS1_20__uninitialized_fill7functorINS0_10device_ptrIhEEhEEmLj1EEEvT0_T1_SA_
		.amdhsa_group_segment_fixed_size 0
		.amdhsa_private_segment_fixed_size 0
		.amdhsa_kernarg_size 32
		.amdhsa_user_sgpr_count 2
		.amdhsa_user_sgpr_dispatch_ptr 0
		.amdhsa_user_sgpr_queue_ptr 0
		.amdhsa_user_sgpr_kernarg_segment_ptr 1
		.amdhsa_user_sgpr_dispatch_id 0
		.amdhsa_user_sgpr_kernarg_preload_length 0
		.amdhsa_user_sgpr_kernarg_preload_offset 0
		.amdhsa_user_sgpr_private_segment_size 0
		.amdhsa_uses_dynamic_stack 0
		.amdhsa_enable_private_segment 0
		.amdhsa_system_sgpr_workgroup_id_x 1
		.amdhsa_system_sgpr_workgroup_id_y 0
		.amdhsa_system_sgpr_workgroup_id_z 0
		.amdhsa_system_sgpr_workgroup_info 0
		.amdhsa_system_vgpr_workitem_id 0
		.amdhsa_next_free_vgpr 4
		.amdhsa_next_free_sgpr 8
		.amdhsa_accum_offset 4
		.amdhsa_reserve_vcc 1
		.amdhsa_float_round_mode_32 0
		.amdhsa_float_round_mode_16_64 0
		.amdhsa_float_denorm_mode_32 3
		.amdhsa_float_denorm_mode_16_64 3
		.amdhsa_dx10_clamp 1
		.amdhsa_ieee_mode 1
		.amdhsa_fp16_overflow 0
		.amdhsa_tg_split 0
		.amdhsa_exception_fp_ieee_invalid_op 0
		.amdhsa_exception_fp_denorm_src 0
		.amdhsa_exception_fp_ieee_div_zero 0
		.amdhsa_exception_fp_ieee_overflow 0
		.amdhsa_exception_fp_ieee_underflow 0
		.amdhsa_exception_fp_ieee_inexact 0
		.amdhsa_exception_int_div_zero 0
	.end_amdhsa_kernel
	.section	.text._ZN6thrust23THRUST_200600_302600_NS11hip_rocprim14__parallel_for6kernelILj256ENS1_20__uninitialized_fill7functorINS0_10device_ptrIhEEhEEmLj1EEEvT0_T1_SA_,"axG",@progbits,_ZN6thrust23THRUST_200600_302600_NS11hip_rocprim14__parallel_for6kernelILj256ENS1_20__uninitialized_fill7functorINS0_10device_ptrIhEEhEEmLj1EEEvT0_T1_SA_,comdat
.Lfunc_end262:
	.size	_ZN6thrust23THRUST_200600_302600_NS11hip_rocprim14__parallel_for6kernelILj256ENS1_20__uninitialized_fill7functorINS0_10device_ptrIhEEhEEmLj1EEEvT0_T1_SA_, .Lfunc_end262-_ZN6thrust23THRUST_200600_302600_NS11hip_rocprim14__parallel_for6kernelILj256ENS1_20__uninitialized_fill7functorINS0_10device_ptrIhEEhEEmLj1EEEvT0_T1_SA_
                                        ; -- End function
	.section	.AMDGPU.csdata,"",@progbits
; Kernel info:
; codeLenInByte = 140
; NumSgprs: 14
; NumVgprs: 4
; NumAgprs: 0
; TotalNumVgprs: 4
; ScratchSize: 0
; MemoryBound: 0
; FloatMode: 240
; IeeeMode: 1
; LDSByteSize: 0 bytes/workgroup (compile time only)
; SGPRBlocks: 1
; VGPRBlocks: 0
; NumSGPRsForWavesPerEU: 14
; NumVGPRsForWavesPerEU: 4
; AccumOffset: 4
; Occupancy: 8
; WaveLimiterHint : 0
; COMPUTE_PGM_RSRC2:SCRATCH_EN: 0
; COMPUTE_PGM_RSRC2:USER_SGPR: 2
; COMPUTE_PGM_RSRC2:TRAP_HANDLER: 0
; COMPUTE_PGM_RSRC2:TGID_X_EN: 1
; COMPUTE_PGM_RSRC2:TGID_Y_EN: 0
; COMPUTE_PGM_RSRC2:TGID_Z_EN: 0
; COMPUTE_PGM_RSRC2:TIDIG_COMP_CNT: 0
; COMPUTE_PGM_RSRC3_GFX90A:ACCUM_OFFSET: 0
; COMPUTE_PGM_RSRC3_GFX90A:TG_SPLIT: 0
	.section	.text._ZN7rocprim17ROCPRIM_400000_NS6detail17trampoline_kernelINS0_14default_configENS1_35adjacent_difference_config_selectorILb0EhEEZNS1_24adjacent_difference_implIS3_Lb0ELb0EPhS7_N6thrust23THRUST_200600_302600_NS5minusIhEEEE10hipError_tPvRmT2_T3_mT4_P12ihipStream_tbEUlT_E_NS1_11comp_targetILNS1_3genE0ELNS1_11target_archE4294967295ELNS1_3gpuE0ELNS1_3repE0EEENS1_30default_config_static_selectorELNS0_4arch9wavefront6targetE1EEEvT1_,"axG",@progbits,_ZN7rocprim17ROCPRIM_400000_NS6detail17trampoline_kernelINS0_14default_configENS1_35adjacent_difference_config_selectorILb0EhEEZNS1_24adjacent_difference_implIS3_Lb0ELb0EPhS7_N6thrust23THRUST_200600_302600_NS5minusIhEEEE10hipError_tPvRmT2_T3_mT4_P12ihipStream_tbEUlT_E_NS1_11comp_targetILNS1_3genE0ELNS1_11target_archE4294967295ELNS1_3gpuE0ELNS1_3repE0EEENS1_30default_config_static_selectorELNS0_4arch9wavefront6targetE1EEEvT1_,comdat
	.protected	_ZN7rocprim17ROCPRIM_400000_NS6detail17trampoline_kernelINS0_14default_configENS1_35adjacent_difference_config_selectorILb0EhEEZNS1_24adjacent_difference_implIS3_Lb0ELb0EPhS7_N6thrust23THRUST_200600_302600_NS5minusIhEEEE10hipError_tPvRmT2_T3_mT4_P12ihipStream_tbEUlT_E_NS1_11comp_targetILNS1_3genE0ELNS1_11target_archE4294967295ELNS1_3gpuE0ELNS1_3repE0EEENS1_30default_config_static_selectorELNS0_4arch9wavefront6targetE1EEEvT1_ ; -- Begin function _ZN7rocprim17ROCPRIM_400000_NS6detail17trampoline_kernelINS0_14default_configENS1_35adjacent_difference_config_selectorILb0EhEEZNS1_24adjacent_difference_implIS3_Lb0ELb0EPhS7_N6thrust23THRUST_200600_302600_NS5minusIhEEEE10hipError_tPvRmT2_T3_mT4_P12ihipStream_tbEUlT_E_NS1_11comp_targetILNS1_3genE0ELNS1_11target_archE4294967295ELNS1_3gpuE0ELNS1_3repE0EEENS1_30default_config_static_selectorELNS0_4arch9wavefront6targetE1EEEvT1_
	.globl	_ZN7rocprim17ROCPRIM_400000_NS6detail17trampoline_kernelINS0_14default_configENS1_35adjacent_difference_config_selectorILb0EhEEZNS1_24adjacent_difference_implIS3_Lb0ELb0EPhS7_N6thrust23THRUST_200600_302600_NS5minusIhEEEE10hipError_tPvRmT2_T3_mT4_P12ihipStream_tbEUlT_E_NS1_11comp_targetILNS1_3genE0ELNS1_11target_archE4294967295ELNS1_3gpuE0ELNS1_3repE0EEENS1_30default_config_static_selectorELNS0_4arch9wavefront6targetE1EEEvT1_
	.p2align	8
	.type	_ZN7rocprim17ROCPRIM_400000_NS6detail17trampoline_kernelINS0_14default_configENS1_35adjacent_difference_config_selectorILb0EhEEZNS1_24adjacent_difference_implIS3_Lb0ELb0EPhS7_N6thrust23THRUST_200600_302600_NS5minusIhEEEE10hipError_tPvRmT2_T3_mT4_P12ihipStream_tbEUlT_E_NS1_11comp_targetILNS1_3genE0ELNS1_11target_archE4294967295ELNS1_3gpuE0ELNS1_3repE0EEENS1_30default_config_static_selectorELNS0_4arch9wavefront6targetE1EEEvT1_,@function
_ZN7rocprim17ROCPRIM_400000_NS6detail17trampoline_kernelINS0_14default_configENS1_35adjacent_difference_config_selectorILb0EhEEZNS1_24adjacent_difference_implIS3_Lb0ELb0EPhS7_N6thrust23THRUST_200600_302600_NS5minusIhEEEE10hipError_tPvRmT2_T3_mT4_P12ihipStream_tbEUlT_E_NS1_11comp_targetILNS1_3genE0ELNS1_11target_archE4294967295ELNS1_3gpuE0ELNS1_3repE0EEENS1_30default_config_static_selectorELNS0_4arch9wavefront6targetE1EEEvT1_: ; @_ZN7rocprim17ROCPRIM_400000_NS6detail17trampoline_kernelINS0_14default_configENS1_35adjacent_difference_config_selectorILb0EhEEZNS1_24adjacent_difference_implIS3_Lb0ELb0EPhS7_N6thrust23THRUST_200600_302600_NS5minusIhEEEE10hipError_tPvRmT2_T3_mT4_P12ihipStream_tbEUlT_E_NS1_11comp_targetILNS1_3genE0ELNS1_11target_archE4294967295ELNS1_3gpuE0ELNS1_3repE0EEENS1_30default_config_static_selectorELNS0_4arch9wavefront6targetE1EEEvT1_
; %bb.0:
	.section	.rodata,"a",@progbits
	.p2align	6, 0x0
	.amdhsa_kernel _ZN7rocprim17ROCPRIM_400000_NS6detail17trampoline_kernelINS0_14default_configENS1_35adjacent_difference_config_selectorILb0EhEEZNS1_24adjacent_difference_implIS3_Lb0ELb0EPhS7_N6thrust23THRUST_200600_302600_NS5minusIhEEEE10hipError_tPvRmT2_T3_mT4_P12ihipStream_tbEUlT_E_NS1_11comp_targetILNS1_3genE0ELNS1_11target_archE4294967295ELNS1_3gpuE0ELNS1_3repE0EEENS1_30default_config_static_selectorELNS0_4arch9wavefront6targetE1EEEvT1_
		.amdhsa_group_segment_fixed_size 0
		.amdhsa_private_segment_fixed_size 0
		.amdhsa_kernarg_size 56
		.amdhsa_user_sgpr_count 2
		.amdhsa_user_sgpr_dispatch_ptr 0
		.amdhsa_user_sgpr_queue_ptr 0
		.amdhsa_user_sgpr_kernarg_segment_ptr 1
		.amdhsa_user_sgpr_dispatch_id 0
		.amdhsa_user_sgpr_kernarg_preload_length 0
		.amdhsa_user_sgpr_kernarg_preload_offset 0
		.amdhsa_user_sgpr_private_segment_size 0
		.amdhsa_uses_dynamic_stack 0
		.amdhsa_enable_private_segment 0
		.amdhsa_system_sgpr_workgroup_id_x 1
		.amdhsa_system_sgpr_workgroup_id_y 0
		.amdhsa_system_sgpr_workgroup_id_z 0
		.amdhsa_system_sgpr_workgroup_info 0
		.amdhsa_system_vgpr_workitem_id 0
		.amdhsa_next_free_vgpr 1
		.amdhsa_next_free_sgpr 0
		.amdhsa_accum_offset 4
		.amdhsa_reserve_vcc 0
		.amdhsa_float_round_mode_32 0
		.amdhsa_float_round_mode_16_64 0
		.amdhsa_float_denorm_mode_32 3
		.amdhsa_float_denorm_mode_16_64 3
		.amdhsa_dx10_clamp 1
		.amdhsa_ieee_mode 1
		.amdhsa_fp16_overflow 0
		.amdhsa_tg_split 0
		.amdhsa_exception_fp_ieee_invalid_op 0
		.amdhsa_exception_fp_denorm_src 0
		.amdhsa_exception_fp_ieee_div_zero 0
		.amdhsa_exception_fp_ieee_overflow 0
		.amdhsa_exception_fp_ieee_underflow 0
		.amdhsa_exception_fp_ieee_inexact 0
		.amdhsa_exception_int_div_zero 0
	.end_amdhsa_kernel
	.section	.text._ZN7rocprim17ROCPRIM_400000_NS6detail17trampoline_kernelINS0_14default_configENS1_35adjacent_difference_config_selectorILb0EhEEZNS1_24adjacent_difference_implIS3_Lb0ELb0EPhS7_N6thrust23THRUST_200600_302600_NS5minusIhEEEE10hipError_tPvRmT2_T3_mT4_P12ihipStream_tbEUlT_E_NS1_11comp_targetILNS1_3genE0ELNS1_11target_archE4294967295ELNS1_3gpuE0ELNS1_3repE0EEENS1_30default_config_static_selectorELNS0_4arch9wavefront6targetE1EEEvT1_,"axG",@progbits,_ZN7rocprim17ROCPRIM_400000_NS6detail17trampoline_kernelINS0_14default_configENS1_35adjacent_difference_config_selectorILb0EhEEZNS1_24adjacent_difference_implIS3_Lb0ELb0EPhS7_N6thrust23THRUST_200600_302600_NS5minusIhEEEE10hipError_tPvRmT2_T3_mT4_P12ihipStream_tbEUlT_E_NS1_11comp_targetILNS1_3genE0ELNS1_11target_archE4294967295ELNS1_3gpuE0ELNS1_3repE0EEENS1_30default_config_static_selectorELNS0_4arch9wavefront6targetE1EEEvT1_,comdat
.Lfunc_end263:
	.size	_ZN7rocprim17ROCPRIM_400000_NS6detail17trampoline_kernelINS0_14default_configENS1_35adjacent_difference_config_selectorILb0EhEEZNS1_24adjacent_difference_implIS3_Lb0ELb0EPhS7_N6thrust23THRUST_200600_302600_NS5minusIhEEEE10hipError_tPvRmT2_T3_mT4_P12ihipStream_tbEUlT_E_NS1_11comp_targetILNS1_3genE0ELNS1_11target_archE4294967295ELNS1_3gpuE0ELNS1_3repE0EEENS1_30default_config_static_selectorELNS0_4arch9wavefront6targetE1EEEvT1_, .Lfunc_end263-_ZN7rocprim17ROCPRIM_400000_NS6detail17trampoline_kernelINS0_14default_configENS1_35adjacent_difference_config_selectorILb0EhEEZNS1_24adjacent_difference_implIS3_Lb0ELb0EPhS7_N6thrust23THRUST_200600_302600_NS5minusIhEEEE10hipError_tPvRmT2_T3_mT4_P12ihipStream_tbEUlT_E_NS1_11comp_targetILNS1_3genE0ELNS1_11target_archE4294967295ELNS1_3gpuE0ELNS1_3repE0EEENS1_30default_config_static_selectorELNS0_4arch9wavefront6targetE1EEEvT1_
                                        ; -- End function
	.section	.AMDGPU.csdata,"",@progbits
; Kernel info:
; codeLenInByte = 0
; NumSgprs: 6
; NumVgprs: 0
; NumAgprs: 0
; TotalNumVgprs: 0
; ScratchSize: 0
; MemoryBound: 0
; FloatMode: 240
; IeeeMode: 1
; LDSByteSize: 0 bytes/workgroup (compile time only)
; SGPRBlocks: 0
; VGPRBlocks: 0
; NumSGPRsForWavesPerEU: 6
; NumVGPRsForWavesPerEU: 1
; AccumOffset: 4
; Occupancy: 8
; WaveLimiterHint : 0
; COMPUTE_PGM_RSRC2:SCRATCH_EN: 0
; COMPUTE_PGM_RSRC2:USER_SGPR: 2
; COMPUTE_PGM_RSRC2:TRAP_HANDLER: 0
; COMPUTE_PGM_RSRC2:TGID_X_EN: 1
; COMPUTE_PGM_RSRC2:TGID_Y_EN: 0
; COMPUTE_PGM_RSRC2:TGID_Z_EN: 0
; COMPUTE_PGM_RSRC2:TIDIG_COMP_CNT: 0
; COMPUTE_PGM_RSRC3_GFX90A:ACCUM_OFFSET: 0
; COMPUTE_PGM_RSRC3_GFX90A:TG_SPLIT: 0
	.section	.text._ZN7rocprim17ROCPRIM_400000_NS6detail17trampoline_kernelINS0_14default_configENS1_35adjacent_difference_config_selectorILb0EhEEZNS1_24adjacent_difference_implIS3_Lb0ELb0EPhS7_N6thrust23THRUST_200600_302600_NS5minusIhEEEE10hipError_tPvRmT2_T3_mT4_P12ihipStream_tbEUlT_E_NS1_11comp_targetILNS1_3genE10ELNS1_11target_archE1201ELNS1_3gpuE5ELNS1_3repE0EEENS1_30default_config_static_selectorELNS0_4arch9wavefront6targetE1EEEvT1_,"axG",@progbits,_ZN7rocprim17ROCPRIM_400000_NS6detail17trampoline_kernelINS0_14default_configENS1_35adjacent_difference_config_selectorILb0EhEEZNS1_24adjacent_difference_implIS3_Lb0ELb0EPhS7_N6thrust23THRUST_200600_302600_NS5minusIhEEEE10hipError_tPvRmT2_T3_mT4_P12ihipStream_tbEUlT_E_NS1_11comp_targetILNS1_3genE10ELNS1_11target_archE1201ELNS1_3gpuE5ELNS1_3repE0EEENS1_30default_config_static_selectorELNS0_4arch9wavefront6targetE1EEEvT1_,comdat
	.protected	_ZN7rocprim17ROCPRIM_400000_NS6detail17trampoline_kernelINS0_14default_configENS1_35adjacent_difference_config_selectorILb0EhEEZNS1_24adjacent_difference_implIS3_Lb0ELb0EPhS7_N6thrust23THRUST_200600_302600_NS5minusIhEEEE10hipError_tPvRmT2_T3_mT4_P12ihipStream_tbEUlT_E_NS1_11comp_targetILNS1_3genE10ELNS1_11target_archE1201ELNS1_3gpuE5ELNS1_3repE0EEENS1_30default_config_static_selectorELNS0_4arch9wavefront6targetE1EEEvT1_ ; -- Begin function _ZN7rocprim17ROCPRIM_400000_NS6detail17trampoline_kernelINS0_14default_configENS1_35adjacent_difference_config_selectorILb0EhEEZNS1_24adjacent_difference_implIS3_Lb0ELb0EPhS7_N6thrust23THRUST_200600_302600_NS5minusIhEEEE10hipError_tPvRmT2_T3_mT4_P12ihipStream_tbEUlT_E_NS1_11comp_targetILNS1_3genE10ELNS1_11target_archE1201ELNS1_3gpuE5ELNS1_3repE0EEENS1_30default_config_static_selectorELNS0_4arch9wavefront6targetE1EEEvT1_
	.globl	_ZN7rocprim17ROCPRIM_400000_NS6detail17trampoline_kernelINS0_14default_configENS1_35adjacent_difference_config_selectorILb0EhEEZNS1_24adjacent_difference_implIS3_Lb0ELb0EPhS7_N6thrust23THRUST_200600_302600_NS5minusIhEEEE10hipError_tPvRmT2_T3_mT4_P12ihipStream_tbEUlT_E_NS1_11comp_targetILNS1_3genE10ELNS1_11target_archE1201ELNS1_3gpuE5ELNS1_3repE0EEENS1_30default_config_static_selectorELNS0_4arch9wavefront6targetE1EEEvT1_
	.p2align	8
	.type	_ZN7rocprim17ROCPRIM_400000_NS6detail17trampoline_kernelINS0_14default_configENS1_35adjacent_difference_config_selectorILb0EhEEZNS1_24adjacent_difference_implIS3_Lb0ELb0EPhS7_N6thrust23THRUST_200600_302600_NS5minusIhEEEE10hipError_tPvRmT2_T3_mT4_P12ihipStream_tbEUlT_E_NS1_11comp_targetILNS1_3genE10ELNS1_11target_archE1201ELNS1_3gpuE5ELNS1_3repE0EEENS1_30default_config_static_selectorELNS0_4arch9wavefront6targetE1EEEvT1_,@function
_ZN7rocprim17ROCPRIM_400000_NS6detail17trampoline_kernelINS0_14default_configENS1_35adjacent_difference_config_selectorILb0EhEEZNS1_24adjacent_difference_implIS3_Lb0ELb0EPhS7_N6thrust23THRUST_200600_302600_NS5minusIhEEEE10hipError_tPvRmT2_T3_mT4_P12ihipStream_tbEUlT_E_NS1_11comp_targetILNS1_3genE10ELNS1_11target_archE1201ELNS1_3gpuE5ELNS1_3repE0EEENS1_30default_config_static_selectorELNS0_4arch9wavefront6targetE1EEEvT1_: ; @_ZN7rocprim17ROCPRIM_400000_NS6detail17trampoline_kernelINS0_14default_configENS1_35adjacent_difference_config_selectorILb0EhEEZNS1_24adjacent_difference_implIS3_Lb0ELb0EPhS7_N6thrust23THRUST_200600_302600_NS5minusIhEEEE10hipError_tPvRmT2_T3_mT4_P12ihipStream_tbEUlT_E_NS1_11comp_targetILNS1_3genE10ELNS1_11target_archE1201ELNS1_3gpuE5ELNS1_3repE0EEENS1_30default_config_static_selectorELNS0_4arch9wavefront6targetE1EEEvT1_
; %bb.0:
	.section	.rodata,"a",@progbits
	.p2align	6, 0x0
	.amdhsa_kernel _ZN7rocprim17ROCPRIM_400000_NS6detail17trampoline_kernelINS0_14default_configENS1_35adjacent_difference_config_selectorILb0EhEEZNS1_24adjacent_difference_implIS3_Lb0ELb0EPhS7_N6thrust23THRUST_200600_302600_NS5minusIhEEEE10hipError_tPvRmT2_T3_mT4_P12ihipStream_tbEUlT_E_NS1_11comp_targetILNS1_3genE10ELNS1_11target_archE1201ELNS1_3gpuE5ELNS1_3repE0EEENS1_30default_config_static_selectorELNS0_4arch9wavefront6targetE1EEEvT1_
		.amdhsa_group_segment_fixed_size 0
		.amdhsa_private_segment_fixed_size 0
		.amdhsa_kernarg_size 56
		.amdhsa_user_sgpr_count 2
		.amdhsa_user_sgpr_dispatch_ptr 0
		.amdhsa_user_sgpr_queue_ptr 0
		.amdhsa_user_sgpr_kernarg_segment_ptr 1
		.amdhsa_user_sgpr_dispatch_id 0
		.amdhsa_user_sgpr_kernarg_preload_length 0
		.amdhsa_user_sgpr_kernarg_preload_offset 0
		.amdhsa_user_sgpr_private_segment_size 0
		.amdhsa_uses_dynamic_stack 0
		.amdhsa_enable_private_segment 0
		.amdhsa_system_sgpr_workgroup_id_x 1
		.amdhsa_system_sgpr_workgroup_id_y 0
		.amdhsa_system_sgpr_workgroup_id_z 0
		.amdhsa_system_sgpr_workgroup_info 0
		.amdhsa_system_vgpr_workitem_id 0
		.amdhsa_next_free_vgpr 1
		.amdhsa_next_free_sgpr 0
		.amdhsa_accum_offset 4
		.amdhsa_reserve_vcc 0
		.amdhsa_float_round_mode_32 0
		.amdhsa_float_round_mode_16_64 0
		.amdhsa_float_denorm_mode_32 3
		.amdhsa_float_denorm_mode_16_64 3
		.amdhsa_dx10_clamp 1
		.amdhsa_ieee_mode 1
		.amdhsa_fp16_overflow 0
		.amdhsa_tg_split 0
		.amdhsa_exception_fp_ieee_invalid_op 0
		.amdhsa_exception_fp_denorm_src 0
		.amdhsa_exception_fp_ieee_div_zero 0
		.amdhsa_exception_fp_ieee_overflow 0
		.amdhsa_exception_fp_ieee_underflow 0
		.amdhsa_exception_fp_ieee_inexact 0
		.amdhsa_exception_int_div_zero 0
	.end_amdhsa_kernel
	.section	.text._ZN7rocprim17ROCPRIM_400000_NS6detail17trampoline_kernelINS0_14default_configENS1_35adjacent_difference_config_selectorILb0EhEEZNS1_24adjacent_difference_implIS3_Lb0ELb0EPhS7_N6thrust23THRUST_200600_302600_NS5minusIhEEEE10hipError_tPvRmT2_T3_mT4_P12ihipStream_tbEUlT_E_NS1_11comp_targetILNS1_3genE10ELNS1_11target_archE1201ELNS1_3gpuE5ELNS1_3repE0EEENS1_30default_config_static_selectorELNS0_4arch9wavefront6targetE1EEEvT1_,"axG",@progbits,_ZN7rocprim17ROCPRIM_400000_NS6detail17trampoline_kernelINS0_14default_configENS1_35adjacent_difference_config_selectorILb0EhEEZNS1_24adjacent_difference_implIS3_Lb0ELb0EPhS7_N6thrust23THRUST_200600_302600_NS5minusIhEEEE10hipError_tPvRmT2_T3_mT4_P12ihipStream_tbEUlT_E_NS1_11comp_targetILNS1_3genE10ELNS1_11target_archE1201ELNS1_3gpuE5ELNS1_3repE0EEENS1_30default_config_static_selectorELNS0_4arch9wavefront6targetE1EEEvT1_,comdat
.Lfunc_end264:
	.size	_ZN7rocprim17ROCPRIM_400000_NS6detail17trampoline_kernelINS0_14default_configENS1_35adjacent_difference_config_selectorILb0EhEEZNS1_24adjacent_difference_implIS3_Lb0ELb0EPhS7_N6thrust23THRUST_200600_302600_NS5minusIhEEEE10hipError_tPvRmT2_T3_mT4_P12ihipStream_tbEUlT_E_NS1_11comp_targetILNS1_3genE10ELNS1_11target_archE1201ELNS1_3gpuE5ELNS1_3repE0EEENS1_30default_config_static_selectorELNS0_4arch9wavefront6targetE1EEEvT1_, .Lfunc_end264-_ZN7rocprim17ROCPRIM_400000_NS6detail17trampoline_kernelINS0_14default_configENS1_35adjacent_difference_config_selectorILb0EhEEZNS1_24adjacent_difference_implIS3_Lb0ELb0EPhS7_N6thrust23THRUST_200600_302600_NS5minusIhEEEE10hipError_tPvRmT2_T3_mT4_P12ihipStream_tbEUlT_E_NS1_11comp_targetILNS1_3genE10ELNS1_11target_archE1201ELNS1_3gpuE5ELNS1_3repE0EEENS1_30default_config_static_selectorELNS0_4arch9wavefront6targetE1EEEvT1_
                                        ; -- End function
	.section	.AMDGPU.csdata,"",@progbits
; Kernel info:
; codeLenInByte = 0
; NumSgprs: 6
; NumVgprs: 0
; NumAgprs: 0
; TotalNumVgprs: 0
; ScratchSize: 0
; MemoryBound: 0
; FloatMode: 240
; IeeeMode: 1
; LDSByteSize: 0 bytes/workgroup (compile time only)
; SGPRBlocks: 0
; VGPRBlocks: 0
; NumSGPRsForWavesPerEU: 6
; NumVGPRsForWavesPerEU: 1
; AccumOffset: 4
; Occupancy: 8
; WaveLimiterHint : 0
; COMPUTE_PGM_RSRC2:SCRATCH_EN: 0
; COMPUTE_PGM_RSRC2:USER_SGPR: 2
; COMPUTE_PGM_RSRC2:TRAP_HANDLER: 0
; COMPUTE_PGM_RSRC2:TGID_X_EN: 1
; COMPUTE_PGM_RSRC2:TGID_Y_EN: 0
; COMPUTE_PGM_RSRC2:TGID_Z_EN: 0
; COMPUTE_PGM_RSRC2:TIDIG_COMP_CNT: 0
; COMPUTE_PGM_RSRC3_GFX90A:ACCUM_OFFSET: 0
; COMPUTE_PGM_RSRC3_GFX90A:TG_SPLIT: 0
	.section	.text._ZN7rocprim17ROCPRIM_400000_NS6detail17trampoline_kernelINS0_14default_configENS1_35adjacent_difference_config_selectorILb0EhEEZNS1_24adjacent_difference_implIS3_Lb0ELb0EPhS7_N6thrust23THRUST_200600_302600_NS5minusIhEEEE10hipError_tPvRmT2_T3_mT4_P12ihipStream_tbEUlT_E_NS1_11comp_targetILNS1_3genE5ELNS1_11target_archE942ELNS1_3gpuE9ELNS1_3repE0EEENS1_30default_config_static_selectorELNS0_4arch9wavefront6targetE1EEEvT1_,"axG",@progbits,_ZN7rocprim17ROCPRIM_400000_NS6detail17trampoline_kernelINS0_14default_configENS1_35adjacent_difference_config_selectorILb0EhEEZNS1_24adjacent_difference_implIS3_Lb0ELb0EPhS7_N6thrust23THRUST_200600_302600_NS5minusIhEEEE10hipError_tPvRmT2_T3_mT4_P12ihipStream_tbEUlT_E_NS1_11comp_targetILNS1_3genE5ELNS1_11target_archE942ELNS1_3gpuE9ELNS1_3repE0EEENS1_30default_config_static_selectorELNS0_4arch9wavefront6targetE1EEEvT1_,comdat
	.protected	_ZN7rocprim17ROCPRIM_400000_NS6detail17trampoline_kernelINS0_14default_configENS1_35adjacent_difference_config_selectorILb0EhEEZNS1_24adjacent_difference_implIS3_Lb0ELb0EPhS7_N6thrust23THRUST_200600_302600_NS5minusIhEEEE10hipError_tPvRmT2_T3_mT4_P12ihipStream_tbEUlT_E_NS1_11comp_targetILNS1_3genE5ELNS1_11target_archE942ELNS1_3gpuE9ELNS1_3repE0EEENS1_30default_config_static_selectorELNS0_4arch9wavefront6targetE1EEEvT1_ ; -- Begin function _ZN7rocprim17ROCPRIM_400000_NS6detail17trampoline_kernelINS0_14default_configENS1_35adjacent_difference_config_selectorILb0EhEEZNS1_24adjacent_difference_implIS3_Lb0ELb0EPhS7_N6thrust23THRUST_200600_302600_NS5minusIhEEEE10hipError_tPvRmT2_T3_mT4_P12ihipStream_tbEUlT_E_NS1_11comp_targetILNS1_3genE5ELNS1_11target_archE942ELNS1_3gpuE9ELNS1_3repE0EEENS1_30default_config_static_selectorELNS0_4arch9wavefront6targetE1EEEvT1_
	.globl	_ZN7rocprim17ROCPRIM_400000_NS6detail17trampoline_kernelINS0_14default_configENS1_35adjacent_difference_config_selectorILb0EhEEZNS1_24adjacent_difference_implIS3_Lb0ELb0EPhS7_N6thrust23THRUST_200600_302600_NS5minusIhEEEE10hipError_tPvRmT2_T3_mT4_P12ihipStream_tbEUlT_E_NS1_11comp_targetILNS1_3genE5ELNS1_11target_archE942ELNS1_3gpuE9ELNS1_3repE0EEENS1_30default_config_static_selectorELNS0_4arch9wavefront6targetE1EEEvT1_
	.p2align	8
	.type	_ZN7rocprim17ROCPRIM_400000_NS6detail17trampoline_kernelINS0_14default_configENS1_35adjacent_difference_config_selectorILb0EhEEZNS1_24adjacent_difference_implIS3_Lb0ELb0EPhS7_N6thrust23THRUST_200600_302600_NS5minusIhEEEE10hipError_tPvRmT2_T3_mT4_P12ihipStream_tbEUlT_E_NS1_11comp_targetILNS1_3genE5ELNS1_11target_archE942ELNS1_3gpuE9ELNS1_3repE0EEENS1_30default_config_static_selectorELNS0_4arch9wavefront6targetE1EEEvT1_,@function
_ZN7rocprim17ROCPRIM_400000_NS6detail17trampoline_kernelINS0_14default_configENS1_35adjacent_difference_config_selectorILb0EhEEZNS1_24adjacent_difference_implIS3_Lb0ELb0EPhS7_N6thrust23THRUST_200600_302600_NS5minusIhEEEE10hipError_tPvRmT2_T3_mT4_P12ihipStream_tbEUlT_E_NS1_11comp_targetILNS1_3genE5ELNS1_11target_archE942ELNS1_3gpuE9ELNS1_3repE0EEENS1_30default_config_static_selectorELNS0_4arch9wavefront6targetE1EEEvT1_: ; @_ZN7rocprim17ROCPRIM_400000_NS6detail17trampoline_kernelINS0_14default_configENS1_35adjacent_difference_config_selectorILb0EhEEZNS1_24adjacent_difference_implIS3_Lb0ELb0EPhS7_N6thrust23THRUST_200600_302600_NS5minusIhEEEE10hipError_tPvRmT2_T3_mT4_P12ihipStream_tbEUlT_E_NS1_11comp_targetILNS1_3genE5ELNS1_11target_archE942ELNS1_3gpuE9ELNS1_3repE0EEENS1_30default_config_static_selectorELNS0_4arch9wavefront6targetE1EEEvT1_
; %bb.0:
	s_load_dwordx8 s[8:15], s[0:1], 0x0
	s_mov_b32 s4, 0x5ca1aca0
	v_bfrev_b32_e32 v1, 6
	s_movk_i32 s3, 0x980
	s_load_dwordx2 s[0:1], s[0:1], 0x30
	s_waitcnt lgkmcnt(0)
	s_add_u32 s6, s8, s10
	s_addc_u32 s7, s9, s11
	s_add_u32 s4, 0x14a, s4
	s_addc_u32 s5, 0, 0
	v_add_co_u32_e32 v1, vcc, s4, v1
	s_cmp_lg_u64 vcc, 0
	v_readfirstlane_b32 s8, v1
	s_addc_u32 s4, s5, 0x1af286
	s_mul_hi_u32 s9, s8, 0xfffff680
	s_mul_i32 s5, s4, 0xfffff680
	s_sub_i32 s9, s9, s8
	s_add_i32 s9, s9, s5
	s_mul_i32 s17, s8, 0xfffff680
	s_mul_hi_u32 s5, s8, s9
	s_mul_i32 s16, s8, s9
	s_mul_hi_u32 s8, s8, s17
	s_add_u32 s8, s8, s16
	s_addc_u32 s5, 0, s5
	s_mul_hi_u32 s18, s4, s17
	s_mul_i32 s17, s4, s17
	s_add_u32 s8, s8, s17
	s_mul_hi_u32 s16, s4, s9
	s_addc_u32 s5, s5, s18
	s_addc_u32 s8, s16, 0
	s_mul_i32 s9, s4, s9
	s_add_u32 s5, s5, s9
	s_addc_u32 s8, 0, s8
	v_add_co_u32_e32 v1, vcc, s5, v1
	s_cmp_lg_u64 vcc, 0
	s_addc_u32 s4, s4, s8
	v_readfirstlane_b32 s9, v1
	s_mul_i32 s8, s14, s4
	s_mul_hi_u32 s16, s14, s9
	s_mul_hi_u32 s5, s14, s4
	s_add_u32 s8, s16, s8
	s_addc_u32 s5, 0, s5
	s_mul_hi_u32 s17, s15, s9
	s_mul_i32 s9, s15, s9
	s_add_u32 s8, s8, s9
	s_mul_hi_u32 s16, s15, s4
	s_addc_u32 s5, s5, s17
	s_addc_u32 s8, s16, 0
	s_mul_i32 s4, s15, s4
	s_add_u32 s4, s5, s4
	s_addc_u32 s5, 0, s8
	s_add_u32 s8, s4, 1
	s_addc_u32 s9, s5, 0
	s_add_u32 s16, s4, 2
	s_mul_i32 s18, s5, 0x980
	s_mul_hi_u32 s19, s4, 0x980
	s_addc_u32 s17, s5, 0
	s_add_i32 s19, s19, s18
	s_mul_i32 s18, s4, 0x980
	v_mov_b32_e32 v1, s18
	v_sub_co_u32_e32 v1, vcc, s14, v1
	s_cmp_lg_u64 vcc, 0
	s_subb_u32 s18, s15, s19
	v_subrev_co_u32_e32 v2, vcc, s3, v1
	s_cmp_lg_u64 vcc, 0
	s_subb_u32 s3, s18, 0
	v_readfirstlane_b32 s19, v2
	s_cmpk_gt_u32 s19, 0x97f
	s_cselect_b32 s19, -1, 0
	s_cmp_eq_u32 s3, 0
	s_cselect_b32 s3, s19, -1
	s_cmp_lg_u32 s3, 0
	s_cselect_b32 s3, s16, s8
	s_cselect_b32 s8, s17, s9
	v_readfirstlane_b32 s9, v1
	s_cmpk_gt_u32 s9, 0x97f
	s_cselect_b32 s9, -1, 0
	s_cmp_eq_u32 s18, 0
	s_cselect_b32 s9, s9, -1
	s_cmp_lg_u32 s9, 0
	s_cselect_b32 s8, s8, s5
	s_cselect_b32 s3, s3, s4
	s_mul_i32 s4, s8, 0x980
	s_mul_hi_u32 s5, s3, 0x980
	s_add_i32 s5, s5, s4
	s_mul_i32 s4, s3, 0x980
	s_sub_u32 s4, s14, s4
	s_subb_u32 s5, s15, s5
	s_cmp_lg_u64 s[4:5], 0
	s_cselect_b64 s[4:5], -1, 0
	v_cndmask_b32_e64 v1, 0, 1, s[4:5]
	s_mul_i32 s20, s2, 0x980
	v_readfirstlane_b32 s4, v1
	s_add_u32 s4, s3, s4
	s_addc_u32 s5, s8, 0
	s_add_u32 s2, s0, s2
	s_addc_u32 s3, s1, 0
	s_add_u32 s8, s4, -1
	s_addc_u32 s9, s5, -1
	v_mov_b64_e32 v[2:3], s[8:9]
	v_cmp_ge_u64_e64 s[0:1], s[2:3], v[2:3]
	s_mov_b64 s[16:17], -1
	s_and_b64 vcc, exec, s[0:1]
	s_mul_i32 s15, s8, 0xfffff680
	s_cbranch_vccz .LBB265_40
; %bb.1:
	s_add_i32 s21, s15, s14
	s_add_u32 s16, s6, s20
	s_addc_u32 s17, s7, 0
	v_cmp_gt_u32_e32 vcc, s21, v0
                                        ; implicit-def: $vgpr1
	s_and_saveexec_b64 s[18:19], vcc
	s_cbranch_execz .LBB265_3
; %bb.2:
	global_load_ubyte v1, v0, s[16:17]
.LBB265_3:
	s_or_b64 exec, exec, s[18:19]
	v_or_b32_e32 v2, 0x80, v0
	v_cmp_gt_u32_e32 vcc, s21, v2
                                        ; implicit-def: $vgpr2
	s_and_saveexec_b64 s[18:19], vcc
	s_cbranch_execz .LBB265_5
; %bb.4:
	global_load_ubyte v2, v0, s[16:17] offset:128
.LBB265_5:
	s_or_b64 exec, exec, s[18:19]
	v_or_b32_e32 v3, 0x100, v0
	v_cmp_gt_u32_e32 vcc, s21, v3
                                        ; implicit-def: $vgpr3
	s_and_saveexec_b64 s[18:19], vcc
	s_cbranch_execz .LBB265_7
; %bb.6:
	global_load_ubyte v3, v0, s[16:17] offset:256
.LBB265_7:
	s_or_b64 exec, exec, s[18:19]
	v_or_b32_e32 v4, 0x180, v0
	v_cmp_gt_u32_e32 vcc, s21, v4
                                        ; implicit-def: $vgpr4
	s_and_saveexec_b64 s[18:19], vcc
	s_cbranch_execz .LBB265_9
; %bb.8:
	global_load_ubyte v4, v0, s[16:17] offset:384
.LBB265_9:
	s_or_b64 exec, exec, s[18:19]
	v_or_b32_e32 v5, 0x200, v0
	v_cmp_gt_u32_e32 vcc, s21, v5
                                        ; implicit-def: $vgpr5
	s_and_saveexec_b64 s[18:19], vcc
	s_cbranch_execz .LBB265_11
; %bb.10:
	global_load_ubyte v5, v0, s[16:17] offset:512
.LBB265_11:
	s_or_b64 exec, exec, s[18:19]
	v_or_b32_e32 v6, 0x280, v0
	v_cmp_gt_u32_e32 vcc, s21, v6
                                        ; implicit-def: $vgpr6
	s_and_saveexec_b64 s[18:19], vcc
	s_cbranch_execz .LBB265_13
; %bb.12:
	global_load_ubyte v6, v0, s[16:17] offset:640
.LBB265_13:
	s_or_b64 exec, exec, s[18:19]
	v_or_b32_e32 v7, 0x300, v0
	v_cmp_gt_u32_e32 vcc, s21, v7
                                        ; implicit-def: $vgpr7
	s_and_saveexec_b64 s[18:19], vcc
	s_cbranch_execz .LBB265_15
; %bb.14:
	global_load_ubyte v7, v0, s[16:17] offset:768
.LBB265_15:
	s_or_b64 exec, exec, s[18:19]
	v_or_b32_e32 v8, 0x380, v0
	v_cmp_gt_u32_e32 vcc, s21, v8
                                        ; implicit-def: $vgpr8
	s_and_saveexec_b64 s[18:19], vcc
	s_cbranch_execz .LBB265_17
; %bb.16:
	global_load_ubyte v8, v0, s[16:17] offset:896
.LBB265_17:
	s_or_b64 exec, exec, s[18:19]
	v_or_b32_e32 v9, 0x400, v0
	v_cmp_gt_u32_e32 vcc, s21, v9
                                        ; implicit-def: $vgpr9
	s_and_saveexec_b64 s[18:19], vcc
	s_cbranch_execz .LBB265_19
; %bb.18:
	global_load_ubyte v9, v0, s[16:17] offset:1024
.LBB265_19:
	s_or_b64 exec, exec, s[18:19]
	v_or_b32_e32 v10, 0x480, v0
	v_cmp_gt_u32_e32 vcc, s21, v10
                                        ; implicit-def: $vgpr10
	s_and_saveexec_b64 s[18:19], vcc
	s_cbranch_execz .LBB265_21
; %bb.20:
	global_load_ubyte v10, v0, s[16:17] offset:1152
.LBB265_21:
	s_or_b64 exec, exec, s[18:19]
	v_or_b32_e32 v11, 0x500, v0
	v_cmp_gt_u32_e32 vcc, s21, v11
                                        ; implicit-def: $vgpr11
	s_and_saveexec_b64 s[18:19], vcc
	s_cbranch_execz .LBB265_23
; %bb.22:
	global_load_ubyte v11, v0, s[16:17] offset:1280
.LBB265_23:
	s_or_b64 exec, exec, s[18:19]
	v_or_b32_e32 v12, 0x580, v0
	v_cmp_gt_u32_e32 vcc, s21, v12
                                        ; implicit-def: $vgpr12
	s_and_saveexec_b64 s[18:19], vcc
	s_cbranch_execz .LBB265_25
; %bb.24:
	global_load_ubyte v12, v0, s[16:17] offset:1408
.LBB265_25:
	s_or_b64 exec, exec, s[18:19]
	v_or_b32_e32 v13, 0x600, v0
	v_cmp_gt_u32_e32 vcc, s21, v13
                                        ; implicit-def: $vgpr13
	s_and_saveexec_b64 s[18:19], vcc
	s_cbranch_execz .LBB265_27
; %bb.26:
	global_load_ubyte v13, v0, s[16:17] offset:1536
.LBB265_27:
	s_or_b64 exec, exec, s[18:19]
	v_or_b32_e32 v14, 0x680, v0
	v_cmp_gt_u32_e32 vcc, s21, v14
                                        ; implicit-def: $vgpr14
	s_and_saveexec_b64 s[18:19], vcc
	s_cbranch_execz .LBB265_29
; %bb.28:
	global_load_ubyte v14, v0, s[16:17] offset:1664
.LBB265_29:
	s_or_b64 exec, exec, s[18:19]
	v_or_b32_e32 v15, 0x700, v0
	v_cmp_gt_u32_e32 vcc, s21, v15
                                        ; implicit-def: $vgpr15
	s_and_saveexec_b64 s[18:19], vcc
	s_cbranch_execz .LBB265_31
; %bb.30:
	global_load_ubyte v15, v0, s[16:17] offset:1792
.LBB265_31:
	s_or_b64 exec, exec, s[18:19]
	v_or_b32_e32 v16, 0x780, v0
	v_cmp_gt_u32_e32 vcc, s21, v16
                                        ; implicit-def: $vgpr16
	s_and_saveexec_b64 s[18:19], vcc
	s_cbranch_execz .LBB265_33
; %bb.32:
	global_load_ubyte v16, v0, s[16:17] offset:1920
.LBB265_33:
	s_or_b64 exec, exec, s[18:19]
	v_or_b32_e32 v17, 0x800, v0
	v_cmp_gt_u32_e32 vcc, s21, v17
                                        ; implicit-def: $vgpr17
	s_and_saveexec_b64 s[18:19], vcc
	s_cbranch_execz .LBB265_35
; %bb.34:
	global_load_ubyte v17, v0, s[16:17] offset:2048
.LBB265_35:
	s_or_b64 exec, exec, s[18:19]
	v_or_b32_e32 v18, 0x880, v0
	v_cmp_gt_u32_e32 vcc, s21, v18
                                        ; implicit-def: $vgpr18
	s_and_saveexec_b64 s[18:19], vcc
	s_cbranch_execz .LBB265_37
; %bb.36:
	global_load_ubyte v18, v0, s[16:17] offset:2176
.LBB265_37:
	s_or_b64 exec, exec, s[18:19]
	v_or_b32_e32 v19, 0x900, v0
	v_cmp_gt_u32_e32 vcc, s21, v19
                                        ; implicit-def: $vgpr19
	s_and_saveexec_b64 s[18:19], vcc
	s_cbranch_execz .LBB265_39
; %bb.38:
	global_load_ubyte v19, v0, s[16:17] offset:2304
.LBB265_39:
	s_or_b64 exec, exec, s[18:19]
	s_mov_b64 s[16:17], 0
	s_waitcnt vmcnt(0)
	ds_write_b8 v0, v1
	ds_write_b8 v0, v2 offset:128
	ds_write_b8 v0, v3 offset:256
	;; [unrolled: 1-line block ×18, first 2 shown]
	s_waitcnt lgkmcnt(0)
	s_barrier
.LBB265_40:
	s_and_b64 vcc, exec, s[16:17]
	s_cbranch_vccz .LBB265_42
; %bb.41:
	s_add_u32 s16, s6, s20
	s_addc_u32 s17, s7, 0
	global_load_ubyte v1, v0, s[16:17]
	global_load_ubyte v2, v0, s[16:17] offset:128
	global_load_ubyte v3, v0, s[16:17] offset:256
	;; [unrolled: 1-line block ×18, first 2 shown]
	s_waitcnt vmcnt(18)
	ds_write_b8 v0, v1
	s_waitcnt vmcnt(17)
	ds_write_b8 v0, v2 offset:128
	s_waitcnt vmcnt(16)
	ds_write_b8 v0, v3 offset:256
	;; [unrolled: 2-line block ×18, first 2 shown]
	s_waitcnt lgkmcnt(0)
	s_barrier
.LBB265_42:
	v_mul_u32_u24_e32 v1, 19, v0
	ds_read_u8 v7, v1
	ds_read_b64 v[4:5], v1 offset:1
	ds_read_u8 v6, v1 offset:9
	ds_read_b64 v[2:3], v1 offset:10
	ds_read_u8 v1, v1 offset:18
	s_cmp_eq_u64 s[2:3], 0
	s_waitcnt lgkmcnt(0)
	s_barrier
	s_cbranch_scc1 .LBB265_47
; %bb.43:
	v_mov_b32_e32 v8, s20
	global_load_ubyte v12, v8, s[6:7] offset:-1
	s_cmp_eq_u64 s[2:3], s[8:9]
	s_cbranch_scc1 .LBB265_48
; %bb.44:
	v_cmp_ne_u32_e32 vcc, 0, v0
	s_waitcnt vmcnt(0)
	v_mov_b32_e32 v8, v12
	ds_write_b8 v0, v1
	s_waitcnt lgkmcnt(0)
	s_barrier
	s_and_saveexec_b64 s[6:7], vcc
	s_cbranch_execz .LBB265_46
; %bb.45:
	v_add_u32_e32 v8, -1, v0
	ds_read_u8 v8, v8
.LBB265_46:
	s_or_b64 exec, exec, s[6:7]
	v_lshrrev_b32_e32 v9, 16, v4
	v_lshlrev_b16_e32 v13, 8, v4
	v_lshlrev_b16_e32 v15, 8, v9
	v_mov_b32_e32 v18, 8
	v_lshrrev_b32_e32 v9, 16, v2
	v_lshrrev_b32_sdwa v13, v18, v13 dst_sel:BYTE_1 dst_unused:UNUSED_PAD src0_sel:DWORD src1_sel:DWORD
	v_lshrrev_b32_sdwa v15, v18, v15 dst_sel:BYTE_1 dst_unused:UNUSED_PAD src0_sel:DWORD src1_sel:DWORD
	v_lshlrev_b16_e32 v16, 8, v2
	v_lshlrev_b16_e32 v17, 8, v9
	v_or_b32_sdwa v13, v7, v13 dst_sel:DWORD dst_unused:UNUSED_PAD src0_sel:BYTE_0 src1_sel:DWORD
	v_or_b32_sdwa v15, v4, v15 dst_sel:WORD_1 dst_unused:UNUSED_PAD src0_sel:BYTE_1 src1_sel:DWORD
	s_mov_b32 s3, 0x2010007
	v_or_b32_sdwa v15, v13, v15 dst_sel:DWORD dst_unused:UNUSED_PAD src0_sel:WORD_0 src1_sel:DWORD
	v_lshrrev_b32_sdwa v13, v18, v16 dst_sel:BYTE_1 dst_unused:UNUSED_PAD src0_sel:DWORD src1_sel:DWORD
	v_lshrrev_b32_sdwa v16, v18, v17 dst_sel:BYTE_1 dst_unused:UNUSED_PAD src0_sel:DWORD src1_sel:DWORD
	v_or_b32_sdwa v13, v6, v13 dst_sel:DWORD dst_unused:UNUSED_PAD src0_sel:BYTE_0 src1_sel:DWORD
	v_or_b32_sdwa v16, v2, v16 dst_sel:WORD_1 dst_unused:UNUSED_PAD src0_sel:BYTE_1 src1_sel:DWORD
	s_waitcnt lgkmcnt(0)
	v_sub_u16_e32 v8, v7, v8
	v_perm_b32 v14, v4, v5, s3
	v_lshrrev_b32_e32 v10, 24, v5
	v_perm_b32 v11, v2, v3, s3
	v_lshrrev_b32_e32 v9, 24, v3
	v_or_b32_sdwa v13, v13, v16 dst_sel:DWORD dst_unused:UNUSED_PAD src0_sel:WORD_0 src1_sel:DWORD
	s_branch .LBB265_52
.LBB265_47:
                                        ; implicit-def: $vgpr11
                                        ; implicit-def: $vgpr13
                                        ; implicit-def: $vgpr14
                                        ; implicit-def: $vgpr15
                                        ; implicit-def: $vgpr8
                                        ; implicit-def: $vgpr10
                                        ; implicit-def: $vgpr9
	s_branch .LBB265_53
.LBB265_48:
                                        ; implicit-def: $vgpr11
                                        ; implicit-def: $vgpr13
                                        ; implicit-def: $vgpr14
                                        ; implicit-def: $vgpr15
                                        ; implicit-def: $vgpr8
                                        ; implicit-def: $vgpr10
                                        ; implicit-def: $vgpr9
	s_cbranch_execz .LBB265_52
; %bb.49:
	v_mul_u32_u24_e32 v8, 19, v0
	v_cmp_ne_u32_e32 vcc, 0, v0
	ds_write_b8 v0, v1
	s_waitcnt lgkmcnt(0)
	s_barrier
	s_and_saveexec_b64 s[6:7], vcc
	s_cbranch_execz .LBB265_51
; %bb.50:
	v_add_u32_e32 v9, -1, v0
	s_waitcnt vmcnt(0)
	ds_read_u8 v12, v9
.LBB265_51:
	s_or_b64 exec, exec, s[6:7]
	s_mulk_i32 s2, 0xf680
	s_add_i32 s2, s2, s14
	v_add_u32_e32 v9, 18, v8
	v_lshrrev_b32_e32 v21, 24, v3
	v_cmp_gt_u32_e32 vcc, s2, v9
	v_lshrrev_b16_e32 v20, 8, v3
	v_add_u32_e32 v22, 17, v8
	v_cndmask_b32_e32 v9, 0, v21, vcc
	v_add_u32_e32 v21, 16, v8
	v_cmp_gt_u32_e32 vcc, s2, v21
	v_lshrrev_b32_e32 v19, 16, v3
	v_add_u32_e32 v23, 14, v8
	v_cndmask_b32_e32 v20, 0, v20, vcc
	v_cmp_gt_u32_e32 vcc, s2, v22
	v_lshrrev_b32_e32 v18, 24, v2
	v_add_u32_e32 v24, 15, v8
	v_cndmask_b32_e32 v19, 0, v19, vcc
	v_cmp_gt_u32_e32 vcc, s2, v23
	v_add_u32_e32 v25, 12, v8
	v_lshrrev_b16_e32 v17, 8, v2
	v_cndmask_b32_e32 v18, 0, v18, vcc
	v_cmp_gt_u32_e32 vcc, s2, v24
	v_add_u32_e32 v26, 13, v8
	v_lshrrev_b32_e32 v10, 16, v2
	v_cndmask_b32_e32 v22, 0, v3, vcc
	v_cmp_gt_u32_e32 vcc, s2, v25
	v_add_u32_e32 v27, 11, v8
	v_add_u32_e32 v28, 10, v8
	v_cndmask_b32_e32 v17, 0, v17, vcc
	v_cmp_gt_u32_e32 vcc, s2, v26
	v_lshrrev_b32_e32 v26, 24, v5
	v_lshrrev_b16_e32 v16, 8, v5
	v_cndmask_b32_e32 v10, 0, v10, vcc
	v_cmp_gt_u32_e32 vcc, s2, v27
	v_lshlrev_b16_e32 v23, 8, v10
	v_add_u32_e32 v27, 8, v8
	v_cndmask_b32_e32 v10, 0, v2, vcc
	v_lshlrev_b16_e32 v24, 8, v10
	v_cmp_gt_u32_e32 vcc, s2, v28
	v_add_u32_e32 v10, 9, v8
	v_lshrrev_b32_e32 v15, 16, v5
	v_cndmask_b32_e32 v25, 0, v6, vcc
	v_cmp_gt_u32_e32 vcc, s2, v10
	v_add_u32_e32 v28, 5, v8
	v_lshrrev_b32_e32 v14, 24, v4
	v_cndmask_b32_e32 v10, 0, v26, vcc
	v_add_u32_e32 v26, 7, v8
	v_cmp_gt_u32_e32 vcc, s2, v26
	v_add_u32_e32 v29, 6, v8
	v_mov_b32_e32 v21, 8
	v_cndmask_b32_e32 v16, 0, v16, vcc
	v_cmp_gt_u32_e32 vcc, s2, v27
	v_add_u32_e32 v30, 3, v8
	v_lshrrev_b16_e32 v13, 8, v4
	v_cndmask_b32_e32 v15, 0, v15, vcc
	v_cmp_gt_u32_e32 vcc, s2, v28
	v_lshlrev_b16_e32 v15, 8, v15
	v_add_u32_e32 v31, 4, v8
	v_cndmask_b32_e32 v14, 0, v14, vcc
	v_cmp_gt_u32_e32 vcc, s2, v29
	v_lshrrev_b32_sdwa v26, v21, v15 dst_sel:BYTE_1 dst_unused:UNUSED_PAD src0_sel:DWORD src1_sel:DWORD
	v_lshrrev_b32_e32 v11, 16, v4
	v_cndmask_b32_e32 v15, 0, v5, vcc
	v_cmp_gt_u32_e32 vcc, s2, v30
	v_add_u32_e32 v32, 2, v8
	v_add_u32_e32 v33, 1, v8
	v_cndmask_b32_e32 v13, 0, v13, vcc
	v_cmp_gt_u32_e32 vcc, s2, v31
	v_lshlrev_b16_e32 v15, 8, v15
	v_lshrrev_b32_sdwa v27, v21, v15 dst_sel:BYTE_1 dst_unused:UNUSED_PAD src0_sel:DWORD src1_sel:DWORD
	v_cndmask_b32_e32 v11, 0, v11, vcc
	v_cmp_gt_u32_e32 vcc, s2, v32
	v_lshlrev_b16_e32 v11, 8, v11
	v_lshrrev_b32_sdwa v11, v21, v11 dst_sel:BYTE_1 dst_unused:UNUSED_PAD src0_sel:DWORD src1_sel:DWORD
	v_cndmask_b32_e32 v15, 0, v4, vcc
	v_cmp_gt_u32_e32 vcc, s2, v33
	v_lshlrev_b16_e32 v15, 8, v15
	v_or_b32_sdwa v11, v13, v11 dst_sel:WORD_1 dst_unused:UNUSED_PAD src0_sel:DWORD src1_sel:DWORD
	v_cndmask_b32_e32 v28, 0, v7, vcc
	v_cmp_gt_u32_e32 vcc, s2, v8
	v_lshlrev_b16_e32 v19, 8, v19
	v_lshlrev_b16_e32 v22, 8, v22
	s_waitcnt vmcnt(0) lgkmcnt(0)
	v_cndmask_b32_e32 v8, 0, v12, vcc
	v_lshrrev_b32_sdwa v12, v21, v15 dst_sel:BYTE_1 dst_unused:UNUSED_PAD src0_sel:DWORD src1_sel:DWORD
	v_lshrrev_b32_sdwa v19, v21, v19 dst_sel:BYTE_1 dst_unused:UNUSED_PAD src0_sel:DWORD src1_sel:DWORD
	v_or_b32_sdwa v12, v28, v12 dst_sel:DWORD dst_unused:UNUSED_PAD src0_sel:BYTE_0 src1_sel:DWORD
	v_or_b32_sdwa v15, v12, v11 dst_sel:DWORD dst_unused:UNUSED_PAD src0_sel:WORD_0 src1_sel:DWORD
	v_or_b32_e32 v11, v14, v27
	v_or_b32_sdwa v12, v16, v26 dst_sel:WORD_1 dst_unused:UNUSED_PAD src0_sel:DWORD src1_sel:DWORD
	v_lshrrev_b32_sdwa v22, v21, v22 dst_sel:BYTE_1 dst_unused:UNUSED_PAD src0_sel:DWORD src1_sel:DWORD
	v_or_b32_sdwa v14, v11, v12 dst_sel:DWORD dst_unused:UNUSED_PAD src0_sel:WORD_0 src1_sel:DWORD
	v_lshrrev_b32_sdwa v11, v21, v24 dst_sel:BYTE_1 dst_unused:UNUSED_PAD src0_sel:DWORD src1_sel:DWORD
	v_lshrrev_b32_sdwa v12, v21, v23 dst_sel:BYTE_1 dst_unused:UNUSED_PAD src0_sel:DWORD src1_sel:DWORD
	v_or_b32_sdwa v11, v25, v11 dst_sel:DWORD dst_unused:UNUSED_PAD src0_sel:BYTE_0 src1_sel:DWORD
	v_or_b32_sdwa v12, v17, v12 dst_sel:WORD_1 dst_unused:UNUSED_PAD src0_sel:DWORD src1_sel:DWORD
	v_sub_u16_e32 v8, v7, v8
	v_or_b32_sdwa v13, v11, v12 dst_sel:DWORD dst_unused:UNUSED_PAD src0_sel:WORD_0 src1_sel:DWORD
	v_or_b32_e32 v11, v18, v22
	v_or_b32_sdwa v12, v20, v19 dst_sel:WORD_1 dst_unused:UNUSED_PAD src0_sel:DWORD src1_sel:DWORD
	s_nop 0
	v_or_b32_sdwa v11, v11, v12 dst_sel:DWORD dst_unused:UNUSED_PAD src0_sel:WORD_0 src1_sel:DWORD
.LBB265_52:
	s_cbranch_execnz .LBB265_61
.LBB265_53:
	s_cmp_eq_u64 s[4:5], 1
	v_cmp_ne_u32_e32 vcc, 0, v0
	s_cbranch_scc1 .LBB265_57
; %bb.54:
	v_lshlrev_b16_e32 v8, 8, v4
	v_lshrrev_b32_e32 v9, 16, v4
	v_mov_b32_e32 v14, 8
	v_lshlrev_b16_e32 v9, 8, v9
	v_lshrrev_b32_sdwa v8, v14, v8 dst_sel:BYTE_1 dst_unused:UNUSED_PAD src0_sel:DWORD src1_sel:DWORD
	v_lshlrev_b16_e32 v10, 8, v2
	v_lshrrev_b32_e32 v11, 16, v2
	s_waitcnt vmcnt(0)
	v_or_b32_sdwa v12, v7, v8 dst_sel:DWORD dst_unused:UNUSED_PAD src0_sel:BYTE_0 src1_sel:DWORD
	v_lshrrev_b32_sdwa v8, v14, v9 dst_sel:BYTE_1 dst_unused:UNUSED_PAD src0_sel:DWORD src1_sel:DWORD
	v_lshlrev_b16_e32 v11, 8, v11
	v_or_b32_sdwa v13, v4, v8 dst_sel:WORD_1 dst_unused:UNUSED_PAD src0_sel:BYTE_1 src1_sel:DWORD
	v_lshrrev_b32_sdwa v8, v14, v10 dst_sel:BYTE_1 dst_unused:UNUSED_PAD src0_sel:DWORD src1_sel:DWORD
	s_mov_b32 s4, 0x2010007
	v_or_b32_sdwa v16, v6, v8 dst_sel:DWORD dst_unused:UNUSED_PAD src0_sel:BYTE_0 src1_sel:DWORD
	v_lshrrev_b32_sdwa v8, v14, v11 dst_sel:BYTE_1 dst_unused:UNUSED_PAD src0_sel:DWORD src1_sel:DWORD
	ds_write_b8 v0, v1
	v_or_b32_sdwa v17, v2, v8 dst_sel:WORD_1 dst_unused:UNUSED_PAD src0_sel:BYTE_1 src1_sel:DWORD
	v_mov_b32_e32 v8, v7
	s_waitcnt lgkmcnt(0)
	s_barrier
	s_and_saveexec_b64 s[2:3], vcc
	s_cbranch_execz .LBB265_56
; %bb.55:
	v_add_u32_e32 v8, -1, v0
	ds_read_u8 v8, v8
	s_waitcnt lgkmcnt(0)
	v_sub_u16_e32 v8, v7, v8
.LBB265_56:
	s_or_b64 exec, exec, s[2:3]
	v_perm_b32 v14, v4, v5, s4
	v_lshrrev_b32_e32 v10, 24, v5
	v_perm_b32 v11, v2, v3, s4
	v_lshrrev_b32_e32 v9, 24, v3
	v_or_b32_sdwa v15, v12, v13 dst_sel:DWORD dst_unused:UNUSED_PAD src0_sel:WORD_0 src1_sel:DWORD
	v_or_b32_sdwa v13, v16, v17 dst_sel:DWORD dst_unused:UNUSED_PAD src0_sel:WORD_0 src1_sel:DWORD
	s_cbranch_execz .LBB265_58
	s_branch .LBB265_61
.LBB265_57:
                                        ; implicit-def: $vgpr11
                                        ; implicit-def: $vgpr13
                                        ; implicit-def: $vgpr14
                                        ; implicit-def: $vgpr15
                                        ; implicit-def: $vgpr8
                                        ; implicit-def: $vgpr10
                                        ; implicit-def: $vgpr9
.LBB265_58:
	v_mad_u32_u24 v20, v0, 19, 16
	v_lshrrev_b16_e32 v18, 8, v3
	v_mad_u32_u24 v21, v0, 19, 17
	v_cmp_gt_u32_e64 s[2:3], s14, v20
	v_lshrrev_b32_e32 v17, 16, v3
	v_mad_u32_u24 v22, v0, 19, 14
	v_cndmask_b32_e64 v20, 0, v18, s[2:3]
	v_cmp_gt_u32_e64 s[2:3], s14, v21
	v_lshrrev_b32_e32 v16, 24, v2
	v_mad_u32_u24 v23, v0, 19, 15
	v_cndmask_b32_e64 v17, 0, v17, s[2:3]
	v_cmp_gt_u32_e64 s[2:3], s14, v22
	v_mad_u32_u24 v24, v0, 19, 12
	v_lshrrev_b16_e32 v15, 8, v2
	v_cndmask_b32_e64 v22, 0, v16, s[2:3]
	v_cmp_gt_u32_e64 s[2:3], s14, v23
	v_mad_u32_u24 v25, v0, 19, 13
	v_lshrrev_b32_e32 v10, 16, v2
	v_cndmask_b32_e64 v16, 0, v3, s[2:3]
	v_cmp_gt_u32_e64 s[2:3], s14, v24
	v_mad_u32_u24 v26, v0, 19, 11
	v_lshrrev_b16_e32 v14, 8, v5
	v_cndmask_b32_e64 v15, 0, v15, s[2:3]
	v_cmp_gt_u32_e64 s[2:3], s14, v25
	v_mad_u32_u24 v25, v0, 19, 7
	v_cmp_gt_u32_e64 s[4:5], s14, v25
	v_cndmask_b32_e64 v10, 0, v10, s[2:3]
	v_cmp_gt_u32_e64 s[2:3], s14, v26
	v_mad_u32_u24 v26, v0, 19, 8
	v_lshrrev_b32_e32 v13, 16, v5
	v_mad_u32_u24 v27, v0, 19, 10
	v_lshlrev_b16_e32 v17, 8, v17
	v_mov_b32_e32 v18, 8
	v_cndmask_b32_e64 v14, 0, v14, s[4:5]
	v_cmp_gt_u32_e64 s[4:5], s14, v26
	v_lshrrev_b32_sdwa v21, v18, v17 dst_sel:BYTE_1 dst_unused:UNUSED_PAD src0_sel:DWORD src1_sel:DWORD
	v_lshlrev_b16_e32 v17, 8, v10
	v_cndmask_b32_e64 v10, 0, v2, s[2:3]
	v_cmp_gt_u32_e64 s[2:3], s14, v27
	v_mad_u32_u24 v27, v0, 19, 5
	v_cndmask_b32_e64 v13, 0, v13, s[4:5]
	s_waitcnt vmcnt(0)
	v_lshrrev_b32_e32 v12, 24, v4
	v_mad_u32_u24 v28, v0, 19, 6
	v_lshlrev_b16_e32 v13, 8, v13
	v_cmp_gt_u32_e64 s[4:5], s14, v27
	v_lshrrev_b32_sdwa v25, v18, v13 dst_sel:BYTE_1 dst_unused:UNUSED_PAD src0_sel:DWORD src1_sel:DWORD
	v_mad_u32_u24 v29, v0, 19, 3
	v_cndmask_b32_e64 v13, 0, v12, s[4:5]
	v_cmp_gt_u32_e64 s[4:5], s14, v28
	v_lshrrev_b16_e32 v11, 8, v4
	v_mad_u32_u24 v30, v0, 19, 4
	v_cndmask_b32_e64 v12, 0, v5, s[4:5]
	v_lshlrev_b16_e32 v12, 8, v12
	v_cmp_gt_u32_e64 s[4:5], s14, v29
	v_lshrrev_b32_e32 v9, 16, v4
	v_lshrrev_b32_sdwa v26, v18, v12 dst_sel:BYTE_1 dst_unused:UNUSED_PAD src0_sel:DWORD src1_sel:DWORD
	v_cndmask_b32_e64 v12, 0, v11, s[4:5]
	v_cmp_gt_u32_e64 s[4:5], s14, v30
	v_mad_u32_u24 v31, v0, 19, 2
	v_lshlrev_b16_e32 v16, 8, v16
	v_cndmask_b32_e64 v9, 0, v9, s[4:5]
	v_lshlrev_b16_e32 v9, 8, v9
	v_cmp_gt_u32_e64 s[4:5], s14, v31
	v_lshrrev_b32_sdwa v23, v18, v16 dst_sel:BYTE_1 dst_unused:UNUSED_PAD src0_sel:DWORD src1_sel:DWORD
	v_lshlrev_b16_e32 v16, 8, v10
	v_mad_u32_u24 v32, v0, 19, 1
	v_cndmask_b32_e64 v11, 0, v4, s[4:5]
	v_lshrrev_b32_sdwa v9, v18, v9 dst_sel:BYTE_1 dst_unused:UNUSED_PAD src0_sel:DWORD src1_sel:DWORD
	v_mul_u32_u24_e32 v19, 19, v0
	v_cndmask_b32_e64 v24, 0, v6, s[2:3]
	v_lshlrev_b16_e32 v11, 8, v11
	v_cmp_gt_u32_e64 s[4:5], s14, v32
	v_or_b32_sdwa v12, v12, v9 dst_sel:WORD_1 dst_unused:UNUSED_PAD src0_sel:DWORD src1_sel:DWORD
	v_lshrrev_b32_sdwa v9, v18, v16 dst_sel:BYTE_1 dst_unused:UNUSED_PAD src0_sel:DWORD src1_sel:DWORD
	v_mad_u32_u24 v8, v0, 19, 18
	v_mad_u32_u24 v10, v0, 19, 9
	v_cndmask_b32_e64 v27, 0, v7, s[4:5]
	v_cmp_ne_u32_e64 s[4:5], 0, v0
	v_cmp_gt_u32_e64 s[6:7], s14, v19
	v_lshrrev_b32_sdwa v11, v18, v11 dst_sel:BYTE_1 dst_unused:UNUSED_PAD src0_sel:DWORD src1_sel:DWORD
	v_or_b32_sdwa v16, v24, v9 dst_sel:DWORD dst_unused:UNUSED_PAD src0_sel:BYTE_0 src1_sel:DWORD
	v_lshrrev_b32_sdwa v9, v18, v17 dst_sel:BYTE_1 dst_unused:UNUSED_PAD src0_sel:DWORD src1_sel:DWORD
	v_cmp_gt_u32_e32 vcc, s14, v8
	v_lshrrev_b32_e32 v8, 24, v3
	v_cmp_gt_u32_e64 s[2:3], s14, v10
	v_lshrrev_b32_e32 v10, 24, v5
	s_and_b64 s[6:7], s[4:5], s[6:7]
	v_or_b32_sdwa v11, v27, v11 dst_sel:DWORD dst_unused:UNUSED_PAD src0_sel:BYTE_0 src1_sel:DWORD
	v_or_b32_e32 v13, v13, v26
	v_or_b32_sdwa v14, v14, v25 dst_sel:WORD_1 dst_unused:UNUSED_PAD src0_sel:DWORD src1_sel:DWORD
	v_or_b32_sdwa v17, v15, v9 dst_sel:WORD_1 dst_unused:UNUSED_PAD src0_sel:DWORD src1_sel:DWORD
	v_or_b32_e32 v18, v22, v23
	v_or_b32_sdwa v19, v20, v21 dst_sel:WORD_1 dst_unused:UNUSED_PAD src0_sel:DWORD src1_sel:DWORD
	ds_write_b8 v0, v1
	s_waitcnt lgkmcnt(0)
	s_barrier
	s_and_saveexec_b64 s[4:5], s[6:7]
	s_cbranch_execz .LBB265_60
; %bb.59:
	v_add_u32_e32 v9, -1, v0
	ds_read_u8 v9, v9
	s_waitcnt lgkmcnt(0)
	v_sub_u16_e32 v7, v7, v9
.LBB265_60:
	s_or_b64 exec, exec, s[4:5]
	v_cndmask_b32_e32 v9, 0, v8, vcc
	v_cndmask_b32_e64 v10, 0, v10, s[2:3]
	v_or_b32_sdwa v15, v11, v12 dst_sel:DWORD dst_unused:UNUSED_PAD src0_sel:WORD_0 src1_sel:DWORD
	v_or_b32_sdwa v14, v13, v14 dst_sel:DWORD dst_unused:UNUSED_PAD src0_sel:WORD_0 src1_sel:DWORD
	;; [unrolled: 1-line block ×4, first 2 shown]
	v_mov_b32_e32 v8, v7
.LBB265_61:
	v_sub_u16_sdwa v7, v5, v14 dst_sel:BYTE_1 dst_unused:UNUSED_PAD src0_sel:BYTE_3 src1_sel:BYTE_3
	s_waitcnt vmcnt(0)
	v_sub_u16_sdwa v12, v5, v14 dst_sel:DWORD dst_unused:UNUSED_PAD src0_sel:WORD_1 src1_sel:WORD_1
	v_or_b32_sdwa v7, v12, v7 dst_sel:WORD_1 dst_unused:UNUSED_PAD src0_sel:BYTE_0 src1_sel:DWORD
	v_sub_u16_sdwa v12, v5, v14 dst_sel:BYTE_1 dst_unused:UNUSED_PAD src0_sel:BYTE_1 src1_sel:BYTE_1
	v_sub_u16_e32 v5, v5, v14
	v_or_b32_sdwa v5, v5, v12 dst_sel:DWORD dst_unused:UNUSED_PAD src0_sel:BYTE_0 src1_sel:DWORD
	v_or_b32_sdwa v5, v5, v7 dst_sel:DWORD dst_unused:UNUSED_PAD src0_sel:WORD_0 src1_sel:DWORD
	v_sub_u16_sdwa v7, v4, v15 dst_sel:BYTE_1 dst_unused:UNUSED_PAD src0_sel:BYTE_3 src1_sel:BYTE_3
	v_sub_u16_sdwa v12, v4, v15 dst_sel:DWORD dst_unused:UNUSED_PAD src0_sel:WORD_1 src1_sel:WORD_1
	v_or_b32_sdwa v7, v12, v7 dst_sel:WORD_1 dst_unused:UNUSED_PAD src0_sel:BYTE_0 src1_sel:DWORD
	v_sub_u16_sdwa v12, v4, v15 dst_sel:BYTE_1 dst_unused:UNUSED_PAD src0_sel:BYTE_1 src1_sel:BYTE_1
	v_sub_u16_e32 v4, v4, v15
	v_or_b32_sdwa v4, v4, v12 dst_sel:DWORD dst_unused:UNUSED_PAD src0_sel:BYTE_0 src1_sel:DWORD
	v_or_b32_sdwa v4, v4, v7 dst_sel:DWORD dst_unused:UNUSED_PAD src0_sel:WORD_0 src1_sel:DWORD
	v_sub_u16_e32 v10, v6, v10
	v_sub_u16_sdwa v6, v3, v11 dst_sel:BYTE_1 dst_unused:UNUSED_PAD src0_sel:BYTE_3 src1_sel:BYTE_3
	v_sub_u16_sdwa v7, v3, v11 dst_sel:DWORD dst_unused:UNUSED_PAD src0_sel:WORD_1 src1_sel:WORD_1
	v_or_b32_sdwa v6, v7, v6 dst_sel:WORD_1 dst_unused:UNUSED_PAD src0_sel:BYTE_0 src1_sel:DWORD
	v_sub_u16_sdwa v7, v3, v11 dst_sel:BYTE_1 dst_unused:UNUSED_PAD src0_sel:BYTE_1 src1_sel:BYTE_1
	v_sub_u16_e32 v3, v3, v11
	v_or_b32_sdwa v3, v3, v7 dst_sel:DWORD dst_unused:UNUSED_PAD src0_sel:BYTE_0 src1_sel:DWORD
	v_or_b32_sdwa v3, v3, v6 dst_sel:DWORD dst_unused:UNUSED_PAD src0_sel:WORD_0 src1_sel:DWORD
	v_sub_u16_sdwa v6, v2, v13 dst_sel:BYTE_1 dst_unused:UNUSED_PAD src0_sel:BYTE_3 src1_sel:BYTE_3
	v_sub_u16_sdwa v7, v2, v13 dst_sel:DWORD dst_unused:UNUSED_PAD src0_sel:WORD_1 src1_sel:WORD_1
	v_or_b32_sdwa v6, v7, v6 dst_sel:WORD_1 dst_unused:UNUSED_PAD src0_sel:BYTE_0 src1_sel:DWORD
	v_sub_u16_sdwa v7, v2, v13 dst_sel:BYTE_1 dst_unused:UNUSED_PAD src0_sel:BYTE_1 src1_sel:BYTE_1
	v_sub_u16_e32 v2, v2, v13
	s_add_u32 s4, s12, s10
	v_or_b32_sdwa v2, v2, v7 dst_sel:DWORD dst_unused:UNUSED_PAD src0_sel:BYTE_0 src1_sel:DWORD
	s_addc_u32 s5, s13, s11
	v_or_b32_sdwa v2, v2, v6 dst_sel:DWORD dst_unused:UNUSED_PAD src0_sel:WORD_0 src1_sel:DWORD
	v_sub_u16_e32 v9, v1, v9
	s_and_b64 vcc, exec, s[0:1]
	v_mul_u32_u24_e32 v11, 19, v0
	s_barrier
	s_cbranch_vccz .LBB265_99
; %bb.62:
	ds_write_b8 v11, v8
	ds_write_b64 v11, v[4:5] offset:1
	ds_write_b8 v11, v10 offset:9
	ds_write_b64 v11, v[2:3] offset:10
	ds_write_b8 v11, v9 offset:18
	s_waitcnt lgkmcnt(0)
	s_barrier
	ds_read_u8 v29, v0 offset:128
	ds_read_u8 v28, v0 offset:256
	;; [unrolled: 1-line block ×18, first 2 shown]
	s_add_i32 s15, s15, s14
	s_add_u32 s0, s4, s20
	s_addc_u32 s1, s5, 0
	v_mov_b32_e32 v1, 0
	v_lshl_add_u64 v[6:7], s[0:1], 0, v[0:1]
	v_cmp_gt_u32_e32 vcc, s15, v0
	s_and_saveexec_b64 s[0:1], vcc
	s_cbranch_execz .LBB265_64
; %bb.63:
	ds_read_u8 v1, v0
	s_waitcnt lgkmcnt(0)
	global_store_byte v[6:7], v1, off
.LBB265_64:
	s_or_b64 exec, exec, s[0:1]
	v_or_b32_e32 v1, 0x80, v0
	v_cmp_gt_u32_e32 vcc, s15, v1
	s_and_saveexec_b64 s[0:1], vcc
	s_cbranch_execz .LBB265_66
; %bb.65:
	s_waitcnt lgkmcnt(14)
	global_store_byte v[6:7], v29, off offset:128
.LBB265_66:
	s_or_b64 exec, exec, s[0:1]
	v_or_b32_e32 v1, 0x100, v0
	v_cmp_gt_u32_e32 vcc, s15, v1
	s_and_saveexec_b64 s[0:1], vcc
	s_cbranch_execz .LBB265_68
; %bb.67:
	s_waitcnt lgkmcnt(14)
	global_store_byte v[6:7], v28, off offset:256
.LBB265_68:
	s_or_b64 exec, exec, s[0:1]
	v_or_b32_e32 v1, 0x180, v0
	v_cmp_gt_u32_e32 vcc, s15, v1
	s_and_saveexec_b64 s[0:1], vcc
	s_cbranch_execz .LBB265_70
; %bb.69:
	s_waitcnt lgkmcnt(14)
	global_store_byte v[6:7], v27, off offset:384
.LBB265_70:
	s_or_b64 exec, exec, s[0:1]
	v_or_b32_e32 v1, 0x200, v0
	v_cmp_gt_u32_e32 vcc, s15, v1
	s_and_saveexec_b64 s[0:1], vcc
	s_cbranch_execz .LBB265_72
; %bb.71:
	s_waitcnt lgkmcnt(14)
	global_store_byte v[6:7], v26, off offset:512
.LBB265_72:
	s_or_b64 exec, exec, s[0:1]
	v_or_b32_e32 v1, 0x280, v0
	v_cmp_gt_u32_e32 vcc, s15, v1
	s_and_saveexec_b64 s[0:1], vcc
	s_cbranch_execz .LBB265_74
; %bb.73:
	s_waitcnt lgkmcnt(13)
	global_store_byte v[6:7], v25, off offset:640
.LBB265_74:
	s_or_b64 exec, exec, s[0:1]
	v_or_b32_e32 v1, 0x300, v0
	v_cmp_gt_u32_e32 vcc, s15, v1
	s_and_saveexec_b64 s[0:1], vcc
	s_cbranch_execz .LBB265_76
; %bb.75:
	s_waitcnt lgkmcnt(12)
	global_store_byte v[6:7], v24, off offset:768
.LBB265_76:
	s_or_b64 exec, exec, s[0:1]
	v_or_b32_e32 v1, 0x380, v0
	v_cmp_gt_u32_e32 vcc, s15, v1
	s_and_saveexec_b64 s[0:1], vcc
	s_cbranch_execz .LBB265_78
; %bb.77:
	s_waitcnt lgkmcnt(11)
	global_store_byte v[6:7], v23, off offset:896
.LBB265_78:
	s_or_b64 exec, exec, s[0:1]
	v_or_b32_e32 v1, 0x400, v0
	v_cmp_gt_u32_e32 vcc, s15, v1
	s_and_saveexec_b64 s[0:1], vcc
	s_cbranch_execz .LBB265_80
; %bb.79:
	s_waitcnt lgkmcnt(10)
	global_store_byte v[6:7], v22, off offset:1024
.LBB265_80:
	s_or_b64 exec, exec, s[0:1]
	v_or_b32_e32 v1, 0x480, v0
	v_cmp_gt_u32_e32 vcc, s15, v1
	s_and_saveexec_b64 s[0:1], vcc
	s_cbranch_execz .LBB265_82
; %bb.81:
	s_waitcnt lgkmcnt(9)
	global_store_byte v[6:7], v21, off offset:1152
.LBB265_82:
	s_or_b64 exec, exec, s[0:1]
	v_or_b32_e32 v1, 0x500, v0
	v_cmp_gt_u32_e32 vcc, s15, v1
	s_and_saveexec_b64 s[0:1], vcc
	s_cbranch_execz .LBB265_84
; %bb.83:
	s_waitcnt lgkmcnt(8)
	global_store_byte v[6:7], v20, off offset:1280
.LBB265_84:
	s_or_b64 exec, exec, s[0:1]
	v_or_b32_e32 v1, 0x580, v0
	v_cmp_gt_u32_e32 vcc, s15, v1
	s_and_saveexec_b64 s[0:1], vcc
	s_cbranch_execz .LBB265_86
; %bb.85:
	s_waitcnt lgkmcnt(7)
	global_store_byte v[6:7], v19, off offset:1408
.LBB265_86:
	s_or_b64 exec, exec, s[0:1]
	v_or_b32_e32 v1, 0x600, v0
	v_cmp_gt_u32_e32 vcc, s15, v1
	s_and_saveexec_b64 s[0:1], vcc
	s_cbranch_execz .LBB265_88
; %bb.87:
	s_waitcnt lgkmcnt(6)
	global_store_byte v[6:7], v18, off offset:1536
.LBB265_88:
	s_or_b64 exec, exec, s[0:1]
	v_or_b32_e32 v1, 0x680, v0
	v_cmp_gt_u32_e32 vcc, s15, v1
	s_and_saveexec_b64 s[0:1], vcc
	s_cbranch_execz .LBB265_90
; %bb.89:
	s_waitcnt lgkmcnt(5)
	global_store_byte v[6:7], v17, off offset:1664
.LBB265_90:
	s_or_b64 exec, exec, s[0:1]
	v_or_b32_e32 v1, 0x700, v0
	v_cmp_gt_u32_e32 vcc, s15, v1
	s_and_saveexec_b64 s[0:1], vcc
	s_cbranch_execz .LBB265_92
; %bb.91:
	s_waitcnt lgkmcnt(4)
	global_store_byte v[6:7], v16, off offset:1792
.LBB265_92:
	s_or_b64 exec, exec, s[0:1]
	v_or_b32_e32 v1, 0x780, v0
	v_cmp_gt_u32_e32 vcc, s15, v1
	s_and_saveexec_b64 s[0:1], vcc
	s_cbranch_execz .LBB265_94
; %bb.93:
	s_waitcnt lgkmcnt(3)
	global_store_byte v[6:7], v15, off offset:1920
.LBB265_94:
	s_or_b64 exec, exec, s[0:1]
	v_or_b32_e32 v1, 0x800, v0
	v_cmp_gt_u32_e32 vcc, s15, v1
	s_and_saveexec_b64 s[0:1], vcc
	s_cbranch_execz .LBB265_96
; %bb.95:
	s_waitcnt lgkmcnt(2)
	global_store_byte v[6:7], v14, off offset:2048
.LBB265_96:
	s_or_b64 exec, exec, s[0:1]
	v_or_b32_e32 v1, 0x880, v0
	v_cmp_gt_u32_e32 vcc, s15, v1
	s_and_saveexec_b64 s[0:1], vcc
	s_cbranch_execz .LBB265_98
; %bb.97:
	s_waitcnt lgkmcnt(1)
	global_store_byte v[6:7], v13, off offset:2176
.LBB265_98:
	s_or_b64 exec, exec, s[0:1]
	v_or_b32_e32 v1, 0x900, v0
	v_cmp_gt_u32_e64 s[0:1], s15, v1
	s_branch .LBB265_101
.LBB265_99:
	s_mov_b64 s[0:1], 0
                                        ; implicit-def: $vgpr12
                                        ; implicit-def: $vgpr6_vgpr7
	s_cbranch_execz .LBB265_101
; %bb.100:
	ds_write_b8 v11, v8
	ds_write_b64 v11, v[4:5] offset:1
	ds_write_b8 v11, v10 offset:9
	ds_write_b64 v11, v[2:3] offset:10
	ds_write_b8 v11, v9 offset:18
	s_waitcnt lgkmcnt(0)
	s_barrier
	ds_read_u8 v2, v0
	ds_read_u8 v3, v0 offset:128
	ds_read_u8 v4, v0 offset:256
	ds_read_u8 v5, v0 offset:384
	ds_read_u8 v8, v0 offset:512
	ds_read_u8 v9, v0 offset:640
	ds_read_u8 v10, v0 offset:768
	ds_read_u8 v11, v0 offset:896
	ds_read_u8 v13, v0 offset:1024
	ds_read_u8 v14, v0 offset:1152
	ds_read_u8 v15, v0 offset:1280
	ds_read_u8 v16, v0 offset:1408
	ds_read_u8 v17, v0 offset:1536
	ds_read_u8 v18, v0 offset:1664
	ds_read_u8 v19, v0 offset:1792
	ds_read_u8 v20, v0 offset:1920
	ds_read_u8 v21, v0 offset:2048
	ds_read_u8 v22, v0 offset:2176
	ds_read_u8 v12, v0 offset:2304
	s_add_u32 s2, s4, s20
	s_addc_u32 s3, s5, 0
	v_mov_b32_e32 v1, 0
	v_lshl_add_u64 v[6:7], s[2:3], 0, v[0:1]
	s_or_b64 s[0:1], s[0:1], exec
	s_waitcnt lgkmcnt(14)
	global_store_byte v0, v2, s[2:3]
	global_store_byte v0, v3, s[2:3] offset:128
	global_store_byte v0, v4, s[2:3] offset:256
	;; [unrolled: 1-line block ×4, first 2 shown]
	s_waitcnt lgkmcnt(13)
	global_store_byte v0, v9, s[2:3] offset:640
	s_waitcnt lgkmcnt(12)
	global_store_byte v0, v10, s[2:3] offset:768
	;; [unrolled: 2-line block ×13, first 2 shown]
.LBB265_101:
	s_and_saveexec_b64 s[2:3], s[0:1]
	s_cbranch_execnz .LBB265_103
; %bb.102:
	s_endpgm
.LBB265_103:
	s_waitcnt lgkmcnt(0)
	global_store_byte v[6:7], v12, off offset:2304
	s_endpgm
	.section	.rodata,"a",@progbits
	.p2align	6, 0x0
	.amdhsa_kernel _ZN7rocprim17ROCPRIM_400000_NS6detail17trampoline_kernelINS0_14default_configENS1_35adjacent_difference_config_selectorILb0EhEEZNS1_24adjacent_difference_implIS3_Lb0ELb0EPhS7_N6thrust23THRUST_200600_302600_NS5minusIhEEEE10hipError_tPvRmT2_T3_mT4_P12ihipStream_tbEUlT_E_NS1_11comp_targetILNS1_3genE5ELNS1_11target_archE942ELNS1_3gpuE9ELNS1_3repE0EEENS1_30default_config_static_selectorELNS0_4arch9wavefront6targetE1EEEvT1_
		.amdhsa_group_segment_fixed_size 2432
		.amdhsa_private_segment_fixed_size 0
		.amdhsa_kernarg_size 56
		.amdhsa_user_sgpr_count 2
		.amdhsa_user_sgpr_dispatch_ptr 0
		.amdhsa_user_sgpr_queue_ptr 0
		.amdhsa_user_sgpr_kernarg_segment_ptr 1
		.amdhsa_user_sgpr_dispatch_id 0
		.amdhsa_user_sgpr_kernarg_preload_length 0
		.amdhsa_user_sgpr_kernarg_preload_offset 0
		.amdhsa_user_sgpr_private_segment_size 0
		.amdhsa_uses_dynamic_stack 0
		.amdhsa_enable_private_segment 0
		.amdhsa_system_sgpr_workgroup_id_x 1
		.amdhsa_system_sgpr_workgroup_id_y 0
		.amdhsa_system_sgpr_workgroup_id_z 0
		.amdhsa_system_sgpr_workgroup_info 0
		.amdhsa_system_vgpr_workitem_id 0
		.amdhsa_next_free_vgpr 34
		.amdhsa_next_free_sgpr 22
		.amdhsa_accum_offset 36
		.amdhsa_reserve_vcc 1
		.amdhsa_float_round_mode_32 0
		.amdhsa_float_round_mode_16_64 0
		.amdhsa_float_denorm_mode_32 3
		.amdhsa_float_denorm_mode_16_64 3
		.amdhsa_dx10_clamp 1
		.amdhsa_ieee_mode 1
		.amdhsa_fp16_overflow 0
		.amdhsa_tg_split 0
		.amdhsa_exception_fp_ieee_invalid_op 0
		.amdhsa_exception_fp_denorm_src 0
		.amdhsa_exception_fp_ieee_div_zero 0
		.amdhsa_exception_fp_ieee_overflow 0
		.amdhsa_exception_fp_ieee_underflow 0
		.amdhsa_exception_fp_ieee_inexact 0
		.amdhsa_exception_int_div_zero 0
	.end_amdhsa_kernel
	.section	.text._ZN7rocprim17ROCPRIM_400000_NS6detail17trampoline_kernelINS0_14default_configENS1_35adjacent_difference_config_selectorILb0EhEEZNS1_24adjacent_difference_implIS3_Lb0ELb0EPhS7_N6thrust23THRUST_200600_302600_NS5minusIhEEEE10hipError_tPvRmT2_T3_mT4_P12ihipStream_tbEUlT_E_NS1_11comp_targetILNS1_3genE5ELNS1_11target_archE942ELNS1_3gpuE9ELNS1_3repE0EEENS1_30default_config_static_selectorELNS0_4arch9wavefront6targetE1EEEvT1_,"axG",@progbits,_ZN7rocprim17ROCPRIM_400000_NS6detail17trampoline_kernelINS0_14default_configENS1_35adjacent_difference_config_selectorILb0EhEEZNS1_24adjacent_difference_implIS3_Lb0ELb0EPhS7_N6thrust23THRUST_200600_302600_NS5minusIhEEEE10hipError_tPvRmT2_T3_mT4_P12ihipStream_tbEUlT_E_NS1_11comp_targetILNS1_3genE5ELNS1_11target_archE942ELNS1_3gpuE9ELNS1_3repE0EEENS1_30default_config_static_selectorELNS0_4arch9wavefront6targetE1EEEvT1_,comdat
.Lfunc_end265:
	.size	_ZN7rocprim17ROCPRIM_400000_NS6detail17trampoline_kernelINS0_14default_configENS1_35adjacent_difference_config_selectorILb0EhEEZNS1_24adjacent_difference_implIS3_Lb0ELb0EPhS7_N6thrust23THRUST_200600_302600_NS5minusIhEEEE10hipError_tPvRmT2_T3_mT4_P12ihipStream_tbEUlT_E_NS1_11comp_targetILNS1_3genE5ELNS1_11target_archE942ELNS1_3gpuE9ELNS1_3repE0EEENS1_30default_config_static_selectorELNS0_4arch9wavefront6targetE1EEEvT1_, .Lfunc_end265-_ZN7rocprim17ROCPRIM_400000_NS6detail17trampoline_kernelINS0_14default_configENS1_35adjacent_difference_config_selectorILb0EhEEZNS1_24adjacent_difference_implIS3_Lb0ELb0EPhS7_N6thrust23THRUST_200600_302600_NS5minusIhEEEE10hipError_tPvRmT2_T3_mT4_P12ihipStream_tbEUlT_E_NS1_11comp_targetILNS1_3genE5ELNS1_11target_archE942ELNS1_3gpuE9ELNS1_3repE0EEENS1_30default_config_static_selectorELNS0_4arch9wavefront6targetE1EEEvT1_
                                        ; -- End function
	.section	.AMDGPU.csdata,"",@progbits
; Kernel info:
; codeLenInByte = 5048
; NumSgprs: 28
; NumVgprs: 34
; NumAgprs: 0
; TotalNumVgprs: 34
; ScratchSize: 0
; MemoryBound: 0
; FloatMode: 240
; IeeeMode: 1
; LDSByteSize: 2432 bytes/workgroup (compile time only)
; SGPRBlocks: 3
; VGPRBlocks: 4
; NumSGPRsForWavesPerEU: 28
; NumVGPRsForWavesPerEU: 34
; AccumOffset: 36
; Occupancy: 8
; WaveLimiterHint : 1
; COMPUTE_PGM_RSRC2:SCRATCH_EN: 0
; COMPUTE_PGM_RSRC2:USER_SGPR: 2
; COMPUTE_PGM_RSRC2:TRAP_HANDLER: 0
; COMPUTE_PGM_RSRC2:TGID_X_EN: 1
; COMPUTE_PGM_RSRC2:TGID_Y_EN: 0
; COMPUTE_PGM_RSRC2:TGID_Z_EN: 0
; COMPUTE_PGM_RSRC2:TIDIG_COMP_CNT: 0
; COMPUTE_PGM_RSRC3_GFX90A:ACCUM_OFFSET: 8
; COMPUTE_PGM_RSRC3_GFX90A:TG_SPLIT: 0
	.section	.text._ZN7rocprim17ROCPRIM_400000_NS6detail17trampoline_kernelINS0_14default_configENS1_35adjacent_difference_config_selectorILb0EhEEZNS1_24adjacent_difference_implIS3_Lb0ELb0EPhS7_N6thrust23THRUST_200600_302600_NS5minusIhEEEE10hipError_tPvRmT2_T3_mT4_P12ihipStream_tbEUlT_E_NS1_11comp_targetILNS1_3genE4ELNS1_11target_archE910ELNS1_3gpuE8ELNS1_3repE0EEENS1_30default_config_static_selectorELNS0_4arch9wavefront6targetE1EEEvT1_,"axG",@progbits,_ZN7rocprim17ROCPRIM_400000_NS6detail17trampoline_kernelINS0_14default_configENS1_35adjacent_difference_config_selectorILb0EhEEZNS1_24adjacent_difference_implIS3_Lb0ELb0EPhS7_N6thrust23THRUST_200600_302600_NS5minusIhEEEE10hipError_tPvRmT2_T3_mT4_P12ihipStream_tbEUlT_E_NS1_11comp_targetILNS1_3genE4ELNS1_11target_archE910ELNS1_3gpuE8ELNS1_3repE0EEENS1_30default_config_static_selectorELNS0_4arch9wavefront6targetE1EEEvT1_,comdat
	.protected	_ZN7rocprim17ROCPRIM_400000_NS6detail17trampoline_kernelINS0_14default_configENS1_35adjacent_difference_config_selectorILb0EhEEZNS1_24adjacent_difference_implIS3_Lb0ELb0EPhS7_N6thrust23THRUST_200600_302600_NS5minusIhEEEE10hipError_tPvRmT2_T3_mT4_P12ihipStream_tbEUlT_E_NS1_11comp_targetILNS1_3genE4ELNS1_11target_archE910ELNS1_3gpuE8ELNS1_3repE0EEENS1_30default_config_static_selectorELNS0_4arch9wavefront6targetE1EEEvT1_ ; -- Begin function _ZN7rocprim17ROCPRIM_400000_NS6detail17trampoline_kernelINS0_14default_configENS1_35adjacent_difference_config_selectorILb0EhEEZNS1_24adjacent_difference_implIS3_Lb0ELb0EPhS7_N6thrust23THRUST_200600_302600_NS5minusIhEEEE10hipError_tPvRmT2_T3_mT4_P12ihipStream_tbEUlT_E_NS1_11comp_targetILNS1_3genE4ELNS1_11target_archE910ELNS1_3gpuE8ELNS1_3repE0EEENS1_30default_config_static_selectorELNS0_4arch9wavefront6targetE1EEEvT1_
	.globl	_ZN7rocprim17ROCPRIM_400000_NS6detail17trampoline_kernelINS0_14default_configENS1_35adjacent_difference_config_selectorILb0EhEEZNS1_24adjacent_difference_implIS3_Lb0ELb0EPhS7_N6thrust23THRUST_200600_302600_NS5minusIhEEEE10hipError_tPvRmT2_T3_mT4_P12ihipStream_tbEUlT_E_NS1_11comp_targetILNS1_3genE4ELNS1_11target_archE910ELNS1_3gpuE8ELNS1_3repE0EEENS1_30default_config_static_selectorELNS0_4arch9wavefront6targetE1EEEvT1_
	.p2align	8
	.type	_ZN7rocprim17ROCPRIM_400000_NS6detail17trampoline_kernelINS0_14default_configENS1_35adjacent_difference_config_selectorILb0EhEEZNS1_24adjacent_difference_implIS3_Lb0ELb0EPhS7_N6thrust23THRUST_200600_302600_NS5minusIhEEEE10hipError_tPvRmT2_T3_mT4_P12ihipStream_tbEUlT_E_NS1_11comp_targetILNS1_3genE4ELNS1_11target_archE910ELNS1_3gpuE8ELNS1_3repE0EEENS1_30default_config_static_selectorELNS0_4arch9wavefront6targetE1EEEvT1_,@function
_ZN7rocprim17ROCPRIM_400000_NS6detail17trampoline_kernelINS0_14default_configENS1_35adjacent_difference_config_selectorILb0EhEEZNS1_24adjacent_difference_implIS3_Lb0ELb0EPhS7_N6thrust23THRUST_200600_302600_NS5minusIhEEEE10hipError_tPvRmT2_T3_mT4_P12ihipStream_tbEUlT_E_NS1_11comp_targetILNS1_3genE4ELNS1_11target_archE910ELNS1_3gpuE8ELNS1_3repE0EEENS1_30default_config_static_selectorELNS0_4arch9wavefront6targetE1EEEvT1_: ; @_ZN7rocprim17ROCPRIM_400000_NS6detail17trampoline_kernelINS0_14default_configENS1_35adjacent_difference_config_selectorILb0EhEEZNS1_24adjacent_difference_implIS3_Lb0ELb0EPhS7_N6thrust23THRUST_200600_302600_NS5minusIhEEEE10hipError_tPvRmT2_T3_mT4_P12ihipStream_tbEUlT_E_NS1_11comp_targetILNS1_3genE4ELNS1_11target_archE910ELNS1_3gpuE8ELNS1_3repE0EEENS1_30default_config_static_selectorELNS0_4arch9wavefront6targetE1EEEvT1_
; %bb.0:
	.section	.rodata,"a",@progbits
	.p2align	6, 0x0
	.amdhsa_kernel _ZN7rocprim17ROCPRIM_400000_NS6detail17trampoline_kernelINS0_14default_configENS1_35adjacent_difference_config_selectorILb0EhEEZNS1_24adjacent_difference_implIS3_Lb0ELb0EPhS7_N6thrust23THRUST_200600_302600_NS5minusIhEEEE10hipError_tPvRmT2_T3_mT4_P12ihipStream_tbEUlT_E_NS1_11comp_targetILNS1_3genE4ELNS1_11target_archE910ELNS1_3gpuE8ELNS1_3repE0EEENS1_30default_config_static_selectorELNS0_4arch9wavefront6targetE1EEEvT1_
		.amdhsa_group_segment_fixed_size 0
		.amdhsa_private_segment_fixed_size 0
		.amdhsa_kernarg_size 56
		.amdhsa_user_sgpr_count 2
		.amdhsa_user_sgpr_dispatch_ptr 0
		.amdhsa_user_sgpr_queue_ptr 0
		.amdhsa_user_sgpr_kernarg_segment_ptr 1
		.amdhsa_user_sgpr_dispatch_id 0
		.amdhsa_user_sgpr_kernarg_preload_length 0
		.amdhsa_user_sgpr_kernarg_preload_offset 0
		.amdhsa_user_sgpr_private_segment_size 0
		.amdhsa_uses_dynamic_stack 0
		.amdhsa_enable_private_segment 0
		.amdhsa_system_sgpr_workgroup_id_x 1
		.amdhsa_system_sgpr_workgroup_id_y 0
		.amdhsa_system_sgpr_workgroup_id_z 0
		.amdhsa_system_sgpr_workgroup_info 0
		.amdhsa_system_vgpr_workitem_id 0
		.amdhsa_next_free_vgpr 1
		.amdhsa_next_free_sgpr 0
		.amdhsa_accum_offset 4
		.amdhsa_reserve_vcc 0
		.amdhsa_float_round_mode_32 0
		.amdhsa_float_round_mode_16_64 0
		.amdhsa_float_denorm_mode_32 3
		.amdhsa_float_denorm_mode_16_64 3
		.amdhsa_dx10_clamp 1
		.amdhsa_ieee_mode 1
		.amdhsa_fp16_overflow 0
		.amdhsa_tg_split 0
		.amdhsa_exception_fp_ieee_invalid_op 0
		.amdhsa_exception_fp_denorm_src 0
		.amdhsa_exception_fp_ieee_div_zero 0
		.amdhsa_exception_fp_ieee_overflow 0
		.amdhsa_exception_fp_ieee_underflow 0
		.amdhsa_exception_fp_ieee_inexact 0
		.amdhsa_exception_int_div_zero 0
	.end_amdhsa_kernel
	.section	.text._ZN7rocprim17ROCPRIM_400000_NS6detail17trampoline_kernelINS0_14default_configENS1_35adjacent_difference_config_selectorILb0EhEEZNS1_24adjacent_difference_implIS3_Lb0ELb0EPhS7_N6thrust23THRUST_200600_302600_NS5minusIhEEEE10hipError_tPvRmT2_T3_mT4_P12ihipStream_tbEUlT_E_NS1_11comp_targetILNS1_3genE4ELNS1_11target_archE910ELNS1_3gpuE8ELNS1_3repE0EEENS1_30default_config_static_selectorELNS0_4arch9wavefront6targetE1EEEvT1_,"axG",@progbits,_ZN7rocprim17ROCPRIM_400000_NS6detail17trampoline_kernelINS0_14default_configENS1_35adjacent_difference_config_selectorILb0EhEEZNS1_24adjacent_difference_implIS3_Lb0ELb0EPhS7_N6thrust23THRUST_200600_302600_NS5minusIhEEEE10hipError_tPvRmT2_T3_mT4_P12ihipStream_tbEUlT_E_NS1_11comp_targetILNS1_3genE4ELNS1_11target_archE910ELNS1_3gpuE8ELNS1_3repE0EEENS1_30default_config_static_selectorELNS0_4arch9wavefront6targetE1EEEvT1_,comdat
.Lfunc_end266:
	.size	_ZN7rocprim17ROCPRIM_400000_NS6detail17trampoline_kernelINS0_14default_configENS1_35adjacent_difference_config_selectorILb0EhEEZNS1_24adjacent_difference_implIS3_Lb0ELb0EPhS7_N6thrust23THRUST_200600_302600_NS5minusIhEEEE10hipError_tPvRmT2_T3_mT4_P12ihipStream_tbEUlT_E_NS1_11comp_targetILNS1_3genE4ELNS1_11target_archE910ELNS1_3gpuE8ELNS1_3repE0EEENS1_30default_config_static_selectorELNS0_4arch9wavefront6targetE1EEEvT1_, .Lfunc_end266-_ZN7rocprim17ROCPRIM_400000_NS6detail17trampoline_kernelINS0_14default_configENS1_35adjacent_difference_config_selectorILb0EhEEZNS1_24adjacent_difference_implIS3_Lb0ELb0EPhS7_N6thrust23THRUST_200600_302600_NS5minusIhEEEE10hipError_tPvRmT2_T3_mT4_P12ihipStream_tbEUlT_E_NS1_11comp_targetILNS1_3genE4ELNS1_11target_archE910ELNS1_3gpuE8ELNS1_3repE0EEENS1_30default_config_static_selectorELNS0_4arch9wavefront6targetE1EEEvT1_
                                        ; -- End function
	.section	.AMDGPU.csdata,"",@progbits
; Kernel info:
; codeLenInByte = 0
; NumSgprs: 6
; NumVgprs: 0
; NumAgprs: 0
; TotalNumVgprs: 0
; ScratchSize: 0
; MemoryBound: 0
; FloatMode: 240
; IeeeMode: 1
; LDSByteSize: 0 bytes/workgroup (compile time only)
; SGPRBlocks: 0
; VGPRBlocks: 0
; NumSGPRsForWavesPerEU: 6
; NumVGPRsForWavesPerEU: 1
; AccumOffset: 4
; Occupancy: 8
; WaveLimiterHint : 0
; COMPUTE_PGM_RSRC2:SCRATCH_EN: 0
; COMPUTE_PGM_RSRC2:USER_SGPR: 2
; COMPUTE_PGM_RSRC2:TRAP_HANDLER: 0
; COMPUTE_PGM_RSRC2:TGID_X_EN: 1
; COMPUTE_PGM_RSRC2:TGID_Y_EN: 0
; COMPUTE_PGM_RSRC2:TGID_Z_EN: 0
; COMPUTE_PGM_RSRC2:TIDIG_COMP_CNT: 0
; COMPUTE_PGM_RSRC3_GFX90A:ACCUM_OFFSET: 0
; COMPUTE_PGM_RSRC3_GFX90A:TG_SPLIT: 0
	.section	.text._ZN7rocprim17ROCPRIM_400000_NS6detail17trampoline_kernelINS0_14default_configENS1_35adjacent_difference_config_selectorILb0EhEEZNS1_24adjacent_difference_implIS3_Lb0ELb0EPhS7_N6thrust23THRUST_200600_302600_NS5minusIhEEEE10hipError_tPvRmT2_T3_mT4_P12ihipStream_tbEUlT_E_NS1_11comp_targetILNS1_3genE3ELNS1_11target_archE908ELNS1_3gpuE7ELNS1_3repE0EEENS1_30default_config_static_selectorELNS0_4arch9wavefront6targetE1EEEvT1_,"axG",@progbits,_ZN7rocprim17ROCPRIM_400000_NS6detail17trampoline_kernelINS0_14default_configENS1_35adjacent_difference_config_selectorILb0EhEEZNS1_24adjacent_difference_implIS3_Lb0ELb0EPhS7_N6thrust23THRUST_200600_302600_NS5minusIhEEEE10hipError_tPvRmT2_T3_mT4_P12ihipStream_tbEUlT_E_NS1_11comp_targetILNS1_3genE3ELNS1_11target_archE908ELNS1_3gpuE7ELNS1_3repE0EEENS1_30default_config_static_selectorELNS0_4arch9wavefront6targetE1EEEvT1_,comdat
	.protected	_ZN7rocprim17ROCPRIM_400000_NS6detail17trampoline_kernelINS0_14default_configENS1_35adjacent_difference_config_selectorILb0EhEEZNS1_24adjacent_difference_implIS3_Lb0ELb0EPhS7_N6thrust23THRUST_200600_302600_NS5minusIhEEEE10hipError_tPvRmT2_T3_mT4_P12ihipStream_tbEUlT_E_NS1_11comp_targetILNS1_3genE3ELNS1_11target_archE908ELNS1_3gpuE7ELNS1_3repE0EEENS1_30default_config_static_selectorELNS0_4arch9wavefront6targetE1EEEvT1_ ; -- Begin function _ZN7rocprim17ROCPRIM_400000_NS6detail17trampoline_kernelINS0_14default_configENS1_35adjacent_difference_config_selectorILb0EhEEZNS1_24adjacent_difference_implIS3_Lb0ELb0EPhS7_N6thrust23THRUST_200600_302600_NS5minusIhEEEE10hipError_tPvRmT2_T3_mT4_P12ihipStream_tbEUlT_E_NS1_11comp_targetILNS1_3genE3ELNS1_11target_archE908ELNS1_3gpuE7ELNS1_3repE0EEENS1_30default_config_static_selectorELNS0_4arch9wavefront6targetE1EEEvT1_
	.globl	_ZN7rocprim17ROCPRIM_400000_NS6detail17trampoline_kernelINS0_14default_configENS1_35adjacent_difference_config_selectorILb0EhEEZNS1_24adjacent_difference_implIS3_Lb0ELb0EPhS7_N6thrust23THRUST_200600_302600_NS5minusIhEEEE10hipError_tPvRmT2_T3_mT4_P12ihipStream_tbEUlT_E_NS1_11comp_targetILNS1_3genE3ELNS1_11target_archE908ELNS1_3gpuE7ELNS1_3repE0EEENS1_30default_config_static_selectorELNS0_4arch9wavefront6targetE1EEEvT1_
	.p2align	8
	.type	_ZN7rocprim17ROCPRIM_400000_NS6detail17trampoline_kernelINS0_14default_configENS1_35adjacent_difference_config_selectorILb0EhEEZNS1_24adjacent_difference_implIS3_Lb0ELb0EPhS7_N6thrust23THRUST_200600_302600_NS5minusIhEEEE10hipError_tPvRmT2_T3_mT4_P12ihipStream_tbEUlT_E_NS1_11comp_targetILNS1_3genE3ELNS1_11target_archE908ELNS1_3gpuE7ELNS1_3repE0EEENS1_30default_config_static_selectorELNS0_4arch9wavefront6targetE1EEEvT1_,@function
_ZN7rocprim17ROCPRIM_400000_NS6detail17trampoline_kernelINS0_14default_configENS1_35adjacent_difference_config_selectorILb0EhEEZNS1_24adjacent_difference_implIS3_Lb0ELb0EPhS7_N6thrust23THRUST_200600_302600_NS5minusIhEEEE10hipError_tPvRmT2_T3_mT4_P12ihipStream_tbEUlT_E_NS1_11comp_targetILNS1_3genE3ELNS1_11target_archE908ELNS1_3gpuE7ELNS1_3repE0EEENS1_30default_config_static_selectorELNS0_4arch9wavefront6targetE1EEEvT1_: ; @_ZN7rocprim17ROCPRIM_400000_NS6detail17trampoline_kernelINS0_14default_configENS1_35adjacent_difference_config_selectorILb0EhEEZNS1_24adjacent_difference_implIS3_Lb0ELb0EPhS7_N6thrust23THRUST_200600_302600_NS5minusIhEEEE10hipError_tPvRmT2_T3_mT4_P12ihipStream_tbEUlT_E_NS1_11comp_targetILNS1_3genE3ELNS1_11target_archE908ELNS1_3gpuE7ELNS1_3repE0EEENS1_30default_config_static_selectorELNS0_4arch9wavefront6targetE1EEEvT1_
; %bb.0:
	.section	.rodata,"a",@progbits
	.p2align	6, 0x0
	.amdhsa_kernel _ZN7rocprim17ROCPRIM_400000_NS6detail17trampoline_kernelINS0_14default_configENS1_35adjacent_difference_config_selectorILb0EhEEZNS1_24adjacent_difference_implIS3_Lb0ELb0EPhS7_N6thrust23THRUST_200600_302600_NS5minusIhEEEE10hipError_tPvRmT2_T3_mT4_P12ihipStream_tbEUlT_E_NS1_11comp_targetILNS1_3genE3ELNS1_11target_archE908ELNS1_3gpuE7ELNS1_3repE0EEENS1_30default_config_static_selectorELNS0_4arch9wavefront6targetE1EEEvT1_
		.amdhsa_group_segment_fixed_size 0
		.amdhsa_private_segment_fixed_size 0
		.amdhsa_kernarg_size 56
		.amdhsa_user_sgpr_count 2
		.amdhsa_user_sgpr_dispatch_ptr 0
		.amdhsa_user_sgpr_queue_ptr 0
		.amdhsa_user_sgpr_kernarg_segment_ptr 1
		.amdhsa_user_sgpr_dispatch_id 0
		.amdhsa_user_sgpr_kernarg_preload_length 0
		.amdhsa_user_sgpr_kernarg_preload_offset 0
		.amdhsa_user_sgpr_private_segment_size 0
		.amdhsa_uses_dynamic_stack 0
		.amdhsa_enable_private_segment 0
		.amdhsa_system_sgpr_workgroup_id_x 1
		.amdhsa_system_sgpr_workgroup_id_y 0
		.amdhsa_system_sgpr_workgroup_id_z 0
		.amdhsa_system_sgpr_workgroup_info 0
		.amdhsa_system_vgpr_workitem_id 0
		.amdhsa_next_free_vgpr 1
		.amdhsa_next_free_sgpr 0
		.amdhsa_accum_offset 4
		.amdhsa_reserve_vcc 0
		.amdhsa_float_round_mode_32 0
		.amdhsa_float_round_mode_16_64 0
		.amdhsa_float_denorm_mode_32 3
		.amdhsa_float_denorm_mode_16_64 3
		.amdhsa_dx10_clamp 1
		.amdhsa_ieee_mode 1
		.amdhsa_fp16_overflow 0
		.amdhsa_tg_split 0
		.amdhsa_exception_fp_ieee_invalid_op 0
		.amdhsa_exception_fp_denorm_src 0
		.amdhsa_exception_fp_ieee_div_zero 0
		.amdhsa_exception_fp_ieee_overflow 0
		.amdhsa_exception_fp_ieee_underflow 0
		.amdhsa_exception_fp_ieee_inexact 0
		.amdhsa_exception_int_div_zero 0
	.end_amdhsa_kernel
	.section	.text._ZN7rocprim17ROCPRIM_400000_NS6detail17trampoline_kernelINS0_14default_configENS1_35adjacent_difference_config_selectorILb0EhEEZNS1_24adjacent_difference_implIS3_Lb0ELb0EPhS7_N6thrust23THRUST_200600_302600_NS5minusIhEEEE10hipError_tPvRmT2_T3_mT4_P12ihipStream_tbEUlT_E_NS1_11comp_targetILNS1_3genE3ELNS1_11target_archE908ELNS1_3gpuE7ELNS1_3repE0EEENS1_30default_config_static_selectorELNS0_4arch9wavefront6targetE1EEEvT1_,"axG",@progbits,_ZN7rocprim17ROCPRIM_400000_NS6detail17trampoline_kernelINS0_14default_configENS1_35adjacent_difference_config_selectorILb0EhEEZNS1_24adjacent_difference_implIS3_Lb0ELb0EPhS7_N6thrust23THRUST_200600_302600_NS5minusIhEEEE10hipError_tPvRmT2_T3_mT4_P12ihipStream_tbEUlT_E_NS1_11comp_targetILNS1_3genE3ELNS1_11target_archE908ELNS1_3gpuE7ELNS1_3repE0EEENS1_30default_config_static_selectorELNS0_4arch9wavefront6targetE1EEEvT1_,comdat
.Lfunc_end267:
	.size	_ZN7rocprim17ROCPRIM_400000_NS6detail17trampoline_kernelINS0_14default_configENS1_35adjacent_difference_config_selectorILb0EhEEZNS1_24adjacent_difference_implIS3_Lb0ELb0EPhS7_N6thrust23THRUST_200600_302600_NS5minusIhEEEE10hipError_tPvRmT2_T3_mT4_P12ihipStream_tbEUlT_E_NS1_11comp_targetILNS1_3genE3ELNS1_11target_archE908ELNS1_3gpuE7ELNS1_3repE0EEENS1_30default_config_static_selectorELNS0_4arch9wavefront6targetE1EEEvT1_, .Lfunc_end267-_ZN7rocprim17ROCPRIM_400000_NS6detail17trampoline_kernelINS0_14default_configENS1_35adjacent_difference_config_selectorILb0EhEEZNS1_24adjacent_difference_implIS3_Lb0ELb0EPhS7_N6thrust23THRUST_200600_302600_NS5minusIhEEEE10hipError_tPvRmT2_T3_mT4_P12ihipStream_tbEUlT_E_NS1_11comp_targetILNS1_3genE3ELNS1_11target_archE908ELNS1_3gpuE7ELNS1_3repE0EEENS1_30default_config_static_selectorELNS0_4arch9wavefront6targetE1EEEvT1_
                                        ; -- End function
	.section	.AMDGPU.csdata,"",@progbits
; Kernel info:
; codeLenInByte = 0
; NumSgprs: 6
; NumVgprs: 0
; NumAgprs: 0
; TotalNumVgprs: 0
; ScratchSize: 0
; MemoryBound: 0
; FloatMode: 240
; IeeeMode: 1
; LDSByteSize: 0 bytes/workgroup (compile time only)
; SGPRBlocks: 0
; VGPRBlocks: 0
; NumSGPRsForWavesPerEU: 6
; NumVGPRsForWavesPerEU: 1
; AccumOffset: 4
; Occupancy: 8
; WaveLimiterHint : 0
; COMPUTE_PGM_RSRC2:SCRATCH_EN: 0
; COMPUTE_PGM_RSRC2:USER_SGPR: 2
; COMPUTE_PGM_RSRC2:TRAP_HANDLER: 0
; COMPUTE_PGM_RSRC2:TGID_X_EN: 1
; COMPUTE_PGM_RSRC2:TGID_Y_EN: 0
; COMPUTE_PGM_RSRC2:TGID_Z_EN: 0
; COMPUTE_PGM_RSRC2:TIDIG_COMP_CNT: 0
; COMPUTE_PGM_RSRC3_GFX90A:ACCUM_OFFSET: 0
; COMPUTE_PGM_RSRC3_GFX90A:TG_SPLIT: 0
	.section	.text._ZN7rocprim17ROCPRIM_400000_NS6detail17trampoline_kernelINS0_14default_configENS1_35adjacent_difference_config_selectorILb0EhEEZNS1_24adjacent_difference_implIS3_Lb0ELb0EPhS7_N6thrust23THRUST_200600_302600_NS5minusIhEEEE10hipError_tPvRmT2_T3_mT4_P12ihipStream_tbEUlT_E_NS1_11comp_targetILNS1_3genE2ELNS1_11target_archE906ELNS1_3gpuE6ELNS1_3repE0EEENS1_30default_config_static_selectorELNS0_4arch9wavefront6targetE1EEEvT1_,"axG",@progbits,_ZN7rocprim17ROCPRIM_400000_NS6detail17trampoline_kernelINS0_14default_configENS1_35adjacent_difference_config_selectorILb0EhEEZNS1_24adjacent_difference_implIS3_Lb0ELb0EPhS7_N6thrust23THRUST_200600_302600_NS5minusIhEEEE10hipError_tPvRmT2_T3_mT4_P12ihipStream_tbEUlT_E_NS1_11comp_targetILNS1_3genE2ELNS1_11target_archE906ELNS1_3gpuE6ELNS1_3repE0EEENS1_30default_config_static_selectorELNS0_4arch9wavefront6targetE1EEEvT1_,comdat
	.protected	_ZN7rocprim17ROCPRIM_400000_NS6detail17trampoline_kernelINS0_14default_configENS1_35adjacent_difference_config_selectorILb0EhEEZNS1_24adjacent_difference_implIS3_Lb0ELb0EPhS7_N6thrust23THRUST_200600_302600_NS5minusIhEEEE10hipError_tPvRmT2_T3_mT4_P12ihipStream_tbEUlT_E_NS1_11comp_targetILNS1_3genE2ELNS1_11target_archE906ELNS1_3gpuE6ELNS1_3repE0EEENS1_30default_config_static_selectorELNS0_4arch9wavefront6targetE1EEEvT1_ ; -- Begin function _ZN7rocprim17ROCPRIM_400000_NS6detail17trampoline_kernelINS0_14default_configENS1_35adjacent_difference_config_selectorILb0EhEEZNS1_24adjacent_difference_implIS3_Lb0ELb0EPhS7_N6thrust23THRUST_200600_302600_NS5minusIhEEEE10hipError_tPvRmT2_T3_mT4_P12ihipStream_tbEUlT_E_NS1_11comp_targetILNS1_3genE2ELNS1_11target_archE906ELNS1_3gpuE6ELNS1_3repE0EEENS1_30default_config_static_selectorELNS0_4arch9wavefront6targetE1EEEvT1_
	.globl	_ZN7rocprim17ROCPRIM_400000_NS6detail17trampoline_kernelINS0_14default_configENS1_35adjacent_difference_config_selectorILb0EhEEZNS1_24adjacent_difference_implIS3_Lb0ELb0EPhS7_N6thrust23THRUST_200600_302600_NS5minusIhEEEE10hipError_tPvRmT2_T3_mT4_P12ihipStream_tbEUlT_E_NS1_11comp_targetILNS1_3genE2ELNS1_11target_archE906ELNS1_3gpuE6ELNS1_3repE0EEENS1_30default_config_static_selectorELNS0_4arch9wavefront6targetE1EEEvT1_
	.p2align	8
	.type	_ZN7rocprim17ROCPRIM_400000_NS6detail17trampoline_kernelINS0_14default_configENS1_35adjacent_difference_config_selectorILb0EhEEZNS1_24adjacent_difference_implIS3_Lb0ELb0EPhS7_N6thrust23THRUST_200600_302600_NS5minusIhEEEE10hipError_tPvRmT2_T3_mT4_P12ihipStream_tbEUlT_E_NS1_11comp_targetILNS1_3genE2ELNS1_11target_archE906ELNS1_3gpuE6ELNS1_3repE0EEENS1_30default_config_static_selectorELNS0_4arch9wavefront6targetE1EEEvT1_,@function
_ZN7rocprim17ROCPRIM_400000_NS6detail17trampoline_kernelINS0_14default_configENS1_35adjacent_difference_config_selectorILb0EhEEZNS1_24adjacent_difference_implIS3_Lb0ELb0EPhS7_N6thrust23THRUST_200600_302600_NS5minusIhEEEE10hipError_tPvRmT2_T3_mT4_P12ihipStream_tbEUlT_E_NS1_11comp_targetILNS1_3genE2ELNS1_11target_archE906ELNS1_3gpuE6ELNS1_3repE0EEENS1_30default_config_static_selectorELNS0_4arch9wavefront6targetE1EEEvT1_: ; @_ZN7rocprim17ROCPRIM_400000_NS6detail17trampoline_kernelINS0_14default_configENS1_35adjacent_difference_config_selectorILb0EhEEZNS1_24adjacent_difference_implIS3_Lb0ELb0EPhS7_N6thrust23THRUST_200600_302600_NS5minusIhEEEE10hipError_tPvRmT2_T3_mT4_P12ihipStream_tbEUlT_E_NS1_11comp_targetILNS1_3genE2ELNS1_11target_archE906ELNS1_3gpuE6ELNS1_3repE0EEENS1_30default_config_static_selectorELNS0_4arch9wavefront6targetE1EEEvT1_
; %bb.0:
	.section	.rodata,"a",@progbits
	.p2align	6, 0x0
	.amdhsa_kernel _ZN7rocprim17ROCPRIM_400000_NS6detail17trampoline_kernelINS0_14default_configENS1_35adjacent_difference_config_selectorILb0EhEEZNS1_24adjacent_difference_implIS3_Lb0ELb0EPhS7_N6thrust23THRUST_200600_302600_NS5minusIhEEEE10hipError_tPvRmT2_T3_mT4_P12ihipStream_tbEUlT_E_NS1_11comp_targetILNS1_3genE2ELNS1_11target_archE906ELNS1_3gpuE6ELNS1_3repE0EEENS1_30default_config_static_selectorELNS0_4arch9wavefront6targetE1EEEvT1_
		.amdhsa_group_segment_fixed_size 0
		.amdhsa_private_segment_fixed_size 0
		.amdhsa_kernarg_size 56
		.amdhsa_user_sgpr_count 2
		.amdhsa_user_sgpr_dispatch_ptr 0
		.amdhsa_user_sgpr_queue_ptr 0
		.amdhsa_user_sgpr_kernarg_segment_ptr 1
		.amdhsa_user_sgpr_dispatch_id 0
		.amdhsa_user_sgpr_kernarg_preload_length 0
		.amdhsa_user_sgpr_kernarg_preload_offset 0
		.amdhsa_user_sgpr_private_segment_size 0
		.amdhsa_uses_dynamic_stack 0
		.amdhsa_enable_private_segment 0
		.amdhsa_system_sgpr_workgroup_id_x 1
		.amdhsa_system_sgpr_workgroup_id_y 0
		.amdhsa_system_sgpr_workgroup_id_z 0
		.amdhsa_system_sgpr_workgroup_info 0
		.amdhsa_system_vgpr_workitem_id 0
		.amdhsa_next_free_vgpr 1
		.amdhsa_next_free_sgpr 0
		.amdhsa_accum_offset 4
		.amdhsa_reserve_vcc 0
		.amdhsa_float_round_mode_32 0
		.amdhsa_float_round_mode_16_64 0
		.amdhsa_float_denorm_mode_32 3
		.amdhsa_float_denorm_mode_16_64 3
		.amdhsa_dx10_clamp 1
		.amdhsa_ieee_mode 1
		.amdhsa_fp16_overflow 0
		.amdhsa_tg_split 0
		.amdhsa_exception_fp_ieee_invalid_op 0
		.amdhsa_exception_fp_denorm_src 0
		.amdhsa_exception_fp_ieee_div_zero 0
		.amdhsa_exception_fp_ieee_overflow 0
		.amdhsa_exception_fp_ieee_underflow 0
		.amdhsa_exception_fp_ieee_inexact 0
		.amdhsa_exception_int_div_zero 0
	.end_amdhsa_kernel
	.section	.text._ZN7rocprim17ROCPRIM_400000_NS6detail17trampoline_kernelINS0_14default_configENS1_35adjacent_difference_config_selectorILb0EhEEZNS1_24adjacent_difference_implIS3_Lb0ELb0EPhS7_N6thrust23THRUST_200600_302600_NS5minusIhEEEE10hipError_tPvRmT2_T3_mT4_P12ihipStream_tbEUlT_E_NS1_11comp_targetILNS1_3genE2ELNS1_11target_archE906ELNS1_3gpuE6ELNS1_3repE0EEENS1_30default_config_static_selectorELNS0_4arch9wavefront6targetE1EEEvT1_,"axG",@progbits,_ZN7rocprim17ROCPRIM_400000_NS6detail17trampoline_kernelINS0_14default_configENS1_35adjacent_difference_config_selectorILb0EhEEZNS1_24adjacent_difference_implIS3_Lb0ELb0EPhS7_N6thrust23THRUST_200600_302600_NS5minusIhEEEE10hipError_tPvRmT2_T3_mT4_P12ihipStream_tbEUlT_E_NS1_11comp_targetILNS1_3genE2ELNS1_11target_archE906ELNS1_3gpuE6ELNS1_3repE0EEENS1_30default_config_static_selectorELNS0_4arch9wavefront6targetE1EEEvT1_,comdat
.Lfunc_end268:
	.size	_ZN7rocprim17ROCPRIM_400000_NS6detail17trampoline_kernelINS0_14default_configENS1_35adjacent_difference_config_selectorILb0EhEEZNS1_24adjacent_difference_implIS3_Lb0ELb0EPhS7_N6thrust23THRUST_200600_302600_NS5minusIhEEEE10hipError_tPvRmT2_T3_mT4_P12ihipStream_tbEUlT_E_NS1_11comp_targetILNS1_3genE2ELNS1_11target_archE906ELNS1_3gpuE6ELNS1_3repE0EEENS1_30default_config_static_selectorELNS0_4arch9wavefront6targetE1EEEvT1_, .Lfunc_end268-_ZN7rocprim17ROCPRIM_400000_NS6detail17trampoline_kernelINS0_14default_configENS1_35adjacent_difference_config_selectorILb0EhEEZNS1_24adjacent_difference_implIS3_Lb0ELb0EPhS7_N6thrust23THRUST_200600_302600_NS5minusIhEEEE10hipError_tPvRmT2_T3_mT4_P12ihipStream_tbEUlT_E_NS1_11comp_targetILNS1_3genE2ELNS1_11target_archE906ELNS1_3gpuE6ELNS1_3repE0EEENS1_30default_config_static_selectorELNS0_4arch9wavefront6targetE1EEEvT1_
                                        ; -- End function
	.section	.AMDGPU.csdata,"",@progbits
; Kernel info:
; codeLenInByte = 0
; NumSgprs: 6
; NumVgprs: 0
; NumAgprs: 0
; TotalNumVgprs: 0
; ScratchSize: 0
; MemoryBound: 0
; FloatMode: 240
; IeeeMode: 1
; LDSByteSize: 0 bytes/workgroup (compile time only)
; SGPRBlocks: 0
; VGPRBlocks: 0
; NumSGPRsForWavesPerEU: 6
; NumVGPRsForWavesPerEU: 1
; AccumOffset: 4
; Occupancy: 8
; WaveLimiterHint : 0
; COMPUTE_PGM_RSRC2:SCRATCH_EN: 0
; COMPUTE_PGM_RSRC2:USER_SGPR: 2
; COMPUTE_PGM_RSRC2:TRAP_HANDLER: 0
; COMPUTE_PGM_RSRC2:TGID_X_EN: 1
; COMPUTE_PGM_RSRC2:TGID_Y_EN: 0
; COMPUTE_PGM_RSRC2:TGID_Z_EN: 0
; COMPUTE_PGM_RSRC2:TIDIG_COMP_CNT: 0
; COMPUTE_PGM_RSRC3_GFX90A:ACCUM_OFFSET: 0
; COMPUTE_PGM_RSRC3_GFX90A:TG_SPLIT: 0
	.section	.text._ZN7rocprim17ROCPRIM_400000_NS6detail17trampoline_kernelINS0_14default_configENS1_35adjacent_difference_config_selectorILb0EhEEZNS1_24adjacent_difference_implIS3_Lb0ELb0EPhS7_N6thrust23THRUST_200600_302600_NS5minusIhEEEE10hipError_tPvRmT2_T3_mT4_P12ihipStream_tbEUlT_E_NS1_11comp_targetILNS1_3genE9ELNS1_11target_archE1100ELNS1_3gpuE3ELNS1_3repE0EEENS1_30default_config_static_selectorELNS0_4arch9wavefront6targetE1EEEvT1_,"axG",@progbits,_ZN7rocprim17ROCPRIM_400000_NS6detail17trampoline_kernelINS0_14default_configENS1_35adjacent_difference_config_selectorILb0EhEEZNS1_24adjacent_difference_implIS3_Lb0ELb0EPhS7_N6thrust23THRUST_200600_302600_NS5minusIhEEEE10hipError_tPvRmT2_T3_mT4_P12ihipStream_tbEUlT_E_NS1_11comp_targetILNS1_3genE9ELNS1_11target_archE1100ELNS1_3gpuE3ELNS1_3repE0EEENS1_30default_config_static_selectorELNS0_4arch9wavefront6targetE1EEEvT1_,comdat
	.protected	_ZN7rocprim17ROCPRIM_400000_NS6detail17trampoline_kernelINS0_14default_configENS1_35adjacent_difference_config_selectorILb0EhEEZNS1_24adjacent_difference_implIS3_Lb0ELb0EPhS7_N6thrust23THRUST_200600_302600_NS5minusIhEEEE10hipError_tPvRmT2_T3_mT4_P12ihipStream_tbEUlT_E_NS1_11comp_targetILNS1_3genE9ELNS1_11target_archE1100ELNS1_3gpuE3ELNS1_3repE0EEENS1_30default_config_static_selectorELNS0_4arch9wavefront6targetE1EEEvT1_ ; -- Begin function _ZN7rocprim17ROCPRIM_400000_NS6detail17trampoline_kernelINS0_14default_configENS1_35adjacent_difference_config_selectorILb0EhEEZNS1_24adjacent_difference_implIS3_Lb0ELb0EPhS7_N6thrust23THRUST_200600_302600_NS5minusIhEEEE10hipError_tPvRmT2_T3_mT4_P12ihipStream_tbEUlT_E_NS1_11comp_targetILNS1_3genE9ELNS1_11target_archE1100ELNS1_3gpuE3ELNS1_3repE0EEENS1_30default_config_static_selectorELNS0_4arch9wavefront6targetE1EEEvT1_
	.globl	_ZN7rocprim17ROCPRIM_400000_NS6detail17trampoline_kernelINS0_14default_configENS1_35adjacent_difference_config_selectorILb0EhEEZNS1_24adjacent_difference_implIS3_Lb0ELb0EPhS7_N6thrust23THRUST_200600_302600_NS5minusIhEEEE10hipError_tPvRmT2_T3_mT4_P12ihipStream_tbEUlT_E_NS1_11comp_targetILNS1_3genE9ELNS1_11target_archE1100ELNS1_3gpuE3ELNS1_3repE0EEENS1_30default_config_static_selectorELNS0_4arch9wavefront6targetE1EEEvT1_
	.p2align	8
	.type	_ZN7rocprim17ROCPRIM_400000_NS6detail17trampoline_kernelINS0_14default_configENS1_35adjacent_difference_config_selectorILb0EhEEZNS1_24adjacent_difference_implIS3_Lb0ELb0EPhS7_N6thrust23THRUST_200600_302600_NS5minusIhEEEE10hipError_tPvRmT2_T3_mT4_P12ihipStream_tbEUlT_E_NS1_11comp_targetILNS1_3genE9ELNS1_11target_archE1100ELNS1_3gpuE3ELNS1_3repE0EEENS1_30default_config_static_selectorELNS0_4arch9wavefront6targetE1EEEvT1_,@function
_ZN7rocprim17ROCPRIM_400000_NS6detail17trampoline_kernelINS0_14default_configENS1_35adjacent_difference_config_selectorILb0EhEEZNS1_24adjacent_difference_implIS3_Lb0ELb0EPhS7_N6thrust23THRUST_200600_302600_NS5minusIhEEEE10hipError_tPvRmT2_T3_mT4_P12ihipStream_tbEUlT_E_NS1_11comp_targetILNS1_3genE9ELNS1_11target_archE1100ELNS1_3gpuE3ELNS1_3repE0EEENS1_30default_config_static_selectorELNS0_4arch9wavefront6targetE1EEEvT1_: ; @_ZN7rocprim17ROCPRIM_400000_NS6detail17trampoline_kernelINS0_14default_configENS1_35adjacent_difference_config_selectorILb0EhEEZNS1_24adjacent_difference_implIS3_Lb0ELb0EPhS7_N6thrust23THRUST_200600_302600_NS5minusIhEEEE10hipError_tPvRmT2_T3_mT4_P12ihipStream_tbEUlT_E_NS1_11comp_targetILNS1_3genE9ELNS1_11target_archE1100ELNS1_3gpuE3ELNS1_3repE0EEENS1_30default_config_static_selectorELNS0_4arch9wavefront6targetE1EEEvT1_
; %bb.0:
	.section	.rodata,"a",@progbits
	.p2align	6, 0x0
	.amdhsa_kernel _ZN7rocprim17ROCPRIM_400000_NS6detail17trampoline_kernelINS0_14default_configENS1_35adjacent_difference_config_selectorILb0EhEEZNS1_24adjacent_difference_implIS3_Lb0ELb0EPhS7_N6thrust23THRUST_200600_302600_NS5minusIhEEEE10hipError_tPvRmT2_T3_mT4_P12ihipStream_tbEUlT_E_NS1_11comp_targetILNS1_3genE9ELNS1_11target_archE1100ELNS1_3gpuE3ELNS1_3repE0EEENS1_30default_config_static_selectorELNS0_4arch9wavefront6targetE1EEEvT1_
		.amdhsa_group_segment_fixed_size 0
		.amdhsa_private_segment_fixed_size 0
		.amdhsa_kernarg_size 56
		.amdhsa_user_sgpr_count 2
		.amdhsa_user_sgpr_dispatch_ptr 0
		.amdhsa_user_sgpr_queue_ptr 0
		.amdhsa_user_sgpr_kernarg_segment_ptr 1
		.amdhsa_user_sgpr_dispatch_id 0
		.amdhsa_user_sgpr_kernarg_preload_length 0
		.amdhsa_user_sgpr_kernarg_preload_offset 0
		.amdhsa_user_sgpr_private_segment_size 0
		.amdhsa_uses_dynamic_stack 0
		.amdhsa_enable_private_segment 0
		.amdhsa_system_sgpr_workgroup_id_x 1
		.amdhsa_system_sgpr_workgroup_id_y 0
		.amdhsa_system_sgpr_workgroup_id_z 0
		.amdhsa_system_sgpr_workgroup_info 0
		.amdhsa_system_vgpr_workitem_id 0
		.amdhsa_next_free_vgpr 1
		.amdhsa_next_free_sgpr 0
		.amdhsa_accum_offset 4
		.amdhsa_reserve_vcc 0
		.amdhsa_float_round_mode_32 0
		.amdhsa_float_round_mode_16_64 0
		.amdhsa_float_denorm_mode_32 3
		.amdhsa_float_denorm_mode_16_64 3
		.amdhsa_dx10_clamp 1
		.amdhsa_ieee_mode 1
		.amdhsa_fp16_overflow 0
		.amdhsa_tg_split 0
		.amdhsa_exception_fp_ieee_invalid_op 0
		.amdhsa_exception_fp_denorm_src 0
		.amdhsa_exception_fp_ieee_div_zero 0
		.amdhsa_exception_fp_ieee_overflow 0
		.amdhsa_exception_fp_ieee_underflow 0
		.amdhsa_exception_fp_ieee_inexact 0
		.amdhsa_exception_int_div_zero 0
	.end_amdhsa_kernel
	.section	.text._ZN7rocprim17ROCPRIM_400000_NS6detail17trampoline_kernelINS0_14default_configENS1_35adjacent_difference_config_selectorILb0EhEEZNS1_24adjacent_difference_implIS3_Lb0ELb0EPhS7_N6thrust23THRUST_200600_302600_NS5minusIhEEEE10hipError_tPvRmT2_T3_mT4_P12ihipStream_tbEUlT_E_NS1_11comp_targetILNS1_3genE9ELNS1_11target_archE1100ELNS1_3gpuE3ELNS1_3repE0EEENS1_30default_config_static_selectorELNS0_4arch9wavefront6targetE1EEEvT1_,"axG",@progbits,_ZN7rocprim17ROCPRIM_400000_NS6detail17trampoline_kernelINS0_14default_configENS1_35adjacent_difference_config_selectorILb0EhEEZNS1_24adjacent_difference_implIS3_Lb0ELb0EPhS7_N6thrust23THRUST_200600_302600_NS5minusIhEEEE10hipError_tPvRmT2_T3_mT4_P12ihipStream_tbEUlT_E_NS1_11comp_targetILNS1_3genE9ELNS1_11target_archE1100ELNS1_3gpuE3ELNS1_3repE0EEENS1_30default_config_static_selectorELNS0_4arch9wavefront6targetE1EEEvT1_,comdat
.Lfunc_end269:
	.size	_ZN7rocprim17ROCPRIM_400000_NS6detail17trampoline_kernelINS0_14default_configENS1_35adjacent_difference_config_selectorILb0EhEEZNS1_24adjacent_difference_implIS3_Lb0ELb0EPhS7_N6thrust23THRUST_200600_302600_NS5minusIhEEEE10hipError_tPvRmT2_T3_mT4_P12ihipStream_tbEUlT_E_NS1_11comp_targetILNS1_3genE9ELNS1_11target_archE1100ELNS1_3gpuE3ELNS1_3repE0EEENS1_30default_config_static_selectorELNS0_4arch9wavefront6targetE1EEEvT1_, .Lfunc_end269-_ZN7rocprim17ROCPRIM_400000_NS6detail17trampoline_kernelINS0_14default_configENS1_35adjacent_difference_config_selectorILb0EhEEZNS1_24adjacent_difference_implIS3_Lb0ELb0EPhS7_N6thrust23THRUST_200600_302600_NS5minusIhEEEE10hipError_tPvRmT2_T3_mT4_P12ihipStream_tbEUlT_E_NS1_11comp_targetILNS1_3genE9ELNS1_11target_archE1100ELNS1_3gpuE3ELNS1_3repE0EEENS1_30default_config_static_selectorELNS0_4arch9wavefront6targetE1EEEvT1_
                                        ; -- End function
	.section	.AMDGPU.csdata,"",@progbits
; Kernel info:
; codeLenInByte = 0
; NumSgprs: 6
; NumVgprs: 0
; NumAgprs: 0
; TotalNumVgprs: 0
; ScratchSize: 0
; MemoryBound: 0
; FloatMode: 240
; IeeeMode: 1
; LDSByteSize: 0 bytes/workgroup (compile time only)
; SGPRBlocks: 0
; VGPRBlocks: 0
; NumSGPRsForWavesPerEU: 6
; NumVGPRsForWavesPerEU: 1
; AccumOffset: 4
; Occupancy: 8
; WaveLimiterHint : 0
; COMPUTE_PGM_RSRC2:SCRATCH_EN: 0
; COMPUTE_PGM_RSRC2:USER_SGPR: 2
; COMPUTE_PGM_RSRC2:TRAP_HANDLER: 0
; COMPUTE_PGM_RSRC2:TGID_X_EN: 1
; COMPUTE_PGM_RSRC2:TGID_Y_EN: 0
; COMPUTE_PGM_RSRC2:TGID_Z_EN: 0
; COMPUTE_PGM_RSRC2:TIDIG_COMP_CNT: 0
; COMPUTE_PGM_RSRC3_GFX90A:ACCUM_OFFSET: 0
; COMPUTE_PGM_RSRC3_GFX90A:TG_SPLIT: 0
	.section	.text._ZN7rocprim17ROCPRIM_400000_NS6detail17trampoline_kernelINS0_14default_configENS1_35adjacent_difference_config_selectorILb0EhEEZNS1_24adjacent_difference_implIS3_Lb0ELb0EPhS7_N6thrust23THRUST_200600_302600_NS5minusIhEEEE10hipError_tPvRmT2_T3_mT4_P12ihipStream_tbEUlT_E_NS1_11comp_targetILNS1_3genE8ELNS1_11target_archE1030ELNS1_3gpuE2ELNS1_3repE0EEENS1_30default_config_static_selectorELNS0_4arch9wavefront6targetE1EEEvT1_,"axG",@progbits,_ZN7rocprim17ROCPRIM_400000_NS6detail17trampoline_kernelINS0_14default_configENS1_35adjacent_difference_config_selectorILb0EhEEZNS1_24adjacent_difference_implIS3_Lb0ELb0EPhS7_N6thrust23THRUST_200600_302600_NS5minusIhEEEE10hipError_tPvRmT2_T3_mT4_P12ihipStream_tbEUlT_E_NS1_11comp_targetILNS1_3genE8ELNS1_11target_archE1030ELNS1_3gpuE2ELNS1_3repE0EEENS1_30default_config_static_selectorELNS0_4arch9wavefront6targetE1EEEvT1_,comdat
	.protected	_ZN7rocprim17ROCPRIM_400000_NS6detail17trampoline_kernelINS0_14default_configENS1_35adjacent_difference_config_selectorILb0EhEEZNS1_24adjacent_difference_implIS3_Lb0ELb0EPhS7_N6thrust23THRUST_200600_302600_NS5minusIhEEEE10hipError_tPvRmT2_T3_mT4_P12ihipStream_tbEUlT_E_NS1_11comp_targetILNS1_3genE8ELNS1_11target_archE1030ELNS1_3gpuE2ELNS1_3repE0EEENS1_30default_config_static_selectorELNS0_4arch9wavefront6targetE1EEEvT1_ ; -- Begin function _ZN7rocprim17ROCPRIM_400000_NS6detail17trampoline_kernelINS0_14default_configENS1_35adjacent_difference_config_selectorILb0EhEEZNS1_24adjacent_difference_implIS3_Lb0ELb0EPhS7_N6thrust23THRUST_200600_302600_NS5minusIhEEEE10hipError_tPvRmT2_T3_mT4_P12ihipStream_tbEUlT_E_NS1_11comp_targetILNS1_3genE8ELNS1_11target_archE1030ELNS1_3gpuE2ELNS1_3repE0EEENS1_30default_config_static_selectorELNS0_4arch9wavefront6targetE1EEEvT1_
	.globl	_ZN7rocprim17ROCPRIM_400000_NS6detail17trampoline_kernelINS0_14default_configENS1_35adjacent_difference_config_selectorILb0EhEEZNS1_24adjacent_difference_implIS3_Lb0ELb0EPhS7_N6thrust23THRUST_200600_302600_NS5minusIhEEEE10hipError_tPvRmT2_T3_mT4_P12ihipStream_tbEUlT_E_NS1_11comp_targetILNS1_3genE8ELNS1_11target_archE1030ELNS1_3gpuE2ELNS1_3repE0EEENS1_30default_config_static_selectorELNS0_4arch9wavefront6targetE1EEEvT1_
	.p2align	8
	.type	_ZN7rocprim17ROCPRIM_400000_NS6detail17trampoline_kernelINS0_14default_configENS1_35adjacent_difference_config_selectorILb0EhEEZNS1_24adjacent_difference_implIS3_Lb0ELb0EPhS7_N6thrust23THRUST_200600_302600_NS5minusIhEEEE10hipError_tPvRmT2_T3_mT4_P12ihipStream_tbEUlT_E_NS1_11comp_targetILNS1_3genE8ELNS1_11target_archE1030ELNS1_3gpuE2ELNS1_3repE0EEENS1_30default_config_static_selectorELNS0_4arch9wavefront6targetE1EEEvT1_,@function
_ZN7rocprim17ROCPRIM_400000_NS6detail17trampoline_kernelINS0_14default_configENS1_35adjacent_difference_config_selectorILb0EhEEZNS1_24adjacent_difference_implIS3_Lb0ELb0EPhS7_N6thrust23THRUST_200600_302600_NS5minusIhEEEE10hipError_tPvRmT2_T3_mT4_P12ihipStream_tbEUlT_E_NS1_11comp_targetILNS1_3genE8ELNS1_11target_archE1030ELNS1_3gpuE2ELNS1_3repE0EEENS1_30default_config_static_selectorELNS0_4arch9wavefront6targetE1EEEvT1_: ; @_ZN7rocprim17ROCPRIM_400000_NS6detail17trampoline_kernelINS0_14default_configENS1_35adjacent_difference_config_selectorILb0EhEEZNS1_24adjacent_difference_implIS3_Lb0ELb0EPhS7_N6thrust23THRUST_200600_302600_NS5minusIhEEEE10hipError_tPvRmT2_T3_mT4_P12ihipStream_tbEUlT_E_NS1_11comp_targetILNS1_3genE8ELNS1_11target_archE1030ELNS1_3gpuE2ELNS1_3repE0EEENS1_30default_config_static_selectorELNS0_4arch9wavefront6targetE1EEEvT1_
; %bb.0:
	.section	.rodata,"a",@progbits
	.p2align	6, 0x0
	.amdhsa_kernel _ZN7rocprim17ROCPRIM_400000_NS6detail17trampoline_kernelINS0_14default_configENS1_35adjacent_difference_config_selectorILb0EhEEZNS1_24adjacent_difference_implIS3_Lb0ELb0EPhS7_N6thrust23THRUST_200600_302600_NS5minusIhEEEE10hipError_tPvRmT2_T3_mT4_P12ihipStream_tbEUlT_E_NS1_11comp_targetILNS1_3genE8ELNS1_11target_archE1030ELNS1_3gpuE2ELNS1_3repE0EEENS1_30default_config_static_selectorELNS0_4arch9wavefront6targetE1EEEvT1_
		.amdhsa_group_segment_fixed_size 0
		.amdhsa_private_segment_fixed_size 0
		.amdhsa_kernarg_size 56
		.amdhsa_user_sgpr_count 2
		.amdhsa_user_sgpr_dispatch_ptr 0
		.amdhsa_user_sgpr_queue_ptr 0
		.amdhsa_user_sgpr_kernarg_segment_ptr 1
		.amdhsa_user_sgpr_dispatch_id 0
		.amdhsa_user_sgpr_kernarg_preload_length 0
		.amdhsa_user_sgpr_kernarg_preload_offset 0
		.amdhsa_user_sgpr_private_segment_size 0
		.amdhsa_uses_dynamic_stack 0
		.amdhsa_enable_private_segment 0
		.amdhsa_system_sgpr_workgroup_id_x 1
		.amdhsa_system_sgpr_workgroup_id_y 0
		.amdhsa_system_sgpr_workgroup_id_z 0
		.amdhsa_system_sgpr_workgroup_info 0
		.amdhsa_system_vgpr_workitem_id 0
		.amdhsa_next_free_vgpr 1
		.amdhsa_next_free_sgpr 0
		.amdhsa_accum_offset 4
		.amdhsa_reserve_vcc 0
		.amdhsa_float_round_mode_32 0
		.amdhsa_float_round_mode_16_64 0
		.amdhsa_float_denorm_mode_32 3
		.amdhsa_float_denorm_mode_16_64 3
		.amdhsa_dx10_clamp 1
		.amdhsa_ieee_mode 1
		.amdhsa_fp16_overflow 0
		.amdhsa_tg_split 0
		.amdhsa_exception_fp_ieee_invalid_op 0
		.amdhsa_exception_fp_denorm_src 0
		.amdhsa_exception_fp_ieee_div_zero 0
		.amdhsa_exception_fp_ieee_overflow 0
		.amdhsa_exception_fp_ieee_underflow 0
		.amdhsa_exception_fp_ieee_inexact 0
		.amdhsa_exception_int_div_zero 0
	.end_amdhsa_kernel
	.section	.text._ZN7rocprim17ROCPRIM_400000_NS6detail17trampoline_kernelINS0_14default_configENS1_35adjacent_difference_config_selectorILb0EhEEZNS1_24adjacent_difference_implIS3_Lb0ELb0EPhS7_N6thrust23THRUST_200600_302600_NS5minusIhEEEE10hipError_tPvRmT2_T3_mT4_P12ihipStream_tbEUlT_E_NS1_11comp_targetILNS1_3genE8ELNS1_11target_archE1030ELNS1_3gpuE2ELNS1_3repE0EEENS1_30default_config_static_selectorELNS0_4arch9wavefront6targetE1EEEvT1_,"axG",@progbits,_ZN7rocprim17ROCPRIM_400000_NS6detail17trampoline_kernelINS0_14default_configENS1_35adjacent_difference_config_selectorILb0EhEEZNS1_24adjacent_difference_implIS3_Lb0ELb0EPhS7_N6thrust23THRUST_200600_302600_NS5minusIhEEEE10hipError_tPvRmT2_T3_mT4_P12ihipStream_tbEUlT_E_NS1_11comp_targetILNS1_3genE8ELNS1_11target_archE1030ELNS1_3gpuE2ELNS1_3repE0EEENS1_30default_config_static_selectorELNS0_4arch9wavefront6targetE1EEEvT1_,comdat
.Lfunc_end270:
	.size	_ZN7rocprim17ROCPRIM_400000_NS6detail17trampoline_kernelINS0_14default_configENS1_35adjacent_difference_config_selectorILb0EhEEZNS1_24adjacent_difference_implIS3_Lb0ELb0EPhS7_N6thrust23THRUST_200600_302600_NS5minusIhEEEE10hipError_tPvRmT2_T3_mT4_P12ihipStream_tbEUlT_E_NS1_11comp_targetILNS1_3genE8ELNS1_11target_archE1030ELNS1_3gpuE2ELNS1_3repE0EEENS1_30default_config_static_selectorELNS0_4arch9wavefront6targetE1EEEvT1_, .Lfunc_end270-_ZN7rocprim17ROCPRIM_400000_NS6detail17trampoline_kernelINS0_14default_configENS1_35adjacent_difference_config_selectorILb0EhEEZNS1_24adjacent_difference_implIS3_Lb0ELb0EPhS7_N6thrust23THRUST_200600_302600_NS5minusIhEEEE10hipError_tPvRmT2_T3_mT4_P12ihipStream_tbEUlT_E_NS1_11comp_targetILNS1_3genE8ELNS1_11target_archE1030ELNS1_3gpuE2ELNS1_3repE0EEENS1_30default_config_static_selectorELNS0_4arch9wavefront6targetE1EEEvT1_
                                        ; -- End function
	.section	.AMDGPU.csdata,"",@progbits
; Kernel info:
; codeLenInByte = 0
; NumSgprs: 6
; NumVgprs: 0
; NumAgprs: 0
; TotalNumVgprs: 0
; ScratchSize: 0
; MemoryBound: 0
; FloatMode: 240
; IeeeMode: 1
; LDSByteSize: 0 bytes/workgroup (compile time only)
; SGPRBlocks: 0
; VGPRBlocks: 0
; NumSGPRsForWavesPerEU: 6
; NumVGPRsForWavesPerEU: 1
; AccumOffset: 4
; Occupancy: 8
; WaveLimiterHint : 0
; COMPUTE_PGM_RSRC2:SCRATCH_EN: 0
; COMPUTE_PGM_RSRC2:USER_SGPR: 2
; COMPUTE_PGM_RSRC2:TRAP_HANDLER: 0
; COMPUTE_PGM_RSRC2:TGID_X_EN: 1
; COMPUTE_PGM_RSRC2:TGID_Y_EN: 0
; COMPUTE_PGM_RSRC2:TGID_Z_EN: 0
; COMPUTE_PGM_RSRC2:TIDIG_COMP_CNT: 0
; COMPUTE_PGM_RSRC3_GFX90A:ACCUM_OFFSET: 0
; COMPUTE_PGM_RSRC3_GFX90A:TG_SPLIT: 0
	.section	.text._ZN7rocprim17ROCPRIM_400000_NS6detail17trampoline_kernelINS0_14default_configENS1_25transform_config_selectorIhLb0EEEZNS1_14transform_implILb0ES3_S5_NS0_18transform_iteratorINS0_17counting_iteratorImlEEZNS1_24adjacent_difference_implIS3_Lb1ELb0EPhSB_N6thrust23THRUST_200600_302600_NS5minusIhEEEE10hipError_tPvRmT2_T3_mT4_P12ihipStream_tbEUlmE_hEESB_NS0_8identityIvEEEESG_SJ_SK_mSL_SN_bEUlT_E_NS1_11comp_targetILNS1_3genE0ELNS1_11target_archE4294967295ELNS1_3gpuE0ELNS1_3repE0EEENS1_30default_config_static_selectorELNS0_4arch9wavefront6targetE1EEEvT1_,"axG",@progbits,_ZN7rocprim17ROCPRIM_400000_NS6detail17trampoline_kernelINS0_14default_configENS1_25transform_config_selectorIhLb0EEEZNS1_14transform_implILb0ES3_S5_NS0_18transform_iteratorINS0_17counting_iteratorImlEEZNS1_24adjacent_difference_implIS3_Lb1ELb0EPhSB_N6thrust23THRUST_200600_302600_NS5minusIhEEEE10hipError_tPvRmT2_T3_mT4_P12ihipStream_tbEUlmE_hEESB_NS0_8identityIvEEEESG_SJ_SK_mSL_SN_bEUlT_E_NS1_11comp_targetILNS1_3genE0ELNS1_11target_archE4294967295ELNS1_3gpuE0ELNS1_3repE0EEENS1_30default_config_static_selectorELNS0_4arch9wavefront6targetE1EEEvT1_,comdat
	.protected	_ZN7rocprim17ROCPRIM_400000_NS6detail17trampoline_kernelINS0_14default_configENS1_25transform_config_selectorIhLb0EEEZNS1_14transform_implILb0ES3_S5_NS0_18transform_iteratorINS0_17counting_iteratorImlEEZNS1_24adjacent_difference_implIS3_Lb1ELb0EPhSB_N6thrust23THRUST_200600_302600_NS5minusIhEEEE10hipError_tPvRmT2_T3_mT4_P12ihipStream_tbEUlmE_hEESB_NS0_8identityIvEEEESG_SJ_SK_mSL_SN_bEUlT_E_NS1_11comp_targetILNS1_3genE0ELNS1_11target_archE4294967295ELNS1_3gpuE0ELNS1_3repE0EEENS1_30default_config_static_selectorELNS0_4arch9wavefront6targetE1EEEvT1_ ; -- Begin function _ZN7rocprim17ROCPRIM_400000_NS6detail17trampoline_kernelINS0_14default_configENS1_25transform_config_selectorIhLb0EEEZNS1_14transform_implILb0ES3_S5_NS0_18transform_iteratorINS0_17counting_iteratorImlEEZNS1_24adjacent_difference_implIS3_Lb1ELb0EPhSB_N6thrust23THRUST_200600_302600_NS5minusIhEEEE10hipError_tPvRmT2_T3_mT4_P12ihipStream_tbEUlmE_hEESB_NS0_8identityIvEEEESG_SJ_SK_mSL_SN_bEUlT_E_NS1_11comp_targetILNS1_3genE0ELNS1_11target_archE4294967295ELNS1_3gpuE0ELNS1_3repE0EEENS1_30default_config_static_selectorELNS0_4arch9wavefront6targetE1EEEvT1_
	.globl	_ZN7rocprim17ROCPRIM_400000_NS6detail17trampoline_kernelINS0_14default_configENS1_25transform_config_selectorIhLb0EEEZNS1_14transform_implILb0ES3_S5_NS0_18transform_iteratorINS0_17counting_iteratorImlEEZNS1_24adjacent_difference_implIS3_Lb1ELb0EPhSB_N6thrust23THRUST_200600_302600_NS5minusIhEEEE10hipError_tPvRmT2_T3_mT4_P12ihipStream_tbEUlmE_hEESB_NS0_8identityIvEEEESG_SJ_SK_mSL_SN_bEUlT_E_NS1_11comp_targetILNS1_3genE0ELNS1_11target_archE4294967295ELNS1_3gpuE0ELNS1_3repE0EEENS1_30default_config_static_selectorELNS0_4arch9wavefront6targetE1EEEvT1_
	.p2align	8
	.type	_ZN7rocprim17ROCPRIM_400000_NS6detail17trampoline_kernelINS0_14default_configENS1_25transform_config_selectorIhLb0EEEZNS1_14transform_implILb0ES3_S5_NS0_18transform_iteratorINS0_17counting_iteratorImlEEZNS1_24adjacent_difference_implIS3_Lb1ELb0EPhSB_N6thrust23THRUST_200600_302600_NS5minusIhEEEE10hipError_tPvRmT2_T3_mT4_P12ihipStream_tbEUlmE_hEESB_NS0_8identityIvEEEESG_SJ_SK_mSL_SN_bEUlT_E_NS1_11comp_targetILNS1_3genE0ELNS1_11target_archE4294967295ELNS1_3gpuE0ELNS1_3repE0EEENS1_30default_config_static_selectorELNS0_4arch9wavefront6targetE1EEEvT1_,@function
_ZN7rocprim17ROCPRIM_400000_NS6detail17trampoline_kernelINS0_14default_configENS1_25transform_config_selectorIhLb0EEEZNS1_14transform_implILb0ES3_S5_NS0_18transform_iteratorINS0_17counting_iteratorImlEEZNS1_24adjacent_difference_implIS3_Lb1ELb0EPhSB_N6thrust23THRUST_200600_302600_NS5minusIhEEEE10hipError_tPvRmT2_T3_mT4_P12ihipStream_tbEUlmE_hEESB_NS0_8identityIvEEEESG_SJ_SK_mSL_SN_bEUlT_E_NS1_11comp_targetILNS1_3genE0ELNS1_11target_archE4294967295ELNS1_3gpuE0ELNS1_3repE0EEENS1_30default_config_static_selectorELNS0_4arch9wavefront6targetE1EEEvT1_: ; @_ZN7rocprim17ROCPRIM_400000_NS6detail17trampoline_kernelINS0_14default_configENS1_25transform_config_selectorIhLb0EEEZNS1_14transform_implILb0ES3_S5_NS0_18transform_iteratorINS0_17counting_iteratorImlEEZNS1_24adjacent_difference_implIS3_Lb1ELb0EPhSB_N6thrust23THRUST_200600_302600_NS5minusIhEEEE10hipError_tPvRmT2_T3_mT4_P12ihipStream_tbEUlmE_hEESB_NS0_8identityIvEEEESG_SJ_SK_mSL_SN_bEUlT_E_NS1_11comp_targetILNS1_3genE0ELNS1_11target_archE4294967295ELNS1_3gpuE0ELNS1_3repE0EEENS1_30default_config_static_selectorELNS0_4arch9wavefront6targetE1EEEvT1_
; %bb.0:
	.section	.rodata,"a",@progbits
	.p2align	6, 0x0
	.amdhsa_kernel _ZN7rocprim17ROCPRIM_400000_NS6detail17trampoline_kernelINS0_14default_configENS1_25transform_config_selectorIhLb0EEEZNS1_14transform_implILb0ES3_S5_NS0_18transform_iteratorINS0_17counting_iteratorImlEEZNS1_24adjacent_difference_implIS3_Lb1ELb0EPhSB_N6thrust23THRUST_200600_302600_NS5minusIhEEEE10hipError_tPvRmT2_T3_mT4_P12ihipStream_tbEUlmE_hEESB_NS0_8identityIvEEEESG_SJ_SK_mSL_SN_bEUlT_E_NS1_11comp_targetILNS1_3genE0ELNS1_11target_archE4294967295ELNS1_3gpuE0ELNS1_3repE0EEENS1_30default_config_static_selectorELNS0_4arch9wavefront6targetE1EEEvT1_
		.amdhsa_group_segment_fixed_size 0
		.amdhsa_private_segment_fixed_size 0
		.amdhsa_kernarg_size 56
		.amdhsa_user_sgpr_count 2
		.amdhsa_user_sgpr_dispatch_ptr 0
		.amdhsa_user_sgpr_queue_ptr 0
		.amdhsa_user_sgpr_kernarg_segment_ptr 1
		.amdhsa_user_sgpr_dispatch_id 0
		.amdhsa_user_sgpr_kernarg_preload_length 0
		.amdhsa_user_sgpr_kernarg_preload_offset 0
		.amdhsa_user_sgpr_private_segment_size 0
		.amdhsa_uses_dynamic_stack 0
		.amdhsa_enable_private_segment 0
		.amdhsa_system_sgpr_workgroup_id_x 1
		.amdhsa_system_sgpr_workgroup_id_y 0
		.amdhsa_system_sgpr_workgroup_id_z 0
		.amdhsa_system_sgpr_workgroup_info 0
		.amdhsa_system_vgpr_workitem_id 0
		.amdhsa_next_free_vgpr 1
		.amdhsa_next_free_sgpr 0
		.amdhsa_accum_offset 4
		.amdhsa_reserve_vcc 0
		.amdhsa_float_round_mode_32 0
		.amdhsa_float_round_mode_16_64 0
		.amdhsa_float_denorm_mode_32 3
		.amdhsa_float_denorm_mode_16_64 3
		.amdhsa_dx10_clamp 1
		.amdhsa_ieee_mode 1
		.amdhsa_fp16_overflow 0
		.amdhsa_tg_split 0
		.amdhsa_exception_fp_ieee_invalid_op 0
		.amdhsa_exception_fp_denorm_src 0
		.amdhsa_exception_fp_ieee_div_zero 0
		.amdhsa_exception_fp_ieee_overflow 0
		.amdhsa_exception_fp_ieee_underflow 0
		.amdhsa_exception_fp_ieee_inexact 0
		.amdhsa_exception_int_div_zero 0
	.end_amdhsa_kernel
	.section	.text._ZN7rocprim17ROCPRIM_400000_NS6detail17trampoline_kernelINS0_14default_configENS1_25transform_config_selectorIhLb0EEEZNS1_14transform_implILb0ES3_S5_NS0_18transform_iteratorINS0_17counting_iteratorImlEEZNS1_24adjacent_difference_implIS3_Lb1ELb0EPhSB_N6thrust23THRUST_200600_302600_NS5minusIhEEEE10hipError_tPvRmT2_T3_mT4_P12ihipStream_tbEUlmE_hEESB_NS0_8identityIvEEEESG_SJ_SK_mSL_SN_bEUlT_E_NS1_11comp_targetILNS1_3genE0ELNS1_11target_archE4294967295ELNS1_3gpuE0ELNS1_3repE0EEENS1_30default_config_static_selectorELNS0_4arch9wavefront6targetE1EEEvT1_,"axG",@progbits,_ZN7rocprim17ROCPRIM_400000_NS6detail17trampoline_kernelINS0_14default_configENS1_25transform_config_selectorIhLb0EEEZNS1_14transform_implILb0ES3_S5_NS0_18transform_iteratorINS0_17counting_iteratorImlEEZNS1_24adjacent_difference_implIS3_Lb1ELb0EPhSB_N6thrust23THRUST_200600_302600_NS5minusIhEEEE10hipError_tPvRmT2_T3_mT4_P12ihipStream_tbEUlmE_hEESB_NS0_8identityIvEEEESG_SJ_SK_mSL_SN_bEUlT_E_NS1_11comp_targetILNS1_3genE0ELNS1_11target_archE4294967295ELNS1_3gpuE0ELNS1_3repE0EEENS1_30default_config_static_selectorELNS0_4arch9wavefront6targetE1EEEvT1_,comdat
.Lfunc_end271:
	.size	_ZN7rocprim17ROCPRIM_400000_NS6detail17trampoline_kernelINS0_14default_configENS1_25transform_config_selectorIhLb0EEEZNS1_14transform_implILb0ES3_S5_NS0_18transform_iteratorINS0_17counting_iteratorImlEEZNS1_24adjacent_difference_implIS3_Lb1ELb0EPhSB_N6thrust23THRUST_200600_302600_NS5minusIhEEEE10hipError_tPvRmT2_T3_mT4_P12ihipStream_tbEUlmE_hEESB_NS0_8identityIvEEEESG_SJ_SK_mSL_SN_bEUlT_E_NS1_11comp_targetILNS1_3genE0ELNS1_11target_archE4294967295ELNS1_3gpuE0ELNS1_3repE0EEENS1_30default_config_static_selectorELNS0_4arch9wavefront6targetE1EEEvT1_, .Lfunc_end271-_ZN7rocprim17ROCPRIM_400000_NS6detail17trampoline_kernelINS0_14default_configENS1_25transform_config_selectorIhLb0EEEZNS1_14transform_implILb0ES3_S5_NS0_18transform_iteratorINS0_17counting_iteratorImlEEZNS1_24adjacent_difference_implIS3_Lb1ELb0EPhSB_N6thrust23THRUST_200600_302600_NS5minusIhEEEE10hipError_tPvRmT2_T3_mT4_P12ihipStream_tbEUlmE_hEESB_NS0_8identityIvEEEESG_SJ_SK_mSL_SN_bEUlT_E_NS1_11comp_targetILNS1_3genE0ELNS1_11target_archE4294967295ELNS1_3gpuE0ELNS1_3repE0EEENS1_30default_config_static_selectorELNS0_4arch9wavefront6targetE1EEEvT1_
                                        ; -- End function
	.section	.AMDGPU.csdata,"",@progbits
; Kernel info:
; codeLenInByte = 0
; NumSgprs: 6
; NumVgprs: 0
; NumAgprs: 0
; TotalNumVgprs: 0
; ScratchSize: 0
; MemoryBound: 0
; FloatMode: 240
; IeeeMode: 1
; LDSByteSize: 0 bytes/workgroup (compile time only)
; SGPRBlocks: 0
; VGPRBlocks: 0
; NumSGPRsForWavesPerEU: 6
; NumVGPRsForWavesPerEU: 1
; AccumOffset: 4
; Occupancy: 8
; WaveLimiterHint : 0
; COMPUTE_PGM_RSRC2:SCRATCH_EN: 0
; COMPUTE_PGM_RSRC2:USER_SGPR: 2
; COMPUTE_PGM_RSRC2:TRAP_HANDLER: 0
; COMPUTE_PGM_RSRC2:TGID_X_EN: 1
; COMPUTE_PGM_RSRC2:TGID_Y_EN: 0
; COMPUTE_PGM_RSRC2:TGID_Z_EN: 0
; COMPUTE_PGM_RSRC2:TIDIG_COMP_CNT: 0
; COMPUTE_PGM_RSRC3_GFX90A:ACCUM_OFFSET: 0
; COMPUTE_PGM_RSRC3_GFX90A:TG_SPLIT: 0
	.section	.text._ZN7rocprim17ROCPRIM_400000_NS6detail17trampoline_kernelINS0_14default_configENS1_25transform_config_selectorIhLb0EEEZNS1_14transform_implILb0ES3_S5_NS0_18transform_iteratorINS0_17counting_iteratorImlEEZNS1_24adjacent_difference_implIS3_Lb1ELb0EPhSB_N6thrust23THRUST_200600_302600_NS5minusIhEEEE10hipError_tPvRmT2_T3_mT4_P12ihipStream_tbEUlmE_hEESB_NS0_8identityIvEEEESG_SJ_SK_mSL_SN_bEUlT_E_NS1_11comp_targetILNS1_3genE5ELNS1_11target_archE942ELNS1_3gpuE9ELNS1_3repE0EEENS1_30default_config_static_selectorELNS0_4arch9wavefront6targetE1EEEvT1_,"axG",@progbits,_ZN7rocprim17ROCPRIM_400000_NS6detail17trampoline_kernelINS0_14default_configENS1_25transform_config_selectorIhLb0EEEZNS1_14transform_implILb0ES3_S5_NS0_18transform_iteratorINS0_17counting_iteratorImlEEZNS1_24adjacent_difference_implIS3_Lb1ELb0EPhSB_N6thrust23THRUST_200600_302600_NS5minusIhEEEE10hipError_tPvRmT2_T3_mT4_P12ihipStream_tbEUlmE_hEESB_NS0_8identityIvEEEESG_SJ_SK_mSL_SN_bEUlT_E_NS1_11comp_targetILNS1_3genE5ELNS1_11target_archE942ELNS1_3gpuE9ELNS1_3repE0EEENS1_30default_config_static_selectorELNS0_4arch9wavefront6targetE1EEEvT1_,comdat
	.protected	_ZN7rocprim17ROCPRIM_400000_NS6detail17trampoline_kernelINS0_14default_configENS1_25transform_config_selectorIhLb0EEEZNS1_14transform_implILb0ES3_S5_NS0_18transform_iteratorINS0_17counting_iteratorImlEEZNS1_24adjacent_difference_implIS3_Lb1ELb0EPhSB_N6thrust23THRUST_200600_302600_NS5minusIhEEEE10hipError_tPvRmT2_T3_mT4_P12ihipStream_tbEUlmE_hEESB_NS0_8identityIvEEEESG_SJ_SK_mSL_SN_bEUlT_E_NS1_11comp_targetILNS1_3genE5ELNS1_11target_archE942ELNS1_3gpuE9ELNS1_3repE0EEENS1_30default_config_static_selectorELNS0_4arch9wavefront6targetE1EEEvT1_ ; -- Begin function _ZN7rocprim17ROCPRIM_400000_NS6detail17trampoline_kernelINS0_14default_configENS1_25transform_config_selectorIhLb0EEEZNS1_14transform_implILb0ES3_S5_NS0_18transform_iteratorINS0_17counting_iteratorImlEEZNS1_24adjacent_difference_implIS3_Lb1ELb0EPhSB_N6thrust23THRUST_200600_302600_NS5minusIhEEEE10hipError_tPvRmT2_T3_mT4_P12ihipStream_tbEUlmE_hEESB_NS0_8identityIvEEEESG_SJ_SK_mSL_SN_bEUlT_E_NS1_11comp_targetILNS1_3genE5ELNS1_11target_archE942ELNS1_3gpuE9ELNS1_3repE0EEENS1_30default_config_static_selectorELNS0_4arch9wavefront6targetE1EEEvT1_
	.globl	_ZN7rocprim17ROCPRIM_400000_NS6detail17trampoline_kernelINS0_14default_configENS1_25transform_config_selectorIhLb0EEEZNS1_14transform_implILb0ES3_S5_NS0_18transform_iteratorINS0_17counting_iteratorImlEEZNS1_24adjacent_difference_implIS3_Lb1ELb0EPhSB_N6thrust23THRUST_200600_302600_NS5minusIhEEEE10hipError_tPvRmT2_T3_mT4_P12ihipStream_tbEUlmE_hEESB_NS0_8identityIvEEEESG_SJ_SK_mSL_SN_bEUlT_E_NS1_11comp_targetILNS1_3genE5ELNS1_11target_archE942ELNS1_3gpuE9ELNS1_3repE0EEENS1_30default_config_static_selectorELNS0_4arch9wavefront6targetE1EEEvT1_
	.p2align	8
	.type	_ZN7rocprim17ROCPRIM_400000_NS6detail17trampoline_kernelINS0_14default_configENS1_25transform_config_selectorIhLb0EEEZNS1_14transform_implILb0ES3_S5_NS0_18transform_iteratorINS0_17counting_iteratorImlEEZNS1_24adjacent_difference_implIS3_Lb1ELb0EPhSB_N6thrust23THRUST_200600_302600_NS5minusIhEEEE10hipError_tPvRmT2_T3_mT4_P12ihipStream_tbEUlmE_hEESB_NS0_8identityIvEEEESG_SJ_SK_mSL_SN_bEUlT_E_NS1_11comp_targetILNS1_3genE5ELNS1_11target_archE942ELNS1_3gpuE9ELNS1_3repE0EEENS1_30default_config_static_selectorELNS0_4arch9wavefront6targetE1EEEvT1_,@function
_ZN7rocprim17ROCPRIM_400000_NS6detail17trampoline_kernelINS0_14default_configENS1_25transform_config_selectorIhLb0EEEZNS1_14transform_implILb0ES3_S5_NS0_18transform_iteratorINS0_17counting_iteratorImlEEZNS1_24adjacent_difference_implIS3_Lb1ELb0EPhSB_N6thrust23THRUST_200600_302600_NS5minusIhEEEE10hipError_tPvRmT2_T3_mT4_P12ihipStream_tbEUlmE_hEESB_NS0_8identityIvEEEESG_SJ_SK_mSL_SN_bEUlT_E_NS1_11comp_targetILNS1_3genE5ELNS1_11target_archE942ELNS1_3gpuE9ELNS1_3repE0EEENS1_30default_config_static_selectorELNS0_4arch9wavefront6targetE1EEEvT1_: ; @_ZN7rocprim17ROCPRIM_400000_NS6detail17trampoline_kernelINS0_14default_configENS1_25transform_config_selectorIhLb0EEEZNS1_14transform_implILb0ES3_S5_NS0_18transform_iteratorINS0_17counting_iteratorImlEEZNS1_24adjacent_difference_implIS3_Lb1ELb0EPhSB_N6thrust23THRUST_200600_302600_NS5minusIhEEEE10hipError_tPvRmT2_T3_mT4_P12ihipStream_tbEUlmE_hEESB_NS0_8identityIvEEEESG_SJ_SK_mSL_SN_bEUlT_E_NS1_11comp_targetILNS1_3genE5ELNS1_11target_archE942ELNS1_3gpuE9ELNS1_3repE0EEENS1_30default_config_static_selectorELNS0_4arch9wavefront6targetE1EEEvT1_
; %bb.0:
	s_load_dwordx4 s[4:7], s[0:1], 0x18
	s_load_dwordx2 s[8:9], s[0:1], 0x28
	s_load_dword s3, s[0:1], 0x38
	s_load_dwordx4 s[12:15], s[0:1], 0x0
	s_load_dword s18, s[0:1], 0x10
	s_mov_b32 s19, 0
	s_waitcnt lgkmcnt(0)
	s_add_u32 s24, s8, s4
	s_addc_u32 s25, s9, s5
	s_lshl_b32 s26, s2, 13
	s_add_i32 s3, s3, -1
	s_add_u32 s0, s12, s26
	s_addc_u32 s1, s13, 0
	s_add_u32 s20, s0, s4
	s_addc_u32 s21, s1, s5
	s_cmp_lg_u32 s2, s3
	s_cbranch_scc0 .LBB272_2
; %bb.1:
	v_mov_b32_e32 v1, 0
	v_lshl_add_u64 v[2:3], s[20:21], 0, v[0:1]
	v_mov_b64_e32 v[4:5], s[14:15]
	v_mad_u64_u32 v[4:5], s[0:1], v2, s18, v[4:5]
	v_mov_b32_e32 v2, v5
	v_mad_u64_u32 v[2:3], s[0:1], v3, s18, v[2:3]
	v_mov_b32_e32 v5, v2
	s_lshl_b64 s[0:1], s[18:19], 10
	v_lshl_add_u64 v[2:3], v[4:5], 0, s[0:1]
	global_load_ubyte v10, v[4:5], off
	v_lshl_add_u64 v[4:5], v[2:3], 0, s[0:1]
	v_lshl_add_u64 v[6:7], v[4:5], 0, s[0:1]
	;; [unrolled: 1-line block ×3, first 2 shown]
	global_load_ubyte v11, v[2:3], off
	global_load_ubyte v12, v[4:5], off
	;; [unrolled: 1-line block ×4, first 2 shown]
	v_lshl_add_u64 v[2:3], v[8:9], 0, s[0:1]
	global_load_ubyte v4, v[2:3], off
	v_lshl_add_u64 v[2:3], v[2:3], 0, s[0:1]
	global_load_ubyte v8, v[2:3], off
	;; [unrolled: 2-line block ×3, first 2 shown]
	s_add_u32 s2, s24, s26
	s_addc_u32 s3, s25, 0
	v_lshl_add_u64 v[2:3], s[2:3], 0, v[0:1]
	v_add_co_u32_e32 v6, vcc, 0x1000, v2
	s_nop 1
	v_addc_co_u32_e32 v7, vcc, 0, v3, vcc
	s_mov_b64 s[16:17], -1
	s_waitcnt vmcnt(7)
	global_store_byte v0, v10, s[2:3]
	s_waitcnt vmcnt(7)
	global_store_byte v0, v11, s[2:3] offset:1024
	s_waitcnt vmcnt(7)
	global_store_byte v0, v12, s[2:3] offset:2048
	s_waitcnt vmcnt(7)
	global_store_byte v0, v13, s[2:3] offset:3072
	s_waitcnt vmcnt(7)
	global_store_byte v[6:7], v14, off
	s_waitcnt vmcnt(7)
	global_store_byte v[6:7], v4, off offset:1024
	s_waitcnt vmcnt(7)
	global_store_byte v[6:7], v8, off offset:2048
	s_cbranch_execz .LBB272_3
	s_branch .LBB272_36
.LBB272_2:
	s_mov_b64 s[16:17], 0
                                        ; implicit-def: $vgpr5
                                        ; implicit-def: $vgpr2_vgpr3
.LBB272_3:
	s_sub_i32 s19, s6, s26
	v_cmp_gt_u32_e32 vcc, s19, v0
                                        ; implicit-def: $vgpr1
	s_and_saveexec_b64 s[0:1], vcc
	s_cbranch_execz .LBB272_5
; %bb.4:
	v_mov_b32_e32 v1, 0
	v_lshl_add_u64 v[2:3], s[20:21], 0, v[0:1]
	s_waitcnt vmcnt(7)
	v_mov_b64_e32 v[4:5], s[14:15]
	v_mad_u64_u32 v[4:5], s[2:3], v2, s18, v[4:5]
	v_mov_b32_e32 v2, v5
	v_mad_u64_u32 v[2:3], s[2:3], v3, s18, v[2:3]
	v_mov_b32_e32 v5, v2
	global_load_ubyte v1, v[4:5], off
.LBB272_5:
	s_or_b64 exec, exec, s[0:1]
	v_or_b32_e32 v2, 0x400, v0
	v_cmp_gt_u32_e64 s[0:1], s19, v2
                                        ; implicit-def: $vgpr4
	s_and_saveexec_b64 s[2:3], s[0:1]
	s_cbranch_execz .LBB272_7
; %bb.6:
	v_mov_b32_e32 v3, 0
	v_lshl_add_u64 v[2:3], s[20:21], 0, v[2:3]
	s_waitcnt vmcnt(7)
	v_mov_b64_e32 v[4:5], s[14:15]
	v_mad_u64_u32 v[4:5], s[4:5], v2, s18, v[4:5]
	v_mov_b32_e32 v2, v5
	v_mad_u64_u32 v[2:3], s[4:5], v3, s18, v[2:3]
	v_mov_b32_e32 v5, v2
	global_load_ubyte v4, v[4:5], off
.LBB272_7:
	s_or_b64 exec, exec, s[2:3]
	v_or_b32_e32 v2, 0x800, v0
	v_cmp_gt_u32_e64 s[2:3], s19, v2
                                        ; implicit-def: $vgpr5
	s_and_saveexec_b64 s[4:5], s[2:3]
	s_cbranch_execz .LBB272_9
; %bb.8:
	v_mov_b32_e32 v3, 0
	v_lshl_add_u64 v[2:3], s[20:21], 0, v[2:3]
	v_mov_b64_e32 v[6:7], s[14:15]
	v_mad_u64_u32 v[6:7], s[6:7], v2, s18, v[6:7]
	v_mov_b32_e32 v2, v7
	v_mad_u64_u32 v[2:3], s[6:7], v3, s18, v[2:3]
	v_mov_b32_e32 v7, v2
	global_load_ubyte v5, v[6:7], off
.LBB272_9:
	s_or_b64 exec, exec, s[4:5]
	v_or_b32_e32 v2, 0xc00, v0
	v_cmp_gt_u32_e64 s[4:5], s19, v2
                                        ; implicit-def: $vgpr6
	s_and_saveexec_b64 s[6:7], s[4:5]
	s_cbranch_execz .LBB272_11
; %bb.10:
	v_mov_b32_e32 v3, 0
	v_lshl_add_u64 v[2:3], s[20:21], 0, v[2:3]
	v_mov_b64_e32 v[6:7], s[14:15]
	v_mad_u64_u32 v[6:7], s[8:9], v2, s18, v[6:7]
	v_mov_b32_e32 v2, v7
	v_mad_u64_u32 v[2:3], s[8:9], v3, s18, v[2:3]
	v_mov_b32_e32 v7, v2
	global_load_ubyte v6, v[6:7], off
.LBB272_11:
	s_or_b64 exec, exec, s[6:7]
	v_or_b32_e32 v2, 0x1000, v0
	v_cmp_gt_u32_e64 s[6:7], s19, v2
                                        ; implicit-def: $vgpr7
	s_and_saveexec_b64 s[8:9], s[6:7]
	s_cbranch_execz .LBB272_13
; %bb.12:
	v_mov_b32_e32 v3, 0
	v_lshl_add_u64 v[2:3], s[20:21], 0, v[2:3]
	v_mov_b64_e32 v[8:9], s[14:15]
	v_mad_u64_u32 v[8:9], s[10:11], v2, s18, v[8:9]
	v_mov_b32_e32 v2, v9
	v_mad_u64_u32 v[2:3], s[10:11], v3, s18, v[2:3]
	v_mov_b32_e32 v9, v2
	global_load_ubyte v7, v[8:9], off
.LBB272_13:
	s_or_b64 exec, exec, s[8:9]
	v_or_b32_e32 v2, 0x1400, v0
	v_cmp_gt_u32_e64 s[8:9], s19, v2
                                        ; implicit-def: $vgpr8
	s_and_saveexec_b64 s[10:11], s[8:9]
	s_cbranch_execz .LBB272_15
; %bb.14:
	v_mov_b32_e32 v3, 0
	v_lshl_add_u64 v[2:3], s[20:21], 0, v[2:3]
	v_mov_b64_e32 v[8:9], s[14:15]
	v_mad_u64_u32 v[8:9], s[12:13], v2, s18, v[8:9]
	v_mov_b32_e32 v2, v9
	v_mad_u64_u32 v[2:3], s[12:13], v3, s18, v[2:3]
	v_mov_b32_e32 v9, v2
	global_load_ubyte v8, v[8:9], off
.LBB272_15:
	s_or_b64 exec, exec, s[10:11]
	v_or_b32_e32 v2, 0x1800, v0
	v_cmp_gt_u32_e64 s[10:11], s19, v2
                                        ; implicit-def: $vgpr9
	s_and_saveexec_b64 s[12:13], s[10:11]
	s_cbranch_execz .LBB272_17
; %bb.16:
	v_mov_b32_e32 v3, 0
	v_lshl_add_u64 v[2:3], s[20:21], 0, v[2:3]
	v_mov_b64_e32 v[10:11], s[14:15]
	v_mad_u64_u32 v[10:11], s[22:23], v2, s18, v[10:11]
	v_mov_b32_e32 v2, v11
	v_mad_u64_u32 v[2:3], s[22:23], v3, s18, v[2:3]
	v_mov_b32_e32 v11, v2
	global_load_ubyte v9, v[10:11], off
.LBB272_17:
	s_or_b64 exec, exec, s[12:13]
	v_or_b32_e32 v2, 0x1c00, v0
	v_cmp_gt_u32_e64 s[12:13], s19, v2
                                        ; implicit-def: $vgpr3
	s_and_saveexec_b64 s[22:23], s[12:13]
	s_cbranch_execz .LBB272_19
; %bb.18:
	v_mov_b32_e32 v3, 0
	v_lshl_add_u64 v[2:3], s[20:21], 0, v[2:3]
	v_mov_b64_e32 v[10:11], s[14:15]
	v_mad_u64_u32 v[10:11], s[14:15], v2, s18, v[10:11]
	v_mov_b32_e32 v2, v11
	v_mad_u64_u32 v[2:3], s[14:15], v3, s18, v[2:3]
	v_mov_b32_e32 v11, v2
	global_load_ubyte v3, v[10:11], off
.LBB272_19:
	s_or_b64 exec, exec, s[22:23]
	s_waitcnt vmcnt(0)
	v_lshlrev_b16_e32 v2, 8, v4
	v_or_b32_sdwa v1, v1, v2 dst_sel:DWORD dst_unused:UNUSED_PAD src0_sel:BYTE_0 src1_sel:DWORD
	v_lshlrev_b16_e32 v2, 8, v6
	v_or_b32_sdwa v2, v5, v2 dst_sel:WORD_1 dst_unused:UNUSED_PAD src0_sel:BYTE_0 src1_sel:DWORD
	s_add_u32 s14, s24, s26
	v_or_b32_sdwa v5, v1, v2 dst_sel:DWORD dst_unused:UNUSED_PAD src0_sel:WORD_0 src1_sel:DWORD
	v_lshlrev_b16_e32 v1, 8, v8
	v_lshlrev_b16_e32 v2, 8, v3
	v_or_b32_sdwa v1, v7, v1 dst_sel:DWORD dst_unused:UNUSED_PAD src0_sel:BYTE_0 src1_sel:DWORD
	v_or_b32_sdwa v2, v9, v2 dst_sel:WORD_1 dst_unused:UNUSED_PAD src0_sel:BYTE_0 src1_sel:DWORD
	s_addc_u32 s15, s25, 0
	v_or_b32_sdwa v4, v1, v2 dst_sel:DWORD dst_unused:UNUSED_PAD src0_sel:WORD_0 src1_sel:DWORD
	v_mov_b32_e32 v1, 0
	v_lshl_add_u64 v[2:3], s[14:15], 0, v[0:1]
	s_and_saveexec_b64 s[14:15], vcc
	s_cbranch_execz .LBB272_21
; %bb.20:
	global_store_byte v[2:3], v5, off
.LBB272_21:
	s_or_b64 exec, exec, s[14:15]
	s_and_saveexec_b64 s[14:15], s[0:1]
	s_cbranch_execz .LBB272_23
; %bb.22:
	v_lshrrev_b32_e32 v0, 8, v5
	global_store_byte v[2:3], v0, off offset:1024
.LBB272_23:
	s_or_b64 exec, exec, s[14:15]
	s_mov_b32 s0, 0x7060104
	v_perm_b32 v0, v5, v5, s0
	s_movk_i32 s15, 0xff
	s_mov_b32 s14, 0xffff
	v_cndmask_b32_e64 v1, v0, v5, s[2:3]
	s_and_saveexec_b64 s[0:1], s[2:3]
	s_cbranch_execz .LBB272_25
; %bb.24:
	global_store_byte_d16_hi v[2:3], v1, off offset:2048
.LBB272_25:
	s_or_b64 exec, exec, s[0:1]
	s_movk_i32 s0, 0xff00
	v_and_b32_sdwa v6, v0, s0 dst_sel:DWORD dst_unused:UNUSED_PAD src0_sel:WORD_1 src1_sel:DWORD
	v_and_b32_sdwa v1, v1, s15 dst_sel:DWORD dst_unused:UNUSED_PAD src0_sel:WORD_1 src1_sel:DWORD
	v_or_b32_sdwa v1, v1, v6 dst_sel:WORD_1 dst_unused:UNUSED_PAD src0_sel:DWORD src1_sel:DWORD
	s_nop 0
	v_and_or_b32 v0, v0, s14, v1
	v_cndmask_b32_e64 v0, v0, v5, s[4:5]
	s_and_saveexec_b64 s[0:1], s[4:5]
	s_cbranch_execz .LBB272_27
; %bb.26:
	v_lshrrev_b32_e32 v0, 24, v0
	global_store_byte v[2:3], v0, off offset:3072
.LBB272_27:
	s_or_b64 exec, exec, s[0:1]
	s_and_saveexec_b64 s[0:1], s[6:7]
	s_cbranch_execz .LBB272_29
; %bb.28:
	v_add_co_u32_e32 v0, vcc, 0x1000, v2
	s_nop 1
	v_addc_co_u32_e32 v1, vcc, 0, v3, vcc
	global_store_byte v[0:1], v4, off
.LBB272_29:
	s_or_b64 exec, exec, s[0:1]
	s_mov_b32 s0, 0x3020104
	v_perm_b32 v1, v4, v4, s0
	v_cndmask_b32_e64 v0, v1, v4, s[8:9]
	s_and_saveexec_b64 s[0:1], s[8:9]
	s_cbranch_execz .LBB272_31
; %bb.30:
	v_add_co_u32_e32 v6, vcc, 0x1000, v2
	v_lshrrev_b32_e32 v5, 8, v0
	s_nop 0
	v_addc_co_u32_e32 v7, vcc, 0, v3, vcc
	global_store_byte v[6:7], v5, off offset:1024
.LBB272_31:
	s_or_b64 exec, exec, s[0:1]
	s_mov_b32 s0, 0x7060104
	v_perm_b32 v0, v1, v0, s0
	s_and_saveexec_b64 s[0:1], s[10:11]
	s_cbranch_execz .LBB272_33
; %bb.32:
	v_add_co_u32_e32 v6, vcc, 0x1000, v2
	v_cndmask_b32_e64 v1, v0, v4, s[10:11]
	s_nop 0
	v_addc_co_u32_e32 v7, vcc, 0, v3, vcc
	global_store_byte_d16_hi v[6:7], v1, off offset:2048
.LBB272_33:
	s_or_b64 exec, exec, s[0:1]
                                        ; implicit-def: $vgpr5
	s_and_saveexec_b64 s[0:1], s[12:13]
; %bb.34:
	v_cndmask_b32_e64 v0, v0, v4, s[12:13]
	v_lshrrev_b32_e32 v5, 24, v0
	s_or_b64 s[16:17], s[16:17], exec
; %bb.35:
	s_or_b64 exec, exec, s[0:1]
.LBB272_36:
	s_and_saveexec_b64 s[0:1], s[16:17]
	s_cbranch_execnz .LBB272_38
; %bb.37:
	s_endpgm
.LBB272_38:
	v_add_co_u32_e32 v0, vcc, 0x1000, v2
	s_nop 1
	v_addc_co_u32_e32 v1, vcc, 0, v3, vcc
	s_waitcnt vmcnt(7)
	global_store_byte v[0:1], v5, off offset:3072
	s_endpgm
	.section	.rodata,"a",@progbits
	.p2align	6, 0x0
	.amdhsa_kernel _ZN7rocprim17ROCPRIM_400000_NS6detail17trampoline_kernelINS0_14default_configENS1_25transform_config_selectorIhLb0EEEZNS1_14transform_implILb0ES3_S5_NS0_18transform_iteratorINS0_17counting_iteratorImlEEZNS1_24adjacent_difference_implIS3_Lb1ELb0EPhSB_N6thrust23THRUST_200600_302600_NS5minusIhEEEE10hipError_tPvRmT2_T3_mT4_P12ihipStream_tbEUlmE_hEESB_NS0_8identityIvEEEESG_SJ_SK_mSL_SN_bEUlT_E_NS1_11comp_targetILNS1_3genE5ELNS1_11target_archE942ELNS1_3gpuE9ELNS1_3repE0EEENS1_30default_config_static_selectorELNS0_4arch9wavefront6targetE1EEEvT1_
		.amdhsa_group_segment_fixed_size 0
		.amdhsa_private_segment_fixed_size 0
		.amdhsa_kernarg_size 312
		.amdhsa_user_sgpr_count 2
		.amdhsa_user_sgpr_dispatch_ptr 0
		.amdhsa_user_sgpr_queue_ptr 0
		.amdhsa_user_sgpr_kernarg_segment_ptr 1
		.amdhsa_user_sgpr_dispatch_id 0
		.amdhsa_user_sgpr_kernarg_preload_length 0
		.amdhsa_user_sgpr_kernarg_preload_offset 0
		.amdhsa_user_sgpr_private_segment_size 0
		.amdhsa_uses_dynamic_stack 0
		.amdhsa_enable_private_segment 0
		.amdhsa_system_sgpr_workgroup_id_x 1
		.amdhsa_system_sgpr_workgroup_id_y 0
		.amdhsa_system_sgpr_workgroup_id_z 0
		.amdhsa_system_sgpr_workgroup_info 0
		.amdhsa_system_vgpr_workitem_id 0
		.amdhsa_next_free_vgpr 15
		.amdhsa_next_free_sgpr 27
		.amdhsa_accum_offset 16
		.amdhsa_reserve_vcc 1
		.amdhsa_float_round_mode_32 0
		.amdhsa_float_round_mode_16_64 0
		.amdhsa_float_denorm_mode_32 3
		.amdhsa_float_denorm_mode_16_64 3
		.amdhsa_dx10_clamp 1
		.amdhsa_ieee_mode 1
		.amdhsa_fp16_overflow 0
		.amdhsa_tg_split 0
		.amdhsa_exception_fp_ieee_invalid_op 0
		.amdhsa_exception_fp_denorm_src 0
		.amdhsa_exception_fp_ieee_div_zero 0
		.amdhsa_exception_fp_ieee_overflow 0
		.amdhsa_exception_fp_ieee_underflow 0
		.amdhsa_exception_fp_ieee_inexact 0
		.amdhsa_exception_int_div_zero 0
	.end_amdhsa_kernel
	.section	.text._ZN7rocprim17ROCPRIM_400000_NS6detail17trampoline_kernelINS0_14default_configENS1_25transform_config_selectorIhLb0EEEZNS1_14transform_implILb0ES3_S5_NS0_18transform_iteratorINS0_17counting_iteratorImlEEZNS1_24adjacent_difference_implIS3_Lb1ELb0EPhSB_N6thrust23THRUST_200600_302600_NS5minusIhEEEE10hipError_tPvRmT2_T3_mT4_P12ihipStream_tbEUlmE_hEESB_NS0_8identityIvEEEESG_SJ_SK_mSL_SN_bEUlT_E_NS1_11comp_targetILNS1_3genE5ELNS1_11target_archE942ELNS1_3gpuE9ELNS1_3repE0EEENS1_30default_config_static_selectorELNS0_4arch9wavefront6targetE1EEEvT1_,"axG",@progbits,_ZN7rocprim17ROCPRIM_400000_NS6detail17trampoline_kernelINS0_14default_configENS1_25transform_config_selectorIhLb0EEEZNS1_14transform_implILb0ES3_S5_NS0_18transform_iteratorINS0_17counting_iteratorImlEEZNS1_24adjacent_difference_implIS3_Lb1ELb0EPhSB_N6thrust23THRUST_200600_302600_NS5minusIhEEEE10hipError_tPvRmT2_T3_mT4_P12ihipStream_tbEUlmE_hEESB_NS0_8identityIvEEEESG_SJ_SK_mSL_SN_bEUlT_E_NS1_11comp_targetILNS1_3genE5ELNS1_11target_archE942ELNS1_3gpuE9ELNS1_3repE0EEENS1_30default_config_static_selectorELNS0_4arch9wavefront6targetE1EEEvT1_,comdat
.Lfunc_end272:
	.size	_ZN7rocprim17ROCPRIM_400000_NS6detail17trampoline_kernelINS0_14default_configENS1_25transform_config_selectorIhLb0EEEZNS1_14transform_implILb0ES3_S5_NS0_18transform_iteratorINS0_17counting_iteratorImlEEZNS1_24adjacent_difference_implIS3_Lb1ELb0EPhSB_N6thrust23THRUST_200600_302600_NS5minusIhEEEE10hipError_tPvRmT2_T3_mT4_P12ihipStream_tbEUlmE_hEESB_NS0_8identityIvEEEESG_SJ_SK_mSL_SN_bEUlT_E_NS1_11comp_targetILNS1_3genE5ELNS1_11target_archE942ELNS1_3gpuE9ELNS1_3repE0EEENS1_30default_config_static_selectorELNS0_4arch9wavefront6targetE1EEEvT1_, .Lfunc_end272-_ZN7rocprim17ROCPRIM_400000_NS6detail17trampoline_kernelINS0_14default_configENS1_25transform_config_selectorIhLb0EEEZNS1_14transform_implILb0ES3_S5_NS0_18transform_iteratorINS0_17counting_iteratorImlEEZNS1_24adjacent_difference_implIS3_Lb1ELb0EPhSB_N6thrust23THRUST_200600_302600_NS5minusIhEEEE10hipError_tPvRmT2_T3_mT4_P12ihipStream_tbEUlmE_hEESB_NS0_8identityIvEEEESG_SJ_SK_mSL_SN_bEUlT_E_NS1_11comp_targetILNS1_3genE5ELNS1_11target_archE942ELNS1_3gpuE9ELNS1_3repE0EEENS1_30default_config_static_selectorELNS0_4arch9wavefront6targetE1EEEvT1_
                                        ; -- End function
	.section	.AMDGPU.csdata,"",@progbits
; Kernel info:
; codeLenInByte = 1480
; NumSgprs: 33
; NumVgprs: 15
; NumAgprs: 0
; TotalNumVgprs: 15
; ScratchSize: 0
; MemoryBound: 0
; FloatMode: 240
; IeeeMode: 1
; LDSByteSize: 0 bytes/workgroup (compile time only)
; SGPRBlocks: 4
; VGPRBlocks: 1
; NumSGPRsForWavesPerEU: 33
; NumVGPRsForWavesPerEU: 15
; AccumOffset: 16
; Occupancy: 8
; WaveLimiterHint : 1
; COMPUTE_PGM_RSRC2:SCRATCH_EN: 0
; COMPUTE_PGM_RSRC2:USER_SGPR: 2
; COMPUTE_PGM_RSRC2:TRAP_HANDLER: 0
; COMPUTE_PGM_RSRC2:TGID_X_EN: 1
; COMPUTE_PGM_RSRC2:TGID_Y_EN: 0
; COMPUTE_PGM_RSRC2:TGID_Z_EN: 0
; COMPUTE_PGM_RSRC2:TIDIG_COMP_CNT: 0
; COMPUTE_PGM_RSRC3_GFX90A:ACCUM_OFFSET: 3
; COMPUTE_PGM_RSRC3_GFX90A:TG_SPLIT: 0
	.section	.text._ZN7rocprim17ROCPRIM_400000_NS6detail17trampoline_kernelINS0_14default_configENS1_25transform_config_selectorIhLb0EEEZNS1_14transform_implILb0ES3_S5_NS0_18transform_iteratorINS0_17counting_iteratorImlEEZNS1_24adjacent_difference_implIS3_Lb1ELb0EPhSB_N6thrust23THRUST_200600_302600_NS5minusIhEEEE10hipError_tPvRmT2_T3_mT4_P12ihipStream_tbEUlmE_hEESB_NS0_8identityIvEEEESG_SJ_SK_mSL_SN_bEUlT_E_NS1_11comp_targetILNS1_3genE4ELNS1_11target_archE910ELNS1_3gpuE8ELNS1_3repE0EEENS1_30default_config_static_selectorELNS0_4arch9wavefront6targetE1EEEvT1_,"axG",@progbits,_ZN7rocprim17ROCPRIM_400000_NS6detail17trampoline_kernelINS0_14default_configENS1_25transform_config_selectorIhLb0EEEZNS1_14transform_implILb0ES3_S5_NS0_18transform_iteratorINS0_17counting_iteratorImlEEZNS1_24adjacent_difference_implIS3_Lb1ELb0EPhSB_N6thrust23THRUST_200600_302600_NS5minusIhEEEE10hipError_tPvRmT2_T3_mT4_P12ihipStream_tbEUlmE_hEESB_NS0_8identityIvEEEESG_SJ_SK_mSL_SN_bEUlT_E_NS1_11comp_targetILNS1_3genE4ELNS1_11target_archE910ELNS1_3gpuE8ELNS1_3repE0EEENS1_30default_config_static_selectorELNS0_4arch9wavefront6targetE1EEEvT1_,comdat
	.protected	_ZN7rocprim17ROCPRIM_400000_NS6detail17trampoline_kernelINS0_14default_configENS1_25transform_config_selectorIhLb0EEEZNS1_14transform_implILb0ES3_S5_NS0_18transform_iteratorINS0_17counting_iteratorImlEEZNS1_24adjacent_difference_implIS3_Lb1ELb0EPhSB_N6thrust23THRUST_200600_302600_NS5minusIhEEEE10hipError_tPvRmT2_T3_mT4_P12ihipStream_tbEUlmE_hEESB_NS0_8identityIvEEEESG_SJ_SK_mSL_SN_bEUlT_E_NS1_11comp_targetILNS1_3genE4ELNS1_11target_archE910ELNS1_3gpuE8ELNS1_3repE0EEENS1_30default_config_static_selectorELNS0_4arch9wavefront6targetE1EEEvT1_ ; -- Begin function _ZN7rocprim17ROCPRIM_400000_NS6detail17trampoline_kernelINS0_14default_configENS1_25transform_config_selectorIhLb0EEEZNS1_14transform_implILb0ES3_S5_NS0_18transform_iteratorINS0_17counting_iteratorImlEEZNS1_24adjacent_difference_implIS3_Lb1ELb0EPhSB_N6thrust23THRUST_200600_302600_NS5minusIhEEEE10hipError_tPvRmT2_T3_mT4_P12ihipStream_tbEUlmE_hEESB_NS0_8identityIvEEEESG_SJ_SK_mSL_SN_bEUlT_E_NS1_11comp_targetILNS1_3genE4ELNS1_11target_archE910ELNS1_3gpuE8ELNS1_3repE0EEENS1_30default_config_static_selectorELNS0_4arch9wavefront6targetE1EEEvT1_
	.globl	_ZN7rocprim17ROCPRIM_400000_NS6detail17trampoline_kernelINS0_14default_configENS1_25transform_config_selectorIhLb0EEEZNS1_14transform_implILb0ES3_S5_NS0_18transform_iteratorINS0_17counting_iteratorImlEEZNS1_24adjacent_difference_implIS3_Lb1ELb0EPhSB_N6thrust23THRUST_200600_302600_NS5minusIhEEEE10hipError_tPvRmT2_T3_mT4_P12ihipStream_tbEUlmE_hEESB_NS0_8identityIvEEEESG_SJ_SK_mSL_SN_bEUlT_E_NS1_11comp_targetILNS1_3genE4ELNS1_11target_archE910ELNS1_3gpuE8ELNS1_3repE0EEENS1_30default_config_static_selectorELNS0_4arch9wavefront6targetE1EEEvT1_
	.p2align	8
	.type	_ZN7rocprim17ROCPRIM_400000_NS6detail17trampoline_kernelINS0_14default_configENS1_25transform_config_selectorIhLb0EEEZNS1_14transform_implILb0ES3_S5_NS0_18transform_iteratorINS0_17counting_iteratorImlEEZNS1_24adjacent_difference_implIS3_Lb1ELb0EPhSB_N6thrust23THRUST_200600_302600_NS5minusIhEEEE10hipError_tPvRmT2_T3_mT4_P12ihipStream_tbEUlmE_hEESB_NS0_8identityIvEEEESG_SJ_SK_mSL_SN_bEUlT_E_NS1_11comp_targetILNS1_3genE4ELNS1_11target_archE910ELNS1_3gpuE8ELNS1_3repE0EEENS1_30default_config_static_selectorELNS0_4arch9wavefront6targetE1EEEvT1_,@function
_ZN7rocprim17ROCPRIM_400000_NS6detail17trampoline_kernelINS0_14default_configENS1_25transform_config_selectorIhLb0EEEZNS1_14transform_implILb0ES3_S5_NS0_18transform_iteratorINS0_17counting_iteratorImlEEZNS1_24adjacent_difference_implIS3_Lb1ELb0EPhSB_N6thrust23THRUST_200600_302600_NS5minusIhEEEE10hipError_tPvRmT2_T3_mT4_P12ihipStream_tbEUlmE_hEESB_NS0_8identityIvEEEESG_SJ_SK_mSL_SN_bEUlT_E_NS1_11comp_targetILNS1_3genE4ELNS1_11target_archE910ELNS1_3gpuE8ELNS1_3repE0EEENS1_30default_config_static_selectorELNS0_4arch9wavefront6targetE1EEEvT1_: ; @_ZN7rocprim17ROCPRIM_400000_NS6detail17trampoline_kernelINS0_14default_configENS1_25transform_config_selectorIhLb0EEEZNS1_14transform_implILb0ES3_S5_NS0_18transform_iteratorINS0_17counting_iteratorImlEEZNS1_24adjacent_difference_implIS3_Lb1ELb0EPhSB_N6thrust23THRUST_200600_302600_NS5minusIhEEEE10hipError_tPvRmT2_T3_mT4_P12ihipStream_tbEUlmE_hEESB_NS0_8identityIvEEEESG_SJ_SK_mSL_SN_bEUlT_E_NS1_11comp_targetILNS1_3genE4ELNS1_11target_archE910ELNS1_3gpuE8ELNS1_3repE0EEENS1_30default_config_static_selectorELNS0_4arch9wavefront6targetE1EEEvT1_
; %bb.0:
	.section	.rodata,"a",@progbits
	.p2align	6, 0x0
	.amdhsa_kernel _ZN7rocprim17ROCPRIM_400000_NS6detail17trampoline_kernelINS0_14default_configENS1_25transform_config_selectorIhLb0EEEZNS1_14transform_implILb0ES3_S5_NS0_18transform_iteratorINS0_17counting_iteratorImlEEZNS1_24adjacent_difference_implIS3_Lb1ELb0EPhSB_N6thrust23THRUST_200600_302600_NS5minusIhEEEE10hipError_tPvRmT2_T3_mT4_P12ihipStream_tbEUlmE_hEESB_NS0_8identityIvEEEESG_SJ_SK_mSL_SN_bEUlT_E_NS1_11comp_targetILNS1_3genE4ELNS1_11target_archE910ELNS1_3gpuE8ELNS1_3repE0EEENS1_30default_config_static_selectorELNS0_4arch9wavefront6targetE1EEEvT1_
		.amdhsa_group_segment_fixed_size 0
		.amdhsa_private_segment_fixed_size 0
		.amdhsa_kernarg_size 56
		.amdhsa_user_sgpr_count 2
		.amdhsa_user_sgpr_dispatch_ptr 0
		.amdhsa_user_sgpr_queue_ptr 0
		.amdhsa_user_sgpr_kernarg_segment_ptr 1
		.amdhsa_user_sgpr_dispatch_id 0
		.amdhsa_user_sgpr_kernarg_preload_length 0
		.amdhsa_user_sgpr_kernarg_preload_offset 0
		.amdhsa_user_sgpr_private_segment_size 0
		.amdhsa_uses_dynamic_stack 0
		.amdhsa_enable_private_segment 0
		.amdhsa_system_sgpr_workgroup_id_x 1
		.amdhsa_system_sgpr_workgroup_id_y 0
		.amdhsa_system_sgpr_workgroup_id_z 0
		.amdhsa_system_sgpr_workgroup_info 0
		.amdhsa_system_vgpr_workitem_id 0
		.amdhsa_next_free_vgpr 1
		.amdhsa_next_free_sgpr 0
		.amdhsa_accum_offset 4
		.amdhsa_reserve_vcc 0
		.amdhsa_float_round_mode_32 0
		.amdhsa_float_round_mode_16_64 0
		.amdhsa_float_denorm_mode_32 3
		.amdhsa_float_denorm_mode_16_64 3
		.amdhsa_dx10_clamp 1
		.amdhsa_ieee_mode 1
		.amdhsa_fp16_overflow 0
		.amdhsa_tg_split 0
		.amdhsa_exception_fp_ieee_invalid_op 0
		.amdhsa_exception_fp_denorm_src 0
		.amdhsa_exception_fp_ieee_div_zero 0
		.amdhsa_exception_fp_ieee_overflow 0
		.amdhsa_exception_fp_ieee_underflow 0
		.amdhsa_exception_fp_ieee_inexact 0
		.amdhsa_exception_int_div_zero 0
	.end_amdhsa_kernel
	.section	.text._ZN7rocprim17ROCPRIM_400000_NS6detail17trampoline_kernelINS0_14default_configENS1_25transform_config_selectorIhLb0EEEZNS1_14transform_implILb0ES3_S5_NS0_18transform_iteratorINS0_17counting_iteratorImlEEZNS1_24adjacent_difference_implIS3_Lb1ELb0EPhSB_N6thrust23THRUST_200600_302600_NS5minusIhEEEE10hipError_tPvRmT2_T3_mT4_P12ihipStream_tbEUlmE_hEESB_NS0_8identityIvEEEESG_SJ_SK_mSL_SN_bEUlT_E_NS1_11comp_targetILNS1_3genE4ELNS1_11target_archE910ELNS1_3gpuE8ELNS1_3repE0EEENS1_30default_config_static_selectorELNS0_4arch9wavefront6targetE1EEEvT1_,"axG",@progbits,_ZN7rocprim17ROCPRIM_400000_NS6detail17trampoline_kernelINS0_14default_configENS1_25transform_config_selectorIhLb0EEEZNS1_14transform_implILb0ES3_S5_NS0_18transform_iteratorINS0_17counting_iteratorImlEEZNS1_24adjacent_difference_implIS3_Lb1ELb0EPhSB_N6thrust23THRUST_200600_302600_NS5minusIhEEEE10hipError_tPvRmT2_T3_mT4_P12ihipStream_tbEUlmE_hEESB_NS0_8identityIvEEEESG_SJ_SK_mSL_SN_bEUlT_E_NS1_11comp_targetILNS1_3genE4ELNS1_11target_archE910ELNS1_3gpuE8ELNS1_3repE0EEENS1_30default_config_static_selectorELNS0_4arch9wavefront6targetE1EEEvT1_,comdat
.Lfunc_end273:
	.size	_ZN7rocprim17ROCPRIM_400000_NS6detail17trampoline_kernelINS0_14default_configENS1_25transform_config_selectorIhLb0EEEZNS1_14transform_implILb0ES3_S5_NS0_18transform_iteratorINS0_17counting_iteratorImlEEZNS1_24adjacent_difference_implIS3_Lb1ELb0EPhSB_N6thrust23THRUST_200600_302600_NS5minusIhEEEE10hipError_tPvRmT2_T3_mT4_P12ihipStream_tbEUlmE_hEESB_NS0_8identityIvEEEESG_SJ_SK_mSL_SN_bEUlT_E_NS1_11comp_targetILNS1_3genE4ELNS1_11target_archE910ELNS1_3gpuE8ELNS1_3repE0EEENS1_30default_config_static_selectorELNS0_4arch9wavefront6targetE1EEEvT1_, .Lfunc_end273-_ZN7rocprim17ROCPRIM_400000_NS6detail17trampoline_kernelINS0_14default_configENS1_25transform_config_selectorIhLb0EEEZNS1_14transform_implILb0ES3_S5_NS0_18transform_iteratorINS0_17counting_iteratorImlEEZNS1_24adjacent_difference_implIS3_Lb1ELb0EPhSB_N6thrust23THRUST_200600_302600_NS5minusIhEEEE10hipError_tPvRmT2_T3_mT4_P12ihipStream_tbEUlmE_hEESB_NS0_8identityIvEEEESG_SJ_SK_mSL_SN_bEUlT_E_NS1_11comp_targetILNS1_3genE4ELNS1_11target_archE910ELNS1_3gpuE8ELNS1_3repE0EEENS1_30default_config_static_selectorELNS0_4arch9wavefront6targetE1EEEvT1_
                                        ; -- End function
	.section	.AMDGPU.csdata,"",@progbits
; Kernel info:
; codeLenInByte = 0
; NumSgprs: 6
; NumVgprs: 0
; NumAgprs: 0
; TotalNumVgprs: 0
; ScratchSize: 0
; MemoryBound: 0
; FloatMode: 240
; IeeeMode: 1
; LDSByteSize: 0 bytes/workgroup (compile time only)
; SGPRBlocks: 0
; VGPRBlocks: 0
; NumSGPRsForWavesPerEU: 6
; NumVGPRsForWavesPerEU: 1
; AccumOffset: 4
; Occupancy: 8
; WaveLimiterHint : 0
; COMPUTE_PGM_RSRC2:SCRATCH_EN: 0
; COMPUTE_PGM_RSRC2:USER_SGPR: 2
; COMPUTE_PGM_RSRC2:TRAP_HANDLER: 0
; COMPUTE_PGM_RSRC2:TGID_X_EN: 1
; COMPUTE_PGM_RSRC2:TGID_Y_EN: 0
; COMPUTE_PGM_RSRC2:TGID_Z_EN: 0
; COMPUTE_PGM_RSRC2:TIDIG_COMP_CNT: 0
; COMPUTE_PGM_RSRC3_GFX90A:ACCUM_OFFSET: 0
; COMPUTE_PGM_RSRC3_GFX90A:TG_SPLIT: 0
	.section	.text._ZN7rocprim17ROCPRIM_400000_NS6detail17trampoline_kernelINS0_14default_configENS1_25transform_config_selectorIhLb0EEEZNS1_14transform_implILb0ES3_S5_NS0_18transform_iteratorINS0_17counting_iteratorImlEEZNS1_24adjacent_difference_implIS3_Lb1ELb0EPhSB_N6thrust23THRUST_200600_302600_NS5minusIhEEEE10hipError_tPvRmT2_T3_mT4_P12ihipStream_tbEUlmE_hEESB_NS0_8identityIvEEEESG_SJ_SK_mSL_SN_bEUlT_E_NS1_11comp_targetILNS1_3genE3ELNS1_11target_archE908ELNS1_3gpuE7ELNS1_3repE0EEENS1_30default_config_static_selectorELNS0_4arch9wavefront6targetE1EEEvT1_,"axG",@progbits,_ZN7rocprim17ROCPRIM_400000_NS6detail17trampoline_kernelINS0_14default_configENS1_25transform_config_selectorIhLb0EEEZNS1_14transform_implILb0ES3_S5_NS0_18transform_iteratorINS0_17counting_iteratorImlEEZNS1_24adjacent_difference_implIS3_Lb1ELb0EPhSB_N6thrust23THRUST_200600_302600_NS5minusIhEEEE10hipError_tPvRmT2_T3_mT4_P12ihipStream_tbEUlmE_hEESB_NS0_8identityIvEEEESG_SJ_SK_mSL_SN_bEUlT_E_NS1_11comp_targetILNS1_3genE3ELNS1_11target_archE908ELNS1_3gpuE7ELNS1_3repE0EEENS1_30default_config_static_selectorELNS0_4arch9wavefront6targetE1EEEvT1_,comdat
	.protected	_ZN7rocprim17ROCPRIM_400000_NS6detail17trampoline_kernelINS0_14default_configENS1_25transform_config_selectorIhLb0EEEZNS1_14transform_implILb0ES3_S5_NS0_18transform_iteratorINS0_17counting_iteratorImlEEZNS1_24adjacent_difference_implIS3_Lb1ELb0EPhSB_N6thrust23THRUST_200600_302600_NS5minusIhEEEE10hipError_tPvRmT2_T3_mT4_P12ihipStream_tbEUlmE_hEESB_NS0_8identityIvEEEESG_SJ_SK_mSL_SN_bEUlT_E_NS1_11comp_targetILNS1_3genE3ELNS1_11target_archE908ELNS1_3gpuE7ELNS1_3repE0EEENS1_30default_config_static_selectorELNS0_4arch9wavefront6targetE1EEEvT1_ ; -- Begin function _ZN7rocprim17ROCPRIM_400000_NS6detail17trampoline_kernelINS0_14default_configENS1_25transform_config_selectorIhLb0EEEZNS1_14transform_implILb0ES3_S5_NS0_18transform_iteratorINS0_17counting_iteratorImlEEZNS1_24adjacent_difference_implIS3_Lb1ELb0EPhSB_N6thrust23THRUST_200600_302600_NS5minusIhEEEE10hipError_tPvRmT2_T3_mT4_P12ihipStream_tbEUlmE_hEESB_NS0_8identityIvEEEESG_SJ_SK_mSL_SN_bEUlT_E_NS1_11comp_targetILNS1_3genE3ELNS1_11target_archE908ELNS1_3gpuE7ELNS1_3repE0EEENS1_30default_config_static_selectorELNS0_4arch9wavefront6targetE1EEEvT1_
	.globl	_ZN7rocprim17ROCPRIM_400000_NS6detail17trampoline_kernelINS0_14default_configENS1_25transform_config_selectorIhLb0EEEZNS1_14transform_implILb0ES3_S5_NS0_18transform_iteratorINS0_17counting_iteratorImlEEZNS1_24adjacent_difference_implIS3_Lb1ELb0EPhSB_N6thrust23THRUST_200600_302600_NS5minusIhEEEE10hipError_tPvRmT2_T3_mT4_P12ihipStream_tbEUlmE_hEESB_NS0_8identityIvEEEESG_SJ_SK_mSL_SN_bEUlT_E_NS1_11comp_targetILNS1_3genE3ELNS1_11target_archE908ELNS1_3gpuE7ELNS1_3repE0EEENS1_30default_config_static_selectorELNS0_4arch9wavefront6targetE1EEEvT1_
	.p2align	8
	.type	_ZN7rocprim17ROCPRIM_400000_NS6detail17trampoline_kernelINS0_14default_configENS1_25transform_config_selectorIhLb0EEEZNS1_14transform_implILb0ES3_S5_NS0_18transform_iteratorINS0_17counting_iteratorImlEEZNS1_24adjacent_difference_implIS3_Lb1ELb0EPhSB_N6thrust23THRUST_200600_302600_NS5minusIhEEEE10hipError_tPvRmT2_T3_mT4_P12ihipStream_tbEUlmE_hEESB_NS0_8identityIvEEEESG_SJ_SK_mSL_SN_bEUlT_E_NS1_11comp_targetILNS1_3genE3ELNS1_11target_archE908ELNS1_3gpuE7ELNS1_3repE0EEENS1_30default_config_static_selectorELNS0_4arch9wavefront6targetE1EEEvT1_,@function
_ZN7rocprim17ROCPRIM_400000_NS6detail17trampoline_kernelINS0_14default_configENS1_25transform_config_selectorIhLb0EEEZNS1_14transform_implILb0ES3_S5_NS0_18transform_iteratorINS0_17counting_iteratorImlEEZNS1_24adjacent_difference_implIS3_Lb1ELb0EPhSB_N6thrust23THRUST_200600_302600_NS5minusIhEEEE10hipError_tPvRmT2_T3_mT4_P12ihipStream_tbEUlmE_hEESB_NS0_8identityIvEEEESG_SJ_SK_mSL_SN_bEUlT_E_NS1_11comp_targetILNS1_3genE3ELNS1_11target_archE908ELNS1_3gpuE7ELNS1_3repE0EEENS1_30default_config_static_selectorELNS0_4arch9wavefront6targetE1EEEvT1_: ; @_ZN7rocprim17ROCPRIM_400000_NS6detail17trampoline_kernelINS0_14default_configENS1_25transform_config_selectorIhLb0EEEZNS1_14transform_implILb0ES3_S5_NS0_18transform_iteratorINS0_17counting_iteratorImlEEZNS1_24adjacent_difference_implIS3_Lb1ELb0EPhSB_N6thrust23THRUST_200600_302600_NS5minusIhEEEE10hipError_tPvRmT2_T3_mT4_P12ihipStream_tbEUlmE_hEESB_NS0_8identityIvEEEESG_SJ_SK_mSL_SN_bEUlT_E_NS1_11comp_targetILNS1_3genE3ELNS1_11target_archE908ELNS1_3gpuE7ELNS1_3repE0EEENS1_30default_config_static_selectorELNS0_4arch9wavefront6targetE1EEEvT1_
; %bb.0:
	.section	.rodata,"a",@progbits
	.p2align	6, 0x0
	.amdhsa_kernel _ZN7rocprim17ROCPRIM_400000_NS6detail17trampoline_kernelINS0_14default_configENS1_25transform_config_selectorIhLb0EEEZNS1_14transform_implILb0ES3_S5_NS0_18transform_iteratorINS0_17counting_iteratorImlEEZNS1_24adjacent_difference_implIS3_Lb1ELb0EPhSB_N6thrust23THRUST_200600_302600_NS5minusIhEEEE10hipError_tPvRmT2_T3_mT4_P12ihipStream_tbEUlmE_hEESB_NS0_8identityIvEEEESG_SJ_SK_mSL_SN_bEUlT_E_NS1_11comp_targetILNS1_3genE3ELNS1_11target_archE908ELNS1_3gpuE7ELNS1_3repE0EEENS1_30default_config_static_selectorELNS0_4arch9wavefront6targetE1EEEvT1_
		.amdhsa_group_segment_fixed_size 0
		.amdhsa_private_segment_fixed_size 0
		.amdhsa_kernarg_size 56
		.amdhsa_user_sgpr_count 2
		.amdhsa_user_sgpr_dispatch_ptr 0
		.amdhsa_user_sgpr_queue_ptr 0
		.amdhsa_user_sgpr_kernarg_segment_ptr 1
		.amdhsa_user_sgpr_dispatch_id 0
		.amdhsa_user_sgpr_kernarg_preload_length 0
		.amdhsa_user_sgpr_kernarg_preload_offset 0
		.amdhsa_user_sgpr_private_segment_size 0
		.amdhsa_uses_dynamic_stack 0
		.amdhsa_enable_private_segment 0
		.amdhsa_system_sgpr_workgroup_id_x 1
		.amdhsa_system_sgpr_workgroup_id_y 0
		.amdhsa_system_sgpr_workgroup_id_z 0
		.amdhsa_system_sgpr_workgroup_info 0
		.amdhsa_system_vgpr_workitem_id 0
		.amdhsa_next_free_vgpr 1
		.amdhsa_next_free_sgpr 0
		.amdhsa_accum_offset 4
		.amdhsa_reserve_vcc 0
		.amdhsa_float_round_mode_32 0
		.amdhsa_float_round_mode_16_64 0
		.amdhsa_float_denorm_mode_32 3
		.amdhsa_float_denorm_mode_16_64 3
		.amdhsa_dx10_clamp 1
		.amdhsa_ieee_mode 1
		.amdhsa_fp16_overflow 0
		.amdhsa_tg_split 0
		.amdhsa_exception_fp_ieee_invalid_op 0
		.amdhsa_exception_fp_denorm_src 0
		.amdhsa_exception_fp_ieee_div_zero 0
		.amdhsa_exception_fp_ieee_overflow 0
		.amdhsa_exception_fp_ieee_underflow 0
		.amdhsa_exception_fp_ieee_inexact 0
		.amdhsa_exception_int_div_zero 0
	.end_amdhsa_kernel
	.section	.text._ZN7rocprim17ROCPRIM_400000_NS6detail17trampoline_kernelINS0_14default_configENS1_25transform_config_selectorIhLb0EEEZNS1_14transform_implILb0ES3_S5_NS0_18transform_iteratorINS0_17counting_iteratorImlEEZNS1_24adjacent_difference_implIS3_Lb1ELb0EPhSB_N6thrust23THRUST_200600_302600_NS5minusIhEEEE10hipError_tPvRmT2_T3_mT4_P12ihipStream_tbEUlmE_hEESB_NS0_8identityIvEEEESG_SJ_SK_mSL_SN_bEUlT_E_NS1_11comp_targetILNS1_3genE3ELNS1_11target_archE908ELNS1_3gpuE7ELNS1_3repE0EEENS1_30default_config_static_selectorELNS0_4arch9wavefront6targetE1EEEvT1_,"axG",@progbits,_ZN7rocprim17ROCPRIM_400000_NS6detail17trampoline_kernelINS0_14default_configENS1_25transform_config_selectorIhLb0EEEZNS1_14transform_implILb0ES3_S5_NS0_18transform_iteratorINS0_17counting_iteratorImlEEZNS1_24adjacent_difference_implIS3_Lb1ELb0EPhSB_N6thrust23THRUST_200600_302600_NS5minusIhEEEE10hipError_tPvRmT2_T3_mT4_P12ihipStream_tbEUlmE_hEESB_NS0_8identityIvEEEESG_SJ_SK_mSL_SN_bEUlT_E_NS1_11comp_targetILNS1_3genE3ELNS1_11target_archE908ELNS1_3gpuE7ELNS1_3repE0EEENS1_30default_config_static_selectorELNS0_4arch9wavefront6targetE1EEEvT1_,comdat
.Lfunc_end274:
	.size	_ZN7rocprim17ROCPRIM_400000_NS6detail17trampoline_kernelINS0_14default_configENS1_25transform_config_selectorIhLb0EEEZNS1_14transform_implILb0ES3_S5_NS0_18transform_iteratorINS0_17counting_iteratorImlEEZNS1_24adjacent_difference_implIS3_Lb1ELb0EPhSB_N6thrust23THRUST_200600_302600_NS5minusIhEEEE10hipError_tPvRmT2_T3_mT4_P12ihipStream_tbEUlmE_hEESB_NS0_8identityIvEEEESG_SJ_SK_mSL_SN_bEUlT_E_NS1_11comp_targetILNS1_3genE3ELNS1_11target_archE908ELNS1_3gpuE7ELNS1_3repE0EEENS1_30default_config_static_selectorELNS0_4arch9wavefront6targetE1EEEvT1_, .Lfunc_end274-_ZN7rocprim17ROCPRIM_400000_NS6detail17trampoline_kernelINS0_14default_configENS1_25transform_config_selectorIhLb0EEEZNS1_14transform_implILb0ES3_S5_NS0_18transform_iteratorINS0_17counting_iteratorImlEEZNS1_24adjacent_difference_implIS3_Lb1ELb0EPhSB_N6thrust23THRUST_200600_302600_NS5minusIhEEEE10hipError_tPvRmT2_T3_mT4_P12ihipStream_tbEUlmE_hEESB_NS0_8identityIvEEEESG_SJ_SK_mSL_SN_bEUlT_E_NS1_11comp_targetILNS1_3genE3ELNS1_11target_archE908ELNS1_3gpuE7ELNS1_3repE0EEENS1_30default_config_static_selectorELNS0_4arch9wavefront6targetE1EEEvT1_
                                        ; -- End function
	.section	.AMDGPU.csdata,"",@progbits
; Kernel info:
; codeLenInByte = 0
; NumSgprs: 6
; NumVgprs: 0
; NumAgprs: 0
; TotalNumVgprs: 0
; ScratchSize: 0
; MemoryBound: 0
; FloatMode: 240
; IeeeMode: 1
; LDSByteSize: 0 bytes/workgroup (compile time only)
; SGPRBlocks: 0
; VGPRBlocks: 0
; NumSGPRsForWavesPerEU: 6
; NumVGPRsForWavesPerEU: 1
; AccumOffset: 4
; Occupancy: 8
; WaveLimiterHint : 0
; COMPUTE_PGM_RSRC2:SCRATCH_EN: 0
; COMPUTE_PGM_RSRC2:USER_SGPR: 2
; COMPUTE_PGM_RSRC2:TRAP_HANDLER: 0
; COMPUTE_PGM_RSRC2:TGID_X_EN: 1
; COMPUTE_PGM_RSRC2:TGID_Y_EN: 0
; COMPUTE_PGM_RSRC2:TGID_Z_EN: 0
; COMPUTE_PGM_RSRC2:TIDIG_COMP_CNT: 0
; COMPUTE_PGM_RSRC3_GFX90A:ACCUM_OFFSET: 0
; COMPUTE_PGM_RSRC3_GFX90A:TG_SPLIT: 0
	.section	.text._ZN7rocprim17ROCPRIM_400000_NS6detail17trampoline_kernelINS0_14default_configENS1_25transform_config_selectorIhLb0EEEZNS1_14transform_implILb0ES3_S5_NS0_18transform_iteratorINS0_17counting_iteratorImlEEZNS1_24adjacent_difference_implIS3_Lb1ELb0EPhSB_N6thrust23THRUST_200600_302600_NS5minusIhEEEE10hipError_tPvRmT2_T3_mT4_P12ihipStream_tbEUlmE_hEESB_NS0_8identityIvEEEESG_SJ_SK_mSL_SN_bEUlT_E_NS1_11comp_targetILNS1_3genE2ELNS1_11target_archE906ELNS1_3gpuE6ELNS1_3repE0EEENS1_30default_config_static_selectorELNS0_4arch9wavefront6targetE1EEEvT1_,"axG",@progbits,_ZN7rocprim17ROCPRIM_400000_NS6detail17trampoline_kernelINS0_14default_configENS1_25transform_config_selectorIhLb0EEEZNS1_14transform_implILb0ES3_S5_NS0_18transform_iteratorINS0_17counting_iteratorImlEEZNS1_24adjacent_difference_implIS3_Lb1ELb0EPhSB_N6thrust23THRUST_200600_302600_NS5minusIhEEEE10hipError_tPvRmT2_T3_mT4_P12ihipStream_tbEUlmE_hEESB_NS0_8identityIvEEEESG_SJ_SK_mSL_SN_bEUlT_E_NS1_11comp_targetILNS1_3genE2ELNS1_11target_archE906ELNS1_3gpuE6ELNS1_3repE0EEENS1_30default_config_static_selectorELNS0_4arch9wavefront6targetE1EEEvT1_,comdat
	.protected	_ZN7rocprim17ROCPRIM_400000_NS6detail17trampoline_kernelINS0_14default_configENS1_25transform_config_selectorIhLb0EEEZNS1_14transform_implILb0ES3_S5_NS0_18transform_iteratorINS0_17counting_iteratorImlEEZNS1_24adjacent_difference_implIS3_Lb1ELb0EPhSB_N6thrust23THRUST_200600_302600_NS5minusIhEEEE10hipError_tPvRmT2_T3_mT4_P12ihipStream_tbEUlmE_hEESB_NS0_8identityIvEEEESG_SJ_SK_mSL_SN_bEUlT_E_NS1_11comp_targetILNS1_3genE2ELNS1_11target_archE906ELNS1_3gpuE6ELNS1_3repE0EEENS1_30default_config_static_selectorELNS0_4arch9wavefront6targetE1EEEvT1_ ; -- Begin function _ZN7rocprim17ROCPRIM_400000_NS6detail17trampoline_kernelINS0_14default_configENS1_25transform_config_selectorIhLb0EEEZNS1_14transform_implILb0ES3_S5_NS0_18transform_iteratorINS0_17counting_iteratorImlEEZNS1_24adjacent_difference_implIS3_Lb1ELb0EPhSB_N6thrust23THRUST_200600_302600_NS5minusIhEEEE10hipError_tPvRmT2_T3_mT4_P12ihipStream_tbEUlmE_hEESB_NS0_8identityIvEEEESG_SJ_SK_mSL_SN_bEUlT_E_NS1_11comp_targetILNS1_3genE2ELNS1_11target_archE906ELNS1_3gpuE6ELNS1_3repE0EEENS1_30default_config_static_selectorELNS0_4arch9wavefront6targetE1EEEvT1_
	.globl	_ZN7rocprim17ROCPRIM_400000_NS6detail17trampoline_kernelINS0_14default_configENS1_25transform_config_selectorIhLb0EEEZNS1_14transform_implILb0ES3_S5_NS0_18transform_iteratorINS0_17counting_iteratorImlEEZNS1_24adjacent_difference_implIS3_Lb1ELb0EPhSB_N6thrust23THRUST_200600_302600_NS5minusIhEEEE10hipError_tPvRmT2_T3_mT4_P12ihipStream_tbEUlmE_hEESB_NS0_8identityIvEEEESG_SJ_SK_mSL_SN_bEUlT_E_NS1_11comp_targetILNS1_3genE2ELNS1_11target_archE906ELNS1_3gpuE6ELNS1_3repE0EEENS1_30default_config_static_selectorELNS0_4arch9wavefront6targetE1EEEvT1_
	.p2align	8
	.type	_ZN7rocprim17ROCPRIM_400000_NS6detail17trampoline_kernelINS0_14default_configENS1_25transform_config_selectorIhLb0EEEZNS1_14transform_implILb0ES3_S5_NS0_18transform_iteratorINS0_17counting_iteratorImlEEZNS1_24adjacent_difference_implIS3_Lb1ELb0EPhSB_N6thrust23THRUST_200600_302600_NS5minusIhEEEE10hipError_tPvRmT2_T3_mT4_P12ihipStream_tbEUlmE_hEESB_NS0_8identityIvEEEESG_SJ_SK_mSL_SN_bEUlT_E_NS1_11comp_targetILNS1_3genE2ELNS1_11target_archE906ELNS1_3gpuE6ELNS1_3repE0EEENS1_30default_config_static_selectorELNS0_4arch9wavefront6targetE1EEEvT1_,@function
_ZN7rocprim17ROCPRIM_400000_NS6detail17trampoline_kernelINS0_14default_configENS1_25transform_config_selectorIhLb0EEEZNS1_14transform_implILb0ES3_S5_NS0_18transform_iteratorINS0_17counting_iteratorImlEEZNS1_24adjacent_difference_implIS3_Lb1ELb0EPhSB_N6thrust23THRUST_200600_302600_NS5minusIhEEEE10hipError_tPvRmT2_T3_mT4_P12ihipStream_tbEUlmE_hEESB_NS0_8identityIvEEEESG_SJ_SK_mSL_SN_bEUlT_E_NS1_11comp_targetILNS1_3genE2ELNS1_11target_archE906ELNS1_3gpuE6ELNS1_3repE0EEENS1_30default_config_static_selectorELNS0_4arch9wavefront6targetE1EEEvT1_: ; @_ZN7rocprim17ROCPRIM_400000_NS6detail17trampoline_kernelINS0_14default_configENS1_25transform_config_selectorIhLb0EEEZNS1_14transform_implILb0ES3_S5_NS0_18transform_iteratorINS0_17counting_iteratorImlEEZNS1_24adjacent_difference_implIS3_Lb1ELb0EPhSB_N6thrust23THRUST_200600_302600_NS5minusIhEEEE10hipError_tPvRmT2_T3_mT4_P12ihipStream_tbEUlmE_hEESB_NS0_8identityIvEEEESG_SJ_SK_mSL_SN_bEUlT_E_NS1_11comp_targetILNS1_3genE2ELNS1_11target_archE906ELNS1_3gpuE6ELNS1_3repE0EEENS1_30default_config_static_selectorELNS0_4arch9wavefront6targetE1EEEvT1_
; %bb.0:
	.section	.rodata,"a",@progbits
	.p2align	6, 0x0
	.amdhsa_kernel _ZN7rocprim17ROCPRIM_400000_NS6detail17trampoline_kernelINS0_14default_configENS1_25transform_config_selectorIhLb0EEEZNS1_14transform_implILb0ES3_S5_NS0_18transform_iteratorINS0_17counting_iteratorImlEEZNS1_24adjacent_difference_implIS3_Lb1ELb0EPhSB_N6thrust23THRUST_200600_302600_NS5minusIhEEEE10hipError_tPvRmT2_T3_mT4_P12ihipStream_tbEUlmE_hEESB_NS0_8identityIvEEEESG_SJ_SK_mSL_SN_bEUlT_E_NS1_11comp_targetILNS1_3genE2ELNS1_11target_archE906ELNS1_3gpuE6ELNS1_3repE0EEENS1_30default_config_static_selectorELNS0_4arch9wavefront6targetE1EEEvT1_
		.amdhsa_group_segment_fixed_size 0
		.amdhsa_private_segment_fixed_size 0
		.amdhsa_kernarg_size 56
		.amdhsa_user_sgpr_count 2
		.amdhsa_user_sgpr_dispatch_ptr 0
		.amdhsa_user_sgpr_queue_ptr 0
		.amdhsa_user_sgpr_kernarg_segment_ptr 1
		.amdhsa_user_sgpr_dispatch_id 0
		.amdhsa_user_sgpr_kernarg_preload_length 0
		.amdhsa_user_sgpr_kernarg_preload_offset 0
		.amdhsa_user_sgpr_private_segment_size 0
		.amdhsa_uses_dynamic_stack 0
		.amdhsa_enable_private_segment 0
		.amdhsa_system_sgpr_workgroup_id_x 1
		.amdhsa_system_sgpr_workgroup_id_y 0
		.amdhsa_system_sgpr_workgroup_id_z 0
		.amdhsa_system_sgpr_workgroup_info 0
		.amdhsa_system_vgpr_workitem_id 0
		.amdhsa_next_free_vgpr 1
		.amdhsa_next_free_sgpr 0
		.amdhsa_accum_offset 4
		.amdhsa_reserve_vcc 0
		.amdhsa_float_round_mode_32 0
		.amdhsa_float_round_mode_16_64 0
		.amdhsa_float_denorm_mode_32 3
		.amdhsa_float_denorm_mode_16_64 3
		.amdhsa_dx10_clamp 1
		.amdhsa_ieee_mode 1
		.amdhsa_fp16_overflow 0
		.amdhsa_tg_split 0
		.amdhsa_exception_fp_ieee_invalid_op 0
		.amdhsa_exception_fp_denorm_src 0
		.amdhsa_exception_fp_ieee_div_zero 0
		.amdhsa_exception_fp_ieee_overflow 0
		.amdhsa_exception_fp_ieee_underflow 0
		.amdhsa_exception_fp_ieee_inexact 0
		.amdhsa_exception_int_div_zero 0
	.end_amdhsa_kernel
	.section	.text._ZN7rocprim17ROCPRIM_400000_NS6detail17trampoline_kernelINS0_14default_configENS1_25transform_config_selectorIhLb0EEEZNS1_14transform_implILb0ES3_S5_NS0_18transform_iteratorINS0_17counting_iteratorImlEEZNS1_24adjacent_difference_implIS3_Lb1ELb0EPhSB_N6thrust23THRUST_200600_302600_NS5minusIhEEEE10hipError_tPvRmT2_T3_mT4_P12ihipStream_tbEUlmE_hEESB_NS0_8identityIvEEEESG_SJ_SK_mSL_SN_bEUlT_E_NS1_11comp_targetILNS1_3genE2ELNS1_11target_archE906ELNS1_3gpuE6ELNS1_3repE0EEENS1_30default_config_static_selectorELNS0_4arch9wavefront6targetE1EEEvT1_,"axG",@progbits,_ZN7rocprim17ROCPRIM_400000_NS6detail17trampoline_kernelINS0_14default_configENS1_25transform_config_selectorIhLb0EEEZNS1_14transform_implILb0ES3_S5_NS0_18transform_iteratorINS0_17counting_iteratorImlEEZNS1_24adjacent_difference_implIS3_Lb1ELb0EPhSB_N6thrust23THRUST_200600_302600_NS5minusIhEEEE10hipError_tPvRmT2_T3_mT4_P12ihipStream_tbEUlmE_hEESB_NS0_8identityIvEEEESG_SJ_SK_mSL_SN_bEUlT_E_NS1_11comp_targetILNS1_3genE2ELNS1_11target_archE906ELNS1_3gpuE6ELNS1_3repE0EEENS1_30default_config_static_selectorELNS0_4arch9wavefront6targetE1EEEvT1_,comdat
.Lfunc_end275:
	.size	_ZN7rocprim17ROCPRIM_400000_NS6detail17trampoline_kernelINS0_14default_configENS1_25transform_config_selectorIhLb0EEEZNS1_14transform_implILb0ES3_S5_NS0_18transform_iteratorINS0_17counting_iteratorImlEEZNS1_24adjacent_difference_implIS3_Lb1ELb0EPhSB_N6thrust23THRUST_200600_302600_NS5minusIhEEEE10hipError_tPvRmT2_T3_mT4_P12ihipStream_tbEUlmE_hEESB_NS0_8identityIvEEEESG_SJ_SK_mSL_SN_bEUlT_E_NS1_11comp_targetILNS1_3genE2ELNS1_11target_archE906ELNS1_3gpuE6ELNS1_3repE0EEENS1_30default_config_static_selectorELNS0_4arch9wavefront6targetE1EEEvT1_, .Lfunc_end275-_ZN7rocprim17ROCPRIM_400000_NS6detail17trampoline_kernelINS0_14default_configENS1_25transform_config_selectorIhLb0EEEZNS1_14transform_implILb0ES3_S5_NS0_18transform_iteratorINS0_17counting_iteratorImlEEZNS1_24adjacent_difference_implIS3_Lb1ELb0EPhSB_N6thrust23THRUST_200600_302600_NS5minusIhEEEE10hipError_tPvRmT2_T3_mT4_P12ihipStream_tbEUlmE_hEESB_NS0_8identityIvEEEESG_SJ_SK_mSL_SN_bEUlT_E_NS1_11comp_targetILNS1_3genE2ELNS1_11target_archE906ELNS1_3gpuE6ELNS1_3repE0EEENS1_30default_config_static_selectorELNS0_4arch9wavefront6targetE1EEEvT1_
                                        ; -- End function
	.section	.AMDGPU.csdata,"",@progbits
; Kernel info:
; codeLenInByte = 0
; NumSgprs: 6
; NumVgprs: 0
; NumAgprs: 0
; TotalNumVgprs: 0
; ScratchSize: 0
; MemoryBound: 0
; FloatMode: 240
; IeeeMode: 1
; LDSByteSize: 0 bytes/workgroup (compile time only)
; SGPRBlocks: 0
; VGPRBlocks: 0
; NumSGPRsForWavesPerEU: 6
; NumVGPRsForWavesPerEU: 1
; AccumOffset: 4
; Occupancy: 8
; WaveLimiterHint : 0
; COMPUTE_PGM_RSRC2:SCRATCH_EN: 0
; COMPUTE_PGM_RSRC2:USER_SGPR: 2
; COMPUTE_PGM_RSRC2:TRAP_HANDLER: 0
; COMPUTE_PGM_RSRC2:TGID_X_EN: 1
; COMPUTE_PGM_RSRC2:TGID_Y_EN: 0
; COMPUTE_PGM_RSRC2:TGID_Z_EN: 0
; COMPUTE_PGM_RSRC2:TIDIG_COMP_CNT: 0
; COMPUTE_PGM_RSRC3_GFX90A:ACCUM_OFFSET: 0
; COMPUTE_PGM_RSRC3_GFX90A:TG_SPLIT: 0
	.section	.text._ZN7rocprim17ROCPRIM_400000_NS6detail17trampoline_kernelINS0_14default_configENS1_25transform_config_selectorIhLb0EEEZNS1_14transform_implILb0ES3_S5_NS0_18transform_iteratorINS0_17counting_iteratorImlEEZNS1_24adjacent_difference_implIS3_Lb1ELb0EPhSB_N6thrust23THRUST_200600_302600_NS5minusIhEEEE10hipError_tPvRmT2_T3_mT4_P12ihipStream_tbEUlmE_hEESB_NS0_8identityIvEEEESG_SJ_SK_mSL_SN_bEUlT_E_NS1_11comp_targetILNS1_3genE10ELNS1_11target_archE1201ELNS1_3gpuE5ELNS1_3repE0EEENS1_30default_config_static_selectorELNS0_4arch9wavefront6targetE1EEEvT1_,"axG",@progbits,_ZN7rocprim17ROCPRIM_400000_NS6detail17trampoline_kernelINS0_14default_configENS1_25transform_config_selectorIhLb0EEEZNS1_14transform_implILb0ES3_S5_NS0_18transform_iteratorINS0_17counting_iteratorImlEEZNS1_24adjacent_difference_implIS3_Lb1ELb0EPhSB_N6thrust23THRUST_200600_302600_NS5minusIhEEEE10hipError_tPvRmT2_T3_mT4_P12ihipStream_tbEUlmE_hEESB_NS0_8identityIvEEEESG_SJ_SK_mSL_SN_bEUlT_E_NS1_11comp_targetILNS1_3genE10ELNS1_11target_archE1201ELNS1_3gpuE5ELNS1_3repE0EEENS1_30default_config_static_selectorELNS0_4arch9wavefront6targetE1EEEvT1_,comdat
	.protected	_ZN7rocprim17ROCPRIM_400000_NS6detail17trampoline_kernelINS0_14default_configENS1_25transform_config_selectorIhLb0EEEZNS1_14transform_implILb0ES3_S5_NS0_18transform_iteratorINS0_17counting_iteratorImlEEZNS1_24adjacent_difference_implIS3_Lb1ELb0EPhSB_N6thrust23THRUST_200600_302600_NS5minusIhEEEE10hipError_tPvRmT2_T3_mT4_P12ihipStream_tbEUlmE_hEESB_NS0_8identityIvEEEESG_SJ_SK_mSL_SN_bEUlT_E_NS1_11comp_targetILNS1_3genE10ELNS1_11target_archE1201ELNS1_3gpuE5ELNS1_3repE0EEENS1_30default_config_static_selectorELNS0_4arch9wavefront6targetE1EEEvT1_ ; -- Begin function _ZN7rocprim17ROCPRIM_400000_NS6detail17trampoline_kernelINS0_14default_configENS1_25transform_config_selectorIhLb0EEEZNS1_14transform_implILb0ES3_S5_NS0_18transform_iteratorINS0_17counting_iteratorImlEEZNS1_24adjacent_difference_implIS3_Lb1ELb0EPhSB_N6thrust23THRUST_200600_302600_NS5minusIhEEEE10hipError_tPvRmT2_T3_mT4_P12ihipStream_tbEUlmE_hEESB_NS0_8identityIvEEEESG_SJ_SK_mSL_SN_bEUlT_E_NS1_11comp_targetILNS1_3genE10ELNS1_11target_archE1201ELNS1_3gpuE5ELNS1_3repE0EEENS1_30default_config_static_selectorELNS0_4arch9wavefront6targetE1EEEvT1_
	.globl	_ZN7rocprim17ROCPRIM_400000_NS6detail17trampoline_kernelINS0_14default_configENS1_25transform_config_selectorIhLb0EEEZNS1_14transform_implILb0ES3_S5_NS0_18transform_iteratorINS0_17counting_iteratorImlEEZNS1_24adjacent_difference_implIS3_Lb1ELb0EPhSB_N6thrust23THRUST_200600_302600_NS5minusIhEEEE10hipError_tPvRmT2_T3_mT4_P12ihipStream_tbEUlmE_hEESB_NS0_8identityIvEEEESG_SJ_SK_mSL_SN_bEUlT_E_NS1_11comp_targetILNS1_3genE10ELNS1_11target_archE1201ELNS1_3gpuE5ELNS1_3repE0EEENS1_30default_config_static_selectorELNS0_4arch9wavefront6targetE1EEEvT1_
	.p2align	8
	.type	_ZN7rocprim17ROCPRIM_400000_NS6detail17trampoline_kernelINS0_14default_configENS1_25transform_config_selectorIhLb0EEEZNS1_14transform_implILb0ES3_S5_NS0_18transform_iteratorINS0_17counting_iteratorImlEEZNS1_24adjacent_difference_implIS3_Lb1ELb0EPhSB_N6thrust23THRUST_200600_302600_NS5minusIhEEEE10hipError_tPvRmT2_T3_mT4_P12ihipStream_tbEUlmE_hEESB_NS0_8identityIvEEEESG_SJ_SK_mSL_SN_bEUlT_E_NS1_11comp_targetILNS1_3genE10ELNS1_11target_archE1201ELNS1_3gpuE5ELNS1_3repE0EEENS1_30default_config_static_selectorELNS0_4arch9wavefront6targetE1EEEvT1_,@function
_ZN7rocprim17ROCPRIM_400000_NS6detail17trampoline_kernelINS0_14default_configENS1_25transform_config_selectorIhLb0EEEZNS1_14transform_implILb0ES3_S5_NS0_18transform_iteratorINS0_17counting_iteratorImlEEZNS1_24adjacent_difference_implIS3_Lb1ELb0EPhSB_N6thrust23THRUST_200600_302600_NS5minusIhEEEE10hipError_tPvRmT2_T3_mT4_P12ihipStream_tbEUlmE_hEESB_NS0_8identityIvEEEESG_SJ_SK_mSL_SN_bEUlT_E_NS1_11comp_targetILNS1_3genE10ELNS1_11target_archE1201ELNS1_3gpuE5ELNS1_3repE0EEENS1_30default_config_static_selectorELNS0_4arch9wavefront6targetE1EEEvT1_: ; @_ZN7rocprim17ROCPRIM_400000_NS6detail17trampoline_kernelINS0_14default_configENS1_25transform_config_selectorIhLb0EEEZNS1_14transform_implILb0ES3_S5_NS0_18transform_iteratorINS0_17counting_iteratorImlEEZNS1_24adjacent_difference_implIS3_Lb1ELb0EPhSB_N6thrust23THRUST_200600_302600_NS5minusIhEEEE10hipError_tPvRmT2_T3_mT4_P12ihipStream_tbEUlmE_hEESB_NS0_8identityIvEEEESG_SJ_SK_mSL_SN_bEUlT_E_NS1_11comp_targetILNS1_3genE10ELNS1_11target_archE1201ELNS1_3gpuE5ELNS1_3repE0EEENS1_30default_config_static_selectorELNS0_4arch9wavefront6targetE1EEEvT1_
; %bb.0:
	.section	.rodata,"a",@progbits
	.p2align	6, 0x0
	.amdhsa_kernel _ZN7rocprim17ROCPRIM_400000_NS6detail17trampoline_kernelINS0_14default_configENS1_25transform_config_selectorIhLb0EEEZNS1_14transform_implILb0ES3_S5_NS0_18transform_iteratorINS0_17counting_iteratorImlEEZNS1_24adjacent_difference_implIS3_Lb1ELb0EPhSB_N6thrust23THRUST_200600_302600_NS5minusIhEEEE10hipError_tPvRmT2_T3_mT4_P12ihipStream_tbEUlmE_hEESB_NS0_8identityIvEEEESG_SJ_SK_mSL_SN_bEUlT_E_NS1_11comp_targetILNS1_3genE10ELNS1_11target_archE1201ELNS1_3gpuE5ELNS1_3repE0EEENS1_30default_config_static_selectorELNS0_4arch9wavefront6targetE1EEEvT1_
		.amdhsa_group_segment_fixed_size 0
		.amdhsa_private_segment_fixed_size 0
		.amdhsa_kernarg_size 56
		.amdhsa_user_sgpr_count 2
		.amdhsa_user_sgpr_dispatch_ptr 0
		.amdhsa_user_sgpr_queue_ptr 0
		.amdhsa_user_sgpr_kernarg_segment_ptr 1
		.amdhsa_user_sgpr_dispatch_id 0
		.amdhsa_user_sgpr_kernarg_preload_length 0
		.amdhsa_user_sgpr_kernarg_preload_offset 0
		.amdhsa_user_sgpr_private_segment_size 0
		.amdhsa_uses_dynamic_stack 0
		.amdhsa_enable_private_segment 0
		.amdhsa_system_sgpr_workgroup_id_x 1
		.amdhsa_system_sgpr_workgroup_id_y 0
		.amdhsa_system_sgpr_workgroup_id_z 0
		.amdhsa_system_sgpr_workgroup_info 0
		.amdhsa_system_vgpr_workitem_id 0
		.amdhsa_next_free_vgpr 1
		.amdhsa_next_free_sgpr 0
		.amdhsa_accum_offset 4
		.amdhsa_reserve_vcc 0
		.amdhsa_float_round_mode_32 0
		.amdhsa_float_round_mode_16_64 0
		.amdhsa_float_denorm_mode_32 3
		.amdhsa_float_denorm_mode_16_64 3
		.amdhsa_dx10_clamp 1
		.amdhsa_ieee_mode 1
		.amdhsa_fp16_overflow 0
		.amdhsa_tg_split 0
		.amdhsa_exception_fp_ieee_invalid_op 0
		.amdhsa_exception_fp_denorm_src 0
		.amdhsa_exception_fp_ieee_div_zero 0
		.amdhsa_exception_fp_ieee_overflow 0
		.amdhsa_exception_fp_ieee_underflow 0
		.amdhsa_exception_fp_ieee_inexact 0
		.amdhsa_exception_int_div_zero 0
	.end_amdhsa_kernel
	.section	.text._ZN7rocprim17ROCPRIM_400000_NS6detail17trampoline_kernelINS0_14default_configENS1_25transform_config_selectorIhLb0EEEZNS1_14transform_implILb0ES3_S5_NS0_18transform_iteratorINS0_17counting_iteratorImlEEZNS1_24adjacent_difference_implIS3_Lb1ELb0EPhSB_N6thrust23THRUST_200600_302600_NS5minusIhEEEE10hipError_tPvRmT2_T3_mT4_P12ihipStream_tbEUlmE_hEESB_NS0_8identityIvEEEESG_SJ_SK_mSL_SN_bEUlT_E_NS1_11comp_targetILNS1_3genE10ELNS1_11target_archE1201ELNS1_3gpuE5ELNS1_3repE0EEENS1_30default_config_static_selectorELNS0_4arch9wavefront6targetE1EEEvT1_,"axG",@progbits,_ZN7rocprim17ROCPRIM_400000_NS6detail17trampoline_kernelINS0_14default_configENS1_25transform_config_selectorIhLb0EEEZNS1_14transform_implILb0ES3_S5_NS0_18transform_iteratorINS0_17counting_iteratorImlEEZNS1_24adjacent_difference_implIS3_Lb1ELb0EPhSB_N6thrust23THRUST_200600_302600_NS5minusIhEEEE10hipError_tPvRmT2_T3_mT4_P12ihipStream_tbEUlmE_hEESB_NS0_8identityIvEEEESG_SJ_SK_mSL_SN_bEUlT_E_NS1_11comp_targetILNS1_3genE10ELNS1_11target_archE1201ELNS1_3gpuE5ELNS1_3repE0EEENS1_30default_config_static_selectorELNS0_4arch9wavefront6targetE1EEEvT1_,comdat
.Lfunc_end276:
	.size	_ZN7rocprim17ROCPRIM_400000_NS6detail17trampoline_kernelINS0_14default_configENS1_25transform_config_selectorIhLb0EEEZNS1_14transform_implILb0ES3_S5_NS0_18transform_iteratorINS0_17counting_iteratorImlEEZNS1_24adjacent_difference_implIS3_Lb1ELb0EPhSB_N6thrust23THRUST_200600_302600_NS5minusIhEEEE10hipError_tPvRmT2_T3_mT4_P12ihipStream_tbEUlmE_hEESB_NS0_8identityIvEEEESG_SJ_SK_mSL_SN_bEUlT_E_NS1_11comp_targetILNS1_3genE10ELNS1_11target_archE1201ELNS1_3gpuE5ELNS1_3repE0EEENS1_30default_config_static_selectorELNS0_4arch9wavefront6targetE1EEEvT1_, .Lfunc_end276-_ZN7rocprim17ROCPRIM_400000_NS6detail17trampoline_kernelINS0_14default_configENS1_25transform_config_selectorIhLb0EEEZNS1_14transform_implILb0ES3_S5_NS0_18transform_iteratorINS0_17counting_iteratorImlEEZNS1_24adjacent_difference_implIS3_Lb1ELb0EPhSB_N6thrust23THRUST_200600_302600_NS5minusIhEEEE10hipError_tPvRmT2_T3_mT4_P12ihipStream_tbEUlmE_hEESB_NS0_8identityIvEEEESG_SJ_SK_mSL_SN_bEUlT_E_NS1_11comp_targetILNS1_3genE10ELNS1_11target_archE1201ELNS1_3gpuE5ELNS1_3repE0EEENS1_30default_config_static_selectorELNS0_4arch9wavefront6targetE1EEEvT1_
                                        ; -- End function
	.section	.AMDGPU.csdata,"",@progbits
; Kernel info:
; codeLenInByte = 0
; NumSgprs: 6
; NumVgprs: 0
; NumAgprs: 0
; TotalNumVgprs: 0
; ScratchSize: 0
; MemoryBound: 0
; FloatMode: 240
; IeeeMode: 1
; LDSByteSize: 0 bytes/workgroup (compile time only)
; SGPRBlocks: 0
; VGPRBlocks: 0
; NumSGPRsForWavesPerEU: 6
; NumVGPRsForWavesPerEU: 1
; AccumOffset: 4
; Occupancy: 8
; WaveLimiterHint : 0
; COMPUTE_PGM_RSRC2:SCRATCH_EN: 0
; COMPUTE_PGM_RSRC2:USER_SGPR: 2
; COMPUTE_PGM_RSRC2:TRAP_HANDLER: 0
; COMPUTE_PGM_RSRC2:TGID_X_EN: 1
; COMPUTE_PGM_RSRC2:TGID_Y_EN: 0
; COMPUTE_PGM_RSRC2:TGID_Z_EN: 0
; COMPUTE_PGM_RSRC2:TIDIG_COMP_CNT: 0
; COMPUTE_PGM_RSRC3_GFX90A:ACCUM_OFFSET: 0
; COMPUTE_PGM_RSRC3_GFX90A:TG_SPLIT: 0
	.section	.text._ZN7rocprim17ROCPRIM_400000_NS6detail17trampoline_kernelINS0_14default_configENS1_25transform_config_selectorIhLb0EEEZNS1_14transform_implILb0ES3_S5_NS0_18transform_iteratorINS0_17counting_iteratorImlEEZNS1_24adjacent_difference_implIS3_Lb1ELb0EPhSB_N6thrust23THRUST_200600_302600_NS5minusIhEEEE10hipError_tPvRmT2_T3_mT4_P12ihipStream_tbEUlmE_hEESB_NS0_8identityIvEEEESG_SJ_SK_mSL_SN_bEUlT_E_NS1_11comp_targetILNS1_3genE10ELNS1_11target_archE1200ELNS1_3gpuE4ELNS1_3repE0EEENS1_30default_config_static_selectorELNS0_4arch9wavefront6targetE1EEEvT1_,"axG",@progbits,_ZN7rocprim17ROCPRIM_400000_NS6detail17trampoline_kernelINS0_14default_configENS1_25transform_config_selectorIhLb0EEEZNS1_14transform_implILb0ES3_S5_NS0_18transform_iteratorINS0_17counting_iteratorImlEEZNS1_24adjacent_difference_implIS3_Lb1ELb0EPhSB_N6thrust23THRUST_200600_302600_NS5minusIhEEEE10hipError_tPvRmT2_T3_mT4_P12ihipStream_tbEUlmE_hEESB_NS0_8identityIvEEEESG_SJ_SK_mSL_SN_bEUlT_E_NS1_11comp_targetILNS1_3genE10ELNS1_11target_archE1200ELNS1_3gpuE4ELNS1_3repE0EEENS1_30default_config_static_selectorELNS0_4arch9wavefront6targetE1EEEvT1_,comdat
	.protected	_ZN7rocprim17ROCPRIM_400000_NS6detail17trampoline_kernelINS0_14default_configENS1_25transform_config_selectorIhLb0EEEZNS1_14transform_implILb0ES3_S5_NS0_18transform_iteratorINS0_17counting_iteratorImlEEZNS1_24adjacent_difference_implIS3_Lb1ELb0EPhSB_N6thrust23THRUST_200600_302600_NS5minusIhEEEE10hipError_tPvRmT2_T3_mT4_P12ihipStream_tbEUlmE_hEESB_NS0_8identityIvEEEESG_SJ_SK_mSL_SN_bEUlT_E_NS1_11comp_targetILNS1_3genE10ELNS1_11target_archE1200ELNS1_3gpuE4ELNS1_3repE0EEENS1_30default_config_static_selectorELNS0_4arch9wavefront6targetE1EEEvT1_ ; -- Begin function _ZN7rocprim17ROCPRIM_400000_NS6detail17trampoline_kernelINS0_14default_configENS1_25transform_config_selectorIhLb0EEEZNS1_14transform_implILb0ES3_S5_NS0_18transform_iteratorINS0_17counting_iteratorImlEEZNS1_24adjacent_difference_implIS3_Lb1ELb0EPhSB_N6thrust23THRUST_200600_302600_NS5minusIhEEEE10hipError_tPvRmT2_T3_mT4_P12ihipStream_tbEUlmE_hEESB_NS0_8identityIvEEEESG_SJ_SK_mSL_SN_bEUlT_E_NS1_11comp_targetILNS1_3genE10ELNS1_11target_archE1200ELNS1_3gpuE4ELNS1_3repE0EEENS1_30default_config_static_selectorELNS0_4arch9wavefront6targetE1EEEvT1_
	.globl	_ZN7rocprim17ROCPRIM_400000_NS6detail17trampoline_kernelINS0_14default_configENS1_25transform_config_selectorIhLb0EEEZNS1_14transform_implILb0ES3_S5_NS0_18transform_iteratorINS0_17counting_iteratorImlEEZNS1_24adjacent_difference_implIS3_Lb1ELb0EPhSB_N6thrust23THRUST_200600_302600_NS5minusIhEEEE10hipError_tPvRmT2_T3_mT4_P12ihipStream_tbEUlmE_hEESB_NS0_8identityIvEEEESG_SJ_SK_mSL_SN_bEUlT_E_NS1_11comp_targetILNS1_3genE10ELNS1_11target_archE1200ELNS1_3gpuE4ELNS1_3repE0EEENS1_30default_config_static_selectorELNS0_4arch9wavefront6targetE1EEEvT1_
	.p2align	8
	.type	_ZN7rocprim17ROCPRIM_400000_NS6detail17trampoline_kernelINS0_14default_configENS1_25transform_config_selectorIhLb0EEEZNS1_14transform_implILb0ES3_S5_NS0_18transform_iteratorINS0_17counting_iteratorImlEEZNS1_24adjacent_difference_implIS3_Lb1ELb0EPhSB_N6thrust23THRUST_200600_302600_NS5minusIhEEEE10hipError_tPvRmT2_T3_mT4_P12ihipStream_tbEUlmE_hEESB_NS0_8identityIvEEEESG_SJ_SK_mSL_SN_bEUlT_E_NS1_11comp_targetILNS1_3genE10ELNS1_11target_archE1200ELNS1_3gpuE4ELNS1_3repE0EEENS1_30default_config_static_selectorELNS0_4arch9wavefront6targetE1EEEvT1_,@function
_ZN7rocprim17ROCPRIM_400000_NS6detail17trampoline_kernelINS0_14default_configENS1_25transform_config_selectorIhLb0EEEZNS1_14transform_implILb0ES3_S5_NS0_18transform_iteratorINS0_17counting_iteratorImlEEZNS1_24adjacent_difference_implIS3_Lb1ELb0EPhSB_N6thrust23THRUST_200600_302600_NS5minusIhEEEE10hipError_tPvRmT2_T3_mT4_P12ihipStream_tbEUlmE_hEESB_NS0_8identityIvEEEESG_SJ_SK_mSL_SN_bEUlT_E_NS1_11comp_targetILNS1_3genE10ELNS1_11target_archE1200ELNS1_3gpuE4ELNS1_3repE0EEENS1_30default_config_static_selectorELNS0_4arch9wavefront6targetE1EEEvT1_: ; @_ZN7rocprim17ROCPRIM_400000_NS6detail17trampoline_kernelINS0_14default_configENS1_25transform_config_selectorIhLb0EEEZNS1_14transform_implILb0ES3_S5_NS0_18transform_iteratorINS0_17counting_iteratorImlEEZNS1_24adjacent_difference_implIS3_Lb1ELb0EPhSB_N6thrust23THRUST_200600_302600_NS5minusIhEEEE10hipError_tPvRmT2_T3_mT4_P12ihipStream_tbEUlmE_hEESB_NS0_8identityIvEEEESG_SJ_SK_mSL_SN_bEUlT_E_NS1_11comp_targetILNS1_3genE10ELNS1_11target_archE1200ELNS1_3gpuE4ELNS1_3repE0EEENS1_30default_config_static_selectorELNS0_4arch9wavefront6targetE1EEEvT1_
; %bb.0:
	.section	.rodata,"a",@progbits
	.p2align	6, 0x0
	.amdhsa_kernel _ZN7rocprim17ROCPRIM_400000_NS6detail17trampoline_kernelINS0_14default_configENS1_25transform_config_selectorIhLb0EEEZNS1_14transform_implILb0ES3_S5_NS0_18transform_iteratorINS0_17counting_iteratorImlEEZNS1_24adjacent_difference_implIS3_Lb1ELb0EPhSB_N6thrust23THRUST_200600_302600_NS5minusIhEEEE10hipError_tPvRmT2_T3_mT4_P12ihipStream_tbEUlmE_hEESB_NS0_8identityIvEEEESG_SJ_SK_mSL_SN_bEUlT_E_NS1_11comp_targetILNS1_3genE10ELNS1_11target_archE1200ELNS1_3gpuE4ELNS1_3repE0EEENS1_30default_config_static_selectorELNS0_4arch9wavefront6targetE1EEEvT1_
		.amdhsa_group_segment_fixed_size 0
		.amdhsa_private_segment_fixed_size 0
		.amdhsa_kernarg_size 56
		.amdhsa_user_sgpr_count 2
		.amdhsa_user_sgpr_dispatch_ptr 0
		.amdhsa_user_sgpr_queue_ptr 0
		.amdhsa_user_sgpr_kernarg_segment_ptr 1
		.amdhsa_user_sgpr_dispatch_id 0
		.amdhsa_user_sgpr_kernarg_preload_length 0
		.amdhsa_user_sgpr_kernarg_preload_offset 0
		.amdhsa_user_sgpr_private_segment_size 0
		.amdhsa_uses_dynamic_stack 0
		.amdhsa_enable_private_segment 0
		.amdhsa_system_sgpr_workgroup_id_x 1
		.amdhsa_system_sgpr_workgroup_id_y 0
		.amdhsa_system_sgpr_workgroup_id_z 0
		.amdhsa_system_sgpr_workgroup_info 0
		.amdhsa_system_vgpr_workitem_id 0
		.amdhsa_next_free_vgpr 1
		.amdhsa_next_free_sgpr 0
		.amdhsa_accum_offset 4
		.amdhsa_reserve_vcc 0
		.amdhsa_float_round_mode_32 0
		.amdhsa_float_round_mode_16_64 0
		.amdhsa_float_denorm_mode_32 3
		.amdhsa_float_denorm_mode_16_64 3
		.amdhsa_dx10_clamp 1
		.amdhsa_ieee_mode 1
		.amdhsa_fp16_overflow 0
		.amdhsa_tg_split 0
		.amdhsa_exception_fp_ieee_invalid_op 0
		.amdhsa_exception_fp_denorm_src 0
		.amdhsa_exception_fp_ieee_div_zero 0
		.amdhsa_exception_fp_ieee_overflow 0
		.amdhsa_exception_fp_ieee_underflow 0
		.amdhsa_exception_fp_ieee_inexact 0
		.amdhsa_exception_int_div_zero 0
	.end_amdhsa_kernel
	.section	.text._ZN7rocprim17ROCPRIM_400000_NS6detail17trampoline_kernelINS0_14default_configENS1_25transform_config_selectorIhLb0EEEZNS1_14transform_implILb0ES3_S5_NS0_18transform_iteratorINS0_17counting_iteratorImlEEZNS1_24adjacent_difference_implIS3_Lb1ELb0EPhSB_N6thrust23THRUST_200600_302600_NS5minusIhEEEE10hipError_tPvRmT2_T3_mT4_P12ihipStream_tbEUlmE_hEESB_NS0_8identityIvEEEESG_SJ_SK_mSL_SN_bEUlT_E_NS1_11comp_targetILNS1_3genE10ELNS1_11target_archE1200ELNS1_3gpuE4ELNS1_3repE0EEENS1_30default_config_static_selectorELNS0_4arch9wavefront6targetE1EEEvT1_,"axG",@progbits,_ZN7rocprim17ROCPRIM_400000_NS6detail17trampoline_kernelINS0_14default_configENS1_25transform_config_selectorIhLb0EEEZNS1_14transform_implILb0ES3_S5_NS0_18transform_iteratorINS0_17counting_iteratorImlEEZNS1_24adjacent_difference_implIS3_Lb1ELb0EPhSB_N6thrust23THRUST_200600_302600_NS5minusIhEEEE10hipError_tPvRmT2_T3_mT4_P12ihipStream_tbEUlmE_hEESB_NS0_8identityIvEEEESG_SJ_SK_mSL_SN_bEUlT_E_NS1_11comp_targetILNS1_3genE10ELNS1_11target_archE1200ELNS1_3gpuE4ELNS1_3repE0EEENS1_30default_config_static_selectorELNS0_4arch9wavefront6targetE1EEEvT1_,comdat
.Lfunc_end277:
	.size	_ZN7rocprim17ROCPRIM_400000_NS6detail17trampoline_kernelINS0_14default_configENS1_25transform_config_selectorIhLb0EEEZNS1_14transform_implILb0ES3_S5_NS0_18transform_iteratorINS0_17counting_iteratorImlEEZNS1_24adjacent_difference_implIS3_Lb1ELb0EPhSB_N6thrust23THRUST_200600_302600_NS5minusIhEEEE10hipError_tPvRmT2_T3_mT4_P12ihipStream_tbEUlmE_hEESB_NS0_8identityIvEEEESG_SJ_SK_mSL_SN_bEUlT_E_NS1_11comp_targetILNS1_3genE10ELNS1_11target_archE1200ELNS1_3gpuE4ELNS1_3repE0EEENS1_30default_config_static_selectorELNS0_4arch9wavefront6targetE1EEEvT1_, .Lfunc_end277-_ZN7rocprim17ROCPRIM_400000_NS6detail17trampoline_kernelINS0_14default_configENS1_25transform_config_selectorIhLb0EEEZNS1_14transform_implILb0ES3_S5_NS0_18transform_iteratorINS0_17counting_iteratorImlEEZNS1_24adjacent_difference_implIS3_Lb1ELb0EPhSB_N6thrust23THRUST_200600_302600_NS5minusIhEEEE10hipError_tPvRmT2_T3_mT4_P12ihipStream_tbEUlmE_hEESB_NS0_8identityIvEEEESG_SJ_SK_mSL_SN_bEUlT_E_NS1_11comp_targetILNS1_3genE10ELNS1_11target_archE1200ELNS1_3gpuE4ELNS1_3repE0EEENS1_30default_config_static_selectorELNS0_4arch9wavefront6targetE1EEEvT1_
                                        ; -- End function
	.section	.AMDGPU.csdata,"",@progbits
; Kernel info:
; codeLenInByte = 0
; NumSgprs: 6
; NumVgprs: 0
; NumAgprs: 0
; TotalNumVgprs: 0
; ScratchSize: 0
; MemoryBound: 0
; FloatMode: 240
; IeeeMode: 1
; LDSByteSize: 0 bytes/workgroup (compile time only)
; SGPRBlocks: 0
; VGPRBlocks: 0
; NumSGPRsForWavesPerEU: 6
; NumVGPRsForWavesPerEU: 1
; AccumOffset: 4
; Occupancy: 8
; WaveLimiterHint : 0
; COMPUTE_PGM_RSRC2:SCRATCH_EN: 0
; COMPUTE_PGM_RSRC2:USER_SGPR: 2
; COMPUTE_PGM_RSRC2:TRAP_HANDLER: 0
; COMPUTE_PGM_RSRC2:TGID_X_EN: 1
; COMPUTE_PGM_RSRC2:TGID_Y_EN: 0
; COMPUTE_PGM_RSRC2:TGID_Z_EN: 0
; COMPUTE_PGM_RSRC2:TIDIG_COMP_CNT: 0
; COMPUTE_PGM_RSRC3_GFX90A:ACCUM_OFFSET: 0
; COMPUTE_PGM_RSRC3_GFX90A:TG_SPLIT: 0
	.section	.text._ZN7rocprim17ROCPRIM_400000_NS6detail17trampoline_kernelINS0_14default_configENS1_25transform_config_selectorIhLb0EEEZNS1_14transform_implILb0ES3_S5_NS0_18transform_iteratorINS0_17counting_iteratorImlEEZNS1_24adjacent_difference_implIS3_Lb1ELb0EPhSB_N6thrust23THRUST_200600_302600_NS5minusIhEEEE10hipError_tPvRmT2_T3_mT4_P12ihipStream_tbEUlmE_hEESB_NS0_8identityIvEEEESG_SJ_SK_mSL_SN_bEUlT_E_NS1_11comp_targetILNS1_3genE9ELNS1_11target_archE1100ELNS1_3gpuE3ELNS1_3repE0EEENS1_30default_config_static_selectorELNS0_4arch9wavefront6targetE1EEEvT1_,"axG",@progbits,_ZN7rocprim17ROCPRIM_400000_NS6detail17trampoline_kernelINS0_14default_configENS1_25transform_config_selectorIhLb0EEEZNS1_14transform_implILb0ES3_S5_NS0_18transform_iteratorINS0_17counting_iteratorImlEEZNS1_24adjacent_difference_implIS3_Lb1ELb0EPhSB_N6thrust23THRUST_200600_302600_NS5minusIhEEEE10hipError_tPvRmT2_T3_mT4_P12ihipStream_tbEUlmE_hEESB_NS0_8identityIvEEEESG_SJ_SK_mSL_SN_bEUlT_E_NS1_11comp_targetILNS1_3genE9ELNS1_11target_archE1100ELNS1_3gpuE3ELNS1_3repE0EEENS1_30default_config_static_selectorELNS0_4arch9wavefront6targetE1EEEvT1_,comdat
	.protected	_ZN7rocprim17ROCPRIM_400000_NS6detail17trampoline_kernelINS0_14default_configENS1_25transform_config_selectorIhLb0EEEZNS1_14transform_implILb0ES3_S5_NS0_18transform_iteratorINS0_17counting_iteratorImlEEZNS1_24adjacent_difference_implIS3_Lb1ELb0EPhSB_N6thrust23THRUST_200600_302600_NS5minusIhEEEE10hipError_tPvRmT2_T3_mT4_P12ihipStream_tbEUlmE_hEESB_NS0_8identityIvEEEESG_SJ_SK_mSL_SN_bEUlT_E_NS1_11comp_targetILNS1_3genE9ELNS1_11target_archE1100ELNS1_3gpuE3ELNS1_3repE0EEENS1_30default_config_static_selectorELNS0_4arch9wavefront6targetE1EEEvT1_ ; -- Begin function _ZN7rocprim17ROCPRIM_400000_NS6detail17trampoline_kernelINS0_14default_configENS1_25transform_config_selectorIhLb0EEEZNS1_14transform_implILb0ES3_S5_NS0_18transform_iteratorINS0_17counting_iteratorImlEEZNS1_24adjacent_difference_implIS3_Lb1ELb0EPhSB_N6thrust23THRUST_200600_302600_NS5minusIhEEEE10hipError_tPvRmT2_T3_mT4_P12ihipStream_tbEUlmE_hEESB_NS0_8identityIvEEEESG_SJ_SK_mSL_SN_bEUlT_E_NS1_11comp_targetILNS1_3genE9ELNS1_11target_archE1100ELNS1_3gpuE3ELNS1_3repE0EEENS1_30default_config_static_selectorELNS0_4arch9wavefront6targetE1EEEvT1_
	.globl	_ZN7rocprim17ROCPRIM_400000_NS6detail17trampoline_kernelINS0_14default_configENS1_25transform_config_selectorIhLb0EEEZNS1_14transform_implILb0ES3_S5_NS0_18transform_iteratorINS0_17counting_iteratorImlEEZNS1_24adjacent_difference_implIS3_Lb1ELb0EPhSB_N6thrust23THRUST_200600_302600_NS5minusIhEEEE10hipError_tPvRmT2_T3_mT4_P12ihipStream_tbEUlmE_hEESB_NS0_8identityIvEEEESG_SJ_SK_mSL_SN_bEUlT_E_NS1_11comp_targetILNS1_3genE9ELNS1_11target_archE1100ELNS1_3gpuE3ELNS1_3repE0EEENS1_30default_config_static_selectorELNS0_4arch9wavefront6targetE1EEEvT1_
	.p2align	8
	.type	_ZN7rocprim17ROCPRIM_400000_NS6detail17trampoline_kernelINS0_14default_configENS1_25transform_config_selectorIhLb0EEEZNS1_14transform_implILb0ES3_S5_NS0_18transform_iteratorINS0_17counting_iteratorImlEEZNS1_24adjacent_difference_implIS3_Lb1ELb0EPhSB_N6thrust23THRUST_200600_302600_NS5minusIhEEEE10hipError_tPvRmT2_T3_mT4_P12ihipStream_tbEUlmE_hEESB_NS0_8identityIvEEEESG_SJ_SK_mSL_SN_bEUlT_E_NS1_11comp_targetILNS1_3genE9ELNS1_11target_archE1100ELNS1_3gpuE3ELNS1_3repE0EEENS1_30default_config_static_selectorELNS0_4arch9wavefront6targetE1EEEvT1_,@function
_ZN7rocprim17ROCPRIM_400000_NS6detail17trampoline_kernelINS0_14default_configENS1_25transform_config_selectorIhLb0EEEZNS1_14transform_implILb0ES3_S5_NS0_18transform_iteratorINS0_17counting_iteratorImlEEZNS1_24adjacent_difference_implIS3_Lb1ELb0EPhSB_N6thrust23THRUST_200600_302600_NS5minusIhEEEE10hipError_tPvRmT2_T3_mT4_P12ihipStream_tbEUlmE_hEESB_NS0_8identityIvEEEESG_SJ_SK_mSL_SN_bEUlT_E_NS1_11comp_targetILNS1_3genE9ELNS1_11target_archE1100ELNS1_3gpuE3ELNS1_3repE0EEENS1_30default_config_static_selectorELNS0_4arch9wavefront6targetE1EEEvT1_: ; @_ZN7rocprim17ROCPRIM_400000_NS6detail17trampoline_kernelINS0_14default_configENS1_25transform_config_selectorIhLb0EEEZNS1_14transform_implILb0ES3_S5_NS0_18transform_iteratorINS0_17counting_iteratorImlEEZNS1_24adjacent_difference_implIS3_Lb1ELb0EPhSB_N6thrust23THRUST_200600_302600_NS5minusIhEEEE10hipError_tPvRmT2_T3_mT4_P12ihipStream_tbEUlmE_hEESB_NS0_8identityIvEEEESG_SJ_SK_mSL_SN_bEUlT_E_NS1_11comp_targetILNS1_3genE9ELNS1_11target_archE1100ELNS1_3gpuE3ELNS1_3repE0EEENS1_30default_config_static_selectorELNS0_4arch9wavefront6targetE1EEEvT1_
; %bb.0:
	.section	.rodata,"a",@progbits
	.p2align	6, 0x0
	.amdhsa_kernel _ZN7rocprim17ROCPRIM_400000_NS6detail17trampoline_kernelINS0_14default_configENS1_25transform_config_selectorIhLb0EEEZNS1_14transform_implILb0ES3_S5_NS0_18transform_iteratorINS0_17counting_iteratorImlEEZNS1_24adjacent_difference_implIS3_Lb1ELb0EPhSB_N6thrust23THRUST_200600_302600_NS5minusIhEEEE10hipError_tPvRmT2_T3_mT4_P12ihipStream_tbEUlmE_hEESB_NS0_8identityIvEEEESG_SJ_SK_mSL_SN_bEUlT_E_NS1_11comp_targetILNS1_3genE9ELNS1_11target_archE1100ELNS1_3gpuE3ELNS1_3repE0EEENS1_30default_config_static_selectorELNS0_4arch9wavefront6targetE1EEEvT1_
		.amdhsa_group_segment_fixed_size 0
		.amdhsa_private_segment_fixed_size 0
		.amdhsa_kernarg_size 56
		.amdhsa_user_sgpr_count 2
		.amdhsa_user_sgpr_dispatch_ptr 0
		.amdhsa_user_sgpr_queue_ptr 0
		.amdhsa_user_sgpr_kernarg_segment_ptr 1
		.amdhsa_user_sgpr_dispatch_id 0
		.amdhsa_user_sgpr_kernarg_preload_length 0
		.amdhsa_user_sgpr_kernarg_preload_offset 0
		.amdhsa_user_sgpr_private_segment_size 0
		.amdhsa_uses_dynamic_stack 0
		.amdhsa_enable_private_segment 0
		.amdhsa_system_sgpr_workgroup_id_x 1
		.amdhsa_system_sgpr_workgroup_id_y 0
		.amdhsa_system_sgpr_workgroup_id_z 0
		.amdhsa_system_sgpr_workgroup_info 0
		.amdhsa_system_vgpr_workitem_id 0
		.amdhsa_next_free_vgpr 1
		.amdhsa_next_free_sgpr 0
		.amdhsa_accum_offset 4
		.amdhsa_reserve_vcc 0
		.amdhsa_float_round_mode_32 0
		.amdhsa_float_round_mode_16_64 0
		.amdhsa_float_denorm_mode_32 3
		.amdhsa_float_denorm_mode_16_64 3
		.amdhsa_dx10_clamp 1
		.amdhsa_ieee_mode 1
		.amdhsa_fp16_overflow 0
		.amdhsa_tg_split 0
		.amdhsa_exception_fp_ieee_invalid_op 0
		.amdhsa_exception_fp_denorm_src 0
		.amdhsa_exception_fp_ieee_div_zero 0
		.amdhsa_exception_fp_ieee_overflow 0
		.amdhsa_exception_fp_ieee_underflow 0
		.amdhsa_exception_fp_ieee_inexact 0
		.amdhsa_exception_int_div_zero 0
	.end_amdhsa_kernel
	.section	.text._ZN7rocprim17ROCPRIM_400000_NS6detail17trampoline_kernelINS0_14default_configENS1_25transform_config_selectorIhLb0EEEZNS1_14transform_implILb0ES3_S5_NS0_18transform_iteratorINS0_17counting_iteratorImlEEZNS1_24adjacent_difference_implIS3_Lb1ELb0EPhSB_N6thrust23THRUST_200600_302600_NS5minusIhEEEE10hipError_tPvRmT2_T3_mT4_P12ihipStream_tbEUlmE_hEESB_NS0_8identityIvEEEESG_SJ_SK_mSL_SN_bEUlT_E_NS1_11comp_targetILNS1_3genE9ELNS1_11target_archE1100ELNS1_3gpuE3ELNS1_3repE0EEENS1_30default_config_static_selectorELNS0_4arch9wavefront6targetE1EEEvT1_,"axG",@progbits,_ZN7rocprim17ROCPRIM_400000_NS6detail17trampoline_kernelINS0_14default_configENS1_25transform_config_selectorIhLb0EEEZNS1_14transform_implILb0ES3_S5_NS0_18transform_iteratorINS0_17counting_iteratorImlEEZNS1_24adjacent_difference_implIS3_Lb1ELb0EPhSB_N6thrust23THRUST_200600_302600_NS5minusIhEEEE10hipError_tPvRmT2_T3_mT4_P12ihipStream_tbEUlmE_hEESB_NS0_8identityIvEEEESG_SJ_SK_mSL_SN_bEUlT_E_NS1_11comp_targetILNS1_3genE9ELNS1_11target_archE1100ELNS1_3gpuE3ELNS1_3repE0EEENS1_30default_config_static_selectorELNS0_4arch9wavefront6targetE1EEEvT1_,comdat
.Lfunc_end278:
	.size	_ZN7rocprim17ROCPRIM_400000_NS6detail17trampoline_kernelINS0_14default_configENS1_25transform_config_selectorIhLb0EEEZNS1_14transform_implILb0ES3_S5_NS0_18transform_iteratorINS0_17counting_iteratorImlEEZNS1_24adjacent_difference_implIS3_Lb1ELb0EPhSB_N6thrust23THRUST_200600_302600_NS5minusIhEEEE10hipError_tPvRmT2_T3_mT4_P12ihipStream_tbEUlmE_hEESB_NS0_8identityIvEEEESG_SJ_SK_mSL_SN_bEUlT_E_NS1_11comp_targetILNS1_3genE9ELNS1_11target_archE1100ELNS1_3gpuE3ELNS1_3repE0EEENS1_30default_config_static_selectorELNS0_4arch9wavefront6targetE1EEEvT1_, .Lfunc_end278-_ZN7rocprim17ROCPRIM_400000_NS6detail17trampoline_kernelINS0_14default_configENS1_25transform_config_selectorIhLb0EEEZNS1_14transform_implILb0ES3_S5_NS0_18transform_iteratorINS0_17counting_iteratorImlEEZNS1_24adjacent_difference_implIS3_Lb1ELb0EPhSB_N6thrust23THRUST_200600_302600_NS5minusIhEEEE10hipError_tPvRmT2_T3_mT4_P12ihipStream_tbEUlmE_hEESB_NS0_8identityIvEEEESG_SJ_SK_mSL_SN_bEUlT_E_NS1_11comp_targetILNS1_3genE9ELNS1_11target_archE1100ELNS1_3gpuE3ELNS1_3repE0EEENS1_30default_config_static_selectorELNS0_4arch9wavefront6targetE1EEEvT1_
                                        ; -- End function
	.section	.AMDGPU.csdata,"",@progbits
; Kernel info:
; codeLenInByte = 0
; NumSgprs: 6
; NumVgprs: 0
; NumAgprs: 0
; TotalNumVgprs: 0
; ScratchSize: 0
; MemoryBound: 0
; FloatMode: 240
; IeeeMode: 1
; LDSByteSize: 0 bytes/workgroup (compile time only)
; SGPRBlocks: 0
; VGPRBlocks: 0
; NumSGPRsForWavesPerEU: 6
; NumVGPRsForWavesPerEU: 1
; AccumOffset: 4
; Occupancy: 8
; WaveLimiterHint : 0
; COMPUTE_PGM_RSRC2:SCRATCH_EN: 0
; COMPUTE_PGM_RSRC2:USER_SGPR: 2
; COMPUTE_PGM_RSRC2:TRAP_HANDLER: 0
; COMPUTE_PGM_RSRC2:TGID_X_EN: 1
; COMPUTE_PGM_RSRC2:TGID_Y_EN: 0
; COMPUTE_PGM_RSRC2:TGID_Z_EN: 0
; COMPUTE_PGM_RSRC2:TIDIG_COMP_CNT: 0
; COMPUTE_PGM_RSRC3_GFX90A:ACCUM_OFFSET: 0
; COMPUTE_PGM_RSRC3_GFX90A:TG_SPLIT: 0
	.section	.text._ZN7rocprim17ROCPRIM_400000_NS6detail17trampoline_kernelINS0_14default_configENS1_25transform_config_selectorIhLb0EEEZNS1_14transform_implILb0ES3_S5_NS0_18transform_iteratorINS0_17counting_iteratorImlEEZNS1_24adjacent_difference_implIS3_Lb1ELb0EPhSB_N6thrust23THRUST_200600_302600_NS5minusIhEEEE10hipError_tPvRmT2_T3_mT4_P12ihipStream_tbEUlmE_hEESB_NS0_8identityIvEEEESG_SJ_SK_mSL_SN_bEUlT_E_NS1_11comp_targetILNS1_3genE8ELNS1_11target_archE1030ELNS1_3gpuE2ELNS1_3repE0EEENS1_30default_config_static_selectorELNS0_4arch9wavefront6targetE1EEEvT1_,"axG",@progbits,_ZN7rocprim17ROCPRIM_400000_NS6detail17trampoline_kernelINS0_14default_configENS1_25transform_config_selectorIhLb0EEEZNS1_14transform_implILb0ES3_S5_NS0_18transform_iteratorINS0_17counting_iteratorImlEEZNS1_24adjacent_difference_implIS3_Lb1ELb0EPhSB_N6thrust23THRUST_200600_302600_NS5minusIhEEEE10hipError_tPvRmT2_T3_mT4_P12ihipStream_tbEUlmE_hEESB_NS0_8identityIvEEEESG_SJ_SK_mSL_SN_bEUlT_E_NS1_11comp_targetILNS1_3genE8ELNS1_11target_archE1030ELNS1_3gpuE2ELNS1_3repE0EEENS1_30default_config_static_selectorELNS0_4arch9wavefront6targetE1EEEvT1_,comdat
	.protected	_ZN7rocprim17ROCPRIM_400000_NS6detail17trampoline_kernelINS0_14default_configENS1_25transform_config_selectorIhLb0EEEZNS1_14transform_implILb0ES3_S5_NS0_18transform_iteratorINS0_17counting_iteratorImlEEZNS1_24adjacent_difference_implIS3_Lb1ELb0EPhSB_N6thrust23THRUST_200600_302600_NS5minusIhEEEE10hipError_tPvRmT2_T3_mT4_P12ihipStream_tbEUlmE_hEESB_NS0_8identityIvEEEESG_SJ_SK_mSL_SN_bEUlT_E_NS1_11comp_targetILNS1_3genE8ELNS1_11target_archE1030ELNS1_3gpuE2ELNS1_3repE0EEENS1_30default_config_static_selectorELNS0_4arch9wavefront6targetE1EEEvT1_ ; -- Begin function _ZN7rocprim17ROCPRIM_400000_NS6detail17trampoline_kernelINS0_14default_configENS1_25transform_config_selectorIhLb0EEEZNS1_14transform_implILb0ES3_S5_NS0_18transform_iteratorINS0_17counting_iteratorImlEEZNS1_24adjacent_difference_implIS3_Lb1ELb0EPhSB_N6thrust23THRUST_200600_302600_NS5minusIhEEEE10hipError_tPvRmT2_T3_mT4_P12ihipStream_tbEUlmE_hEESB_NS0_8identityIvEEEESG_SJ_SK_mSL_SN_bEUlT_E_NS1_11comp_targetILNS1_3genE8ELNS1_11target_archE1030ELNS1_3gpuE2ELNS1_3repE0EEENS1_30default_config_static_selectorELNS0_4arch9wavefront6targetE1EEEvT1_
	.globl	_ZN7rocprim17ROCPRIM_400000_NS6detail17trampoline_kernelINS0_14default_configENS1_25transform_config_selectorIhLb0EEEZNS1_14transform_implILb0ES3_S5_NS0_18transform_iteratorINS0_17counting_iteratorImlEEZNS1_24adjacent_difference_implIS3_Lb1ELb0EPhSB_N6thrust23THRUST_200600_302600_NS5minusIhEEEE10hipError_tPvRmT2_T3_mT4_P12ihipStream_tbEUlmE_hEESB_NS0_8identityIvEEEESG_SJ_SK_mSL_SN_bEUlT_E_NS1_11comp_targetILNS1_3genE8ELNS1_11target_archE1030ELNS1_3gpuE2ELNS1_3repE0EEENS1_30default_config_static_selectorELNS0_4arch9wavefront6targetE1EEEvT1_
	.p2align	8
	.type	_ZN7rocprim17ROCPRIM_400000_NS6detail17trampoline_kernelINS0_14default_configENS1_25transform_config_selectorIhLb0EEEZNS1_14transform_implILb0ES3_S5_NS0_18transform_iteratorINS0_17counting_iteratorImlEEZNS1_24adjacent_difference_implIS3_Lb1ELb0EPhSB_N6thrust23THRUST_200600_302600_NS5minusIhEEEE10hipError_tPvRmT2_T3_mT4_P12ihipStream_tbEUlmE_hEESB_NS0_8identityIvEEEESG_SJ_SK_mSL_SN_bEUlT_E_NS1_11comp_targetILNS1_3genE8ELNS1_11target_archE1030ELNS1_3gpuE2ELNS1_3repE0EEENS1_30default_config_static_selectorELNS0_4arch9wavefront6targetE1EEEvT1_,@function
_ZN7rocprim17ROCPRIM_400000_NS6detail17trampoline_kernelINS0_14default_configENS1_25transform_config_selectorIhLb0EEEZNS1_14transform_implILb0ES3_S5_NS0_18transform_iteratorINS0_17counting_iteratorImlEEZNS1_24adjacent_difference_implIS3_Lb1ELb0EPhSB_N6thrust23THRUST_200600_302600_NS5minusIhEEEE10hipError_tPvRmT2_T3_mT4_P12ihipStream_tbEUlmE_hEESB_NS0_8identityIvEEEESG_SJ_SK_mSL_SN_bEUlT_E_NS1_11comp_targetILNS1_3genE8ELNS1_11target_archE1030ELNS1_3gpuE2ELNS1_3repE0EEENS1_30default_config_static_selectorELNS0_4arch9wavefront6targetE1EEEvT1_: ; @_ZN7rocprim17ROCPRIM_400000_NS6detail17trampoline_kernelINS0_14default_configENS1_25transform_config_selectorIhLb0EEEZNS1_14transform_implILb0ES3_S5_NS0_18transform_iteratorINS0_17counting_iteratorImlEEZNS1_24adjacent_difference_implIS3_Lb1ELb0EPhSB_N6thrust23THRUST_200600_302600_NS5minusIhEEEE10hipError_tPvRmT2_T3_mT4_P12ihipStream_tbEUlmE_hEESB_NS0_8identityIvEEEESG_SJ_SK_mSL_SN_bEUlT_E_NS1_11comp_targetILNS1_3genE8ELNS1_11target_archE1030ELNS1_3gpuE2ELNS1_3repE0EEENS1_30default_config_static_selectorELNS0_4arch9wavefront6targetE1EEEvT1_
; %bb.0:
	.section	.rodata,"a",@progbits
	.p2align	6, 0x0
	.amdhsa_kernel _ZN7rocprim17ROCPRIM_400000_NS6detail17trampoline_kernelINS0_14default_configENS1_25transform_config_selectorIhLb0EEEZNS1_14transform_implILb0ES3_S5_NS0_18transform_iteratorINS0_17counting_iteratorImlEEZNS1_24adjacent_difference_implIS3_Lb1ELb0EPhSB_N6thrust23THRUST_200600_302600_NS5minusIhEEEE10hipError_tPvRmT2_T3_mT4_P12ihipStream_tbEUlmE_hEESB_NS0_8identityIvEEEESG_SJ_SK_mSL_SN_bEUlT_E_NS1_11comp_targetILNS1_3genE8ELNS1_11target_archE1030ELNS1_3gpuE2ELNS1_3repE0EEENS1_30default_config_static_selectorELNS0_4arch9wavefront6targetE1EEEvT1_
		.amdhsa_group_segment_fixed_size 0
		.amdhsa_private_segment_fixed_size 0
		.amdhsa_kernarg_size 56
		.amdhsa_user_sgpr_count 2
		.amdhsa_user_sgpr_dispatch_ptr 0
		.amdhsa_user_sgpr_queue_ptr 0
		.amdhsa_user_sgpr_kernarg_segment_ptr 1
		.amdhsa_user_sgpr_dispatch_id 0
		.amdhsa_user_sgpr_kernarg_preload_length 0
		.amdhsa_user_sgpr_kernarg_preload_offset 0
		.amdhsa_user_sgpr_private_segment_size 0
		.amdhsa_uses_dynamic_stack 0
		.amdhsa_enable_private_segment 0
		.amdhsa_system_sgpr_workgroup_id_x 1
		.amdhsa_system_sgpr_workgroup_id_y 0
		.amdhsa_system_sgpr_workgroup_id_z 0
		.amdhsa_system_sgpr_workgroup_info 0
		.amdhsa_system_vgpr_workitem_id 0
		.amdhsa_next_free_vgpr 1
		.amdhsa_next_free_sgpr 0
		.amdhsa_accum_offset 4
		.amdhsa_reserve_vcc 0
		.amdhsa_float_round_mode_32 0
		.amdhsa_float_round_mode_16_64 0
		.amdhsa_float_denorm_mode_32 3
		.amdhsa_float_denorm_mode_16_64 3
		.amdhsa_dx10_clamp 1
		.amdhsa_ieee_mode 1
		.amdhsa_fp16_overflow 0
		.amdhsa_tg_split 0
		.amdhsa_exception_fp_ieee_invalid_op 0
		.amdhsa_exception_fp_denorm_src 0
		.amdhsa_exception_fp_ieee_div_zero 0
		.amdhsa_exception_fp_ieee_overflow 0
		.amdhsa_exception_fp_ieee_underflow 0
		.amdhsa_exception_fp_ieee_inexact 0
		.amdhsa_exception_int_div_zero 0
	.end_amdhsa_kernel
	.section	.text._ZN7rocprim17ROCPRIM_400000_NS6detail17trampoline_kernelINS0_14default_configENS1_25transform_config_selectorIhLb0EEEZNS1_14transform_implILb0ES3_S5_NS0_18transform_iteratorINS0_17counting_iteratorImlEEZNS1_24adjacent_difference_implIS3_Lb1ELb0EPhSB_N6thrust23THRUST_200600_302600_NS5minusIhEEEE10hipError_tPvRmT2_T3_mT4_P12ihipStream_tbEUlmE_hEESB_NS0_8identityIvEEEESG_SJ_SK_mSL_SN_bEUlT_E_NS1_11comp_targetILNS1_3genE8ELNS1_11target_archE1030ELNS1_3gpuE2ELNS1_3repE0EEENS1_30default_config_static_selectorELNS0_4arch9wavefront6targetE1EEEvT1_,"axG",@progbits,_ZN7rocprim17ROCPRIM_400000_NS6detail17trampoline_kernelINS0_14default_configENS1_25transform_config_selectorIhLb0EEEZNS1_14transform_implILb0ES3_S5_NS0_18transform_iteratorINS0_17counting_iteratorImlEEZNS1_24adjacent_difference_implIS3_Lb1ELb0EPhSB_N6thrust23THRUST_200600_302600_NS5minusIhEEEE10hipError_tPvRmT2_T3_mT4_P12ihipStream_tbEUlmE_hEESB_NS0_8identityIvEEEESG_SJ_SK_mSL_SN_bEUlT_E_NS1_11comp_targetILNS1_3genE8ELNS1_11target_archE1030ELNS1_3gpuE2ELNS1_3repE0EEENS1_30default_config_static_selectorELNS0_4arch9wavefront6targetE1EEEvT1_,comdat
.Lfunc_end279:
	.size	_ZN7rocprim17ROCPRIM_400000_NS6detail17trampoline_kernelINS0_14default_configENS1_25transform_config_selectorIhLb0EEEZNS1_14transform_implILb0ES3_S5_NS0_18transform_iteratorINS0_17counting_iteratorImlEEZNS1_24adjacent_difference_implIS3_Lb1ELb0EPhSB_N6thrust23THRUST_200600_302600_NS5minusIhEEEE10hipError_tPvRmT2_T3_mT4_P12ihipStream_tbEUlmE_hEESB_NS0_8identityIvEEEESG_SJ_SK_mSL_SN_bEUlT_E_NS1_11comp_targetILNS1_3genE8ELNS1_11target_archE1030ELNS1_3gpuE2ELNS1_3repE0EEENS1_30default_config_static_selectorELNS0_4arch9wavefront6targetE1EEEvT1_, .Lfunc_end279-_ZN7rocprim17ROCPRIM_400000_NS6detail17trampoline_kernelINS0_14default_configENS1_25transform_config_selectorIhLb0EEEZNS1_14transform_implILb0ES3_S5_NS0_18transform_iteratorINS0_17counting_iteratorImlEEZNS1_24adjacent_difference_implIS3_Lb1ELb0EPhSB_N6thrust23THRUST_200600_302600_NS5minusIhEEEE10hipError_tPvRmT2_T3_mT4_P12ihipStream_tbEUlmE_hEESB_NS0_8identityIvEEEESG_SJ_SK_mSL_SN_bEUlT_E_NS1_11comp_targetILNS1_3genE8ELNS1_11target_archE1030ELNS1_3gpuE2ELNS1_3repE0EEENS1_30default_config_static_selectorELNS0_4arch9wavefront6targetE1EEEvT1_
                                        ; -- End function
	.section	.AMDGPU.csdata,"",@progbits
; Kernel info:
; codeLenInByte = 0
; NumSgprs: 6
; NumVgprs: 0
; NumAgprs: 0
; TotalNumVgprs: 0
; ScratchSize: 0
; MemoryBound: 0
; FloatMode: 240
; IeeeMode: 1
; LDSByteSize: 0 bytes/workgroup (compile time only)
; SGPRBlocks: 0
; VGPRBlocks: 0
; NumSGPRsForWavesPerEU: 6
; NumVGPRsForWavesPerEU: 1
; AccumOffset: 4
; Occupancy: 8
; WaveLimiterHint : 0
; COMPUTE_PGM_RSRC2:SCRATCH_EN: 0
; COMPUTE_PGM_RSRC2:USER_SGPR: 2
; COMPUTE_PGM_RSRC2:TRAP_HANDLER: 0
; COMPUTE_PGM_RSRC2:TGID_X_EN: 1
; COMPUTE_PGM_RSRC2:TGID_Y_EN: 0
; COMPUTE_PGM_RSRC2:TGID_Z_EN: 0
; COMPUTE_PGM_RSRC2:TIDIG_COMP_CNT: 0
; COMPUTE_PGM_RSRC3_GFX90A:ACCUM_OFFSET: 0
; COMPUTE_PGM_RSRC3_GFX90A:TG_SPLIT: 0
	.section	.text._ZN7rocprim17ROCPRIM_400000_NS6detail17trampoline_kernelINS0_14default_configENS1_35adjacent_difference_config_selectorILb1EhEEZNS1_24adjacent_difference_implIS3_Lb1ELb0EPhS7_N6thrust23THRUST_200600_302600_NS5minusIhEEEE10hipError_tPvRmT2_T3_mT4_P12ihipStream_tbEUlT_E_NS1_11comp_targetILNS1_3genE0ELNS1_11target_archE4294967295ELNS1_3gpuE0ELNS1_3repE0EEENS1_30default_config_static_selectorELNS0_4arch9wavefront6targetE1EEEvT1_,"axG",@progbits,_ZN7rocprim17ROCPRIM_400000_NS6detail17trampoline_kernelINS0_14default_configENS1_35adjacent_difference_config_selectorILb1EhEEZNS1_24adjacent_difference_implIS3_Lb1ELb0EPhS7_N6thrust23THRUST_200600_302600_NS5minusIhEEEE10hipError_tPvRmT2_T3_mT4_P12ihipStream_tbEUlT_E_NS1_11comp_targetILNS1_3genE0ELNS1_11target_archE4294967295ELNS1_3gpuE0ELNS1_3repE0EEENS1_30default_config_static_selectorELNS0_4arch9wavefront6targetE1EEEvT1_,comdat
	.protected	_ZN7rocprim17ROCPRIM_400000_NS6detail17trampoline_kernelINS0_14default_configENS1_35adjacent_difference_config_selectorILb1EhEEZNS1_24adjacent_difference_implIS3_Lb1ELb0EPhS7_N6thrust23THRUST_200600_302600_NS5minusIhEEEE10hipError_tPvRmT2_T3_mT4_P12ihipStream_tbEUlT_E_NS1_11comp_targetILNS1_3genE0ELNS1_11target_archE4294967295ELNS1_3gpuE0ELNS1_3repE0EEENS1_30default_config_static_selectorELNS0_4arch9wavefront6targetE1EEEvT1_ ; -- Begin function _ZN7rocprim17ROCPRIM_400000_NS6detail17trampoline_kernelINS0_14default_configENS1_35adjacent_difference_config_selectorILb1EhEEZNS1_24adjacent_difference_implIS3_Lb1ELb0EPhS7_N6thrust23THRUST_200600_302600_NS5minusIhEEEE10hipError_tPvRmT2_T3_mT4_P12ihipStream_tbEUlT_E_NS1_11comp_targetILNS1_3genE0ELNS1_11target_archE4294967295ELNS1_3gpuE0ELNS1_3repE0EEENS1_30default_config_static_selectorELNS0_4arch9wavefront6targetE1EEEvT1_
	.globl	_ZN7rocprim17ROCPRIM_400000_NS6detail17trampoline_kernelINS0_14default_configENS1_35adjacent_difference_config_selectorILb1EhEEZNS1_24adjacent_difference_implIS3_Lb1ELb0EPhS7_N6thrust23THRUST_200600_302600_NS5minusIhEEEE10hipError_tPvRmT2_T3_mT4_P12ihipStream_tbEUlT_E_NS1_11comp_targetILNS1_3genE0ELNS1_11target_archE4294967295ELNS1_3gpuE0ELNS1_3repE0EEENS1_30default_config_static_selectorELNS0_4arch9wavefront6targetE1EEEvT1_
	.p2align	8
	.type	_ZN7rocprim17ROCPRIM_400000_NS6detail17trampoline_kernelINS0_14default_configENS1_35adjacent_difference_config_selectorILb1EhEEZNS1_24adjacent_difference_implIS3_Lb1ELb0EPhS7_N6thrust23THRUST_200600_302600_NS5minusIhEEEE10hipError_tPvRmT2_T3_mT4_P12ihipStream_tbEUlT_E_NS1_11comp_targetILNS1_3genE0ELNS1_11target_archE4294967295ELNS1_3gpuE0ELNS1_3repE0EEENS1_30default_config_static_selectorELNS0_4arch9wavefront6targetE1EEEvT1_,@function
_ZN7rocprim17ROCPRIM_400000_NS6detail17trampoline_kernelINS0_14default_configENS1_35adjacent_difference_config_selectorILb1EhEEZNS1_24adjacent_difference_implIS3_Lb1ELb0EPhS7_N6thrust23THRUST_200600_302600_NS5minusIhEEEE10hipError_tPvRmT2_T3_mT4_P12ihipStream_tbEUlT_E_NS1_11comp_targetILNS1_3genE0ELNS1_11target_archE4294967295ELNS1_3gpuE0ELNS1_3repE0EEENS1_30default_config_static_selectorELNS0_4arch9wavefront6targetE1EEEvT1_: ; @_ZN7rocprim17ROCPRIM_400000_NS6detail17trampoline_kernelINS0_14default_configENS1_35adjacent_difference_config_selectorILb1EhEEZNS1_24adjacent_difference_implIS3_Lb1ELb0EPhS7_N6thrust23THRUST_200600_302600_NS5minusIhEEEE10hipError_tPvRmT2_T3_mT4_P12ihipStream_tbEUlT_E_NS1_11comp_targetILNS1_3genE0ELNS1_11target_archE4294967295ELNS1_3gpuE0ELNS1_3repE0EEENS1_30default_config_static_selectorELNS0_4arch9wavefront6targetE1EEEvT1_
; %bb.0:
	.section	.rodata,"a",@progbits
	.p2align	6, 0x0
	.amdhsa_kernel _ZN7rocprim17ROCPRIM_400000_NS6detail17trampoline_kernelINS0_14default_configENS1_35adjacent_difference_config_selectorILb1EhEEZNS1_24adjacent_difference_implIS3_Lb1ELb0EPhS7_N6thrust23THRUST_200600_302600_NS5minusIhEEEE10hipError_tPvRmT2_T3_mT4_P12ihipStream_tbEUlT_E_NS1_11comp_targetILNS1_3genE0ELNS1_11target_archE4294967295ELNS1_3gpuE0ELNS1_3repE0EEENS1_30default_config_static_selectorELNS0_4arch9wavefront6targetE1EEEvT1_
		.amdhsa_group_segment_fixed_size 0
		.amdhsa_private_segment_fixed_size 0
		.amdhsa_kernarg_size 56
		.amdhsa_user_sgpr_count 2
		.amdhsa_user_sgpr_dispatch_ptr 0
		.amdhsa_user_sgpr_queue_ptr 0
		.amdhsa_user_sgpr_kernarg_segment_ptr 1
		.amdhsa_user_sgpr_dispatch_id 0
		.amdhsa_user_sgpr_kernarg_preload_length 0
		.amdhsa_user_sgpr_kernarg_preload_offset 0
		.amdhsa_user_sgpr_private_segment_size 0
		.amdhsa_uses_dynamic_stack 0
		.amdhsa_enable_private_segment 0
		.amdhsa_system_sgpr_workgroup_id_x 1
		.amdhsa_system_sgpr_workgroup_id_y 0
		.amdhsa_system_sgpr_workgroup_id_z 0
		.amdhsa_system_sgpr_workgroup_info 0
		.amdhsa_system_vgpr_workitem_id 0
		.amdhsa_next_free_vgpr 1
		.amdhsa_next_free_sgpr 0
		.amdhsa_accum_offset 4
		.amdhsa_reserve_vcc 0
		.amdhsa_float_round_mode_32 0
		.amdhsa_float_round_mode_16_64 0
		.amdhsa_float_denorm_mode_32 3
		.amdhsa_float_denorm_mode_16_64 3
		.amdhsa_dx10_clamp 1
		.amdhsa_ieee_mode 1
		.amdhsa_fp16_overflow 0
		.amdhsa_tg_split 0
		.amdhsa_exception_fp_ieee_invalid_op 0
		.amdhsa_exception_fp_denorm_src 0
		.amdhsa_exception_fp_ieee_div_zero 0
		.amdhsa_exception_fp_ieee_overflow 0
		.amdhsa_exception_fp_ieee_underflow 0
		.amdhsa_exception_fp_ieee_inexact 0
		.amdhsa_exception_int_div_zero 0
	.end_amdhsa_kernel
	.section	.text._ZN7rocprim17ROCPRIM_400000_NS6detail17trampoline_kernelINS0_14default_configENS1_35adjacent_difference_config_selectorILb1EhEEZNS1_24adjacent_difference_implIS3_Lb1ELb0EPhS7_N6thrust23THRUST_200600_302600_NS5minusIhEEEE10hipError_tPvRmT2_T3_mT4_P12ihipStream_tbEUlT_E_NS1_11comp_targetILNS1_3genE0ELNS1_11target_archE4294967295ELNS1_3gpuE0ELNS1_3repE0EEENS1_30default_config_static_selectorELNS0_4arch9wavefront6targetE1EEEvT1_,"axG",@progbits,_ZN7rocprim17ROCPRIM_400000_NS6detail17trampoline_kernelINS0_14default_configENS1_35adjacent_difference_config_selectorILb1EhEEZNS1_24adjacent_difference_implIS3_Lb1ELb0EPhS7_N6thrust23THRUST_200600_302600_NS5minusIhEEEE10hipError_tPvRmT2_T3_mT4_P12ihipStream_tbEUlT_E_NS1_11comp_targetILNS1_3genE0ELNS1_11target_archE4294967295ELNS1_3gpuE0ELNS1_3repE0EEENS1_30default_config_static_selectorELNS0_4arch9wavefront6targetE1EEEvT1_,comdat
.Lfunc_end280:
	.size	_ZN7rocprim17ROCPRIM_400000_NS6detail17trampoline_kernelINS0_14default_configENS1_35adjacent_difference_config_selectorILb1EhEEZNS1_24adjacent_difference_implIS3_Lb1ELb0EPhS7_N6thrust23THRUST_200600_302600_NS5minusIhEEEE10hipError_tPvRmT2_T3_mT4_P12ihipStream_tbEUlT_E_NS1_11comp_targetILNS1_3genE0ELNS1_11target_archE4294967295ELNS1_3gpuE0ELNS1_3repE0EEENS1_30default_config_static_selectorELNS0_4arch9wavefront6targetE1EEEvT1_, .Lfunc_end280-_ZN7rocprim17ROCPRIM_400000_NS6detail17trampoline_kernelINS0_14default_configENS1_35adjacent_difference_config_selectorILb1EhEEZNS1_24adjacent_difference_implIS3_Lb1ELb0EPhS7_N6thrust23THRUST_200600_302600_NS5minusIhEEEE10hipError_tPvRmT2_T3_mT4_P12ihipStream_tbEUlT_E_NS1_11comp_targetILNS1_3genE0ELNS1_11target_archE4294967295ELNS1_3gpuE0ELNS1_3repE0EEENS1_30default_config_static_selectorELNS0_4arch9wavefront6targetE1EEEvT1_
                                        ; -- End function
	.section	.AMDGPU.csdata,"",@progbits
; Kernel info:
; codeLenInByte = 0
; NumSgprs: 6
; NumVgprs: 0
; NumAgprs: 0
; TotalNumVgprs: 0
; ScratchSize: 0
; MemoryBound: 0
; FloatMode: 240
; IeeeMode: 1
; LDSByteSize: 0 bytes/workgroup (compile time only)
; SGPRBlocks: 0
; VGPRBlocks: 0
; NumSGPRsForWavesPerEU: 6
; NumVGPRsForWavesPerEU: 1
; AccumOffset: 4
; Occupancy: 8
; WaveLimiterHint : 0
; COMPUTE_PGM_RSRC2:SCRATCH_EN: 0
; COMPUTE_PGM_RSRC2:USER_SGPR: 2
; COMPUTE_PGM_RSRC2:TRAP_HANDLER: 0
; COMPUTE_PGM_RSRC2:TGID_X_EN: 1
; COMPUTE_PGM_RSRC2:TGID_Y_EN: 0
; COMPUTE_PGM_RSRC2:TGID_Z_EN: 0
; COMPUTE_PGM_RSRC2:TIDIG_COMP_CNT: 0
; COMPUTE_PGM_RSRC3_GFX90A:ACCUM_OFFSET: 0
; COMPUTE_PGM_RSRC3_GFX90A:TG_SPLIT: 0
	.section	.text._ZN7rocprim17ROCPRIM_400000_NS6detail17trampoline_kernelINS0_14default_configENS1_35adjacent_difference_config_selectorILb1EhEEZNS1_24adjacent_difference_implIS3_Lb1ELb0EPhS7_N6thrust23THRUST_200600_302600_NS5minusIhEEEE10hipError_tPvRmT2_T3_mT4_P12ihipStream_tbEUlT_E_NS1_11comp_targetILNS1_3genE10ELNS1_11target_archE1201ELNS1_3gpuE5ELNS1_3repE0EEENS1_30default_config_static_selectorELNS0_4arch9wavefront6targetE1EEEvT1_,"axG",@progbits,_ZN7rocprim17ROCPRIM_400000_NS6detail17trampoline_kernelINS0_14default_configENS1_35adjacent_difference_config_selectorILb1EhEEZNS1_24adjacent_difference_implIS3_Lb1ELb0EPhS7_N6thrust23THRUST_200600_302600_NS5minusIhEEEE10hipError_tPvRmT2_T3_mT4_P12ihipStream_tbEUlT_E_NS1_11comp_targetILNS1_3genE10ELNS1_11target_archE1201ELNS1_3gpuE5ELNS1_3repE0EEENS1_30default_config_static_selectorELNS0_4arch9wavefront6targetE1EEEvT1_,comdat
	.protected	_ZN7rocprim17ROCPRIM_400000_NS6detail17trampoline_kernelINS0_14default_configENS1_35adjacent_difference_config_selectorILb1EhEEZNS1_24adjacent_difference_implIS3_Lb1ELb0EPhS7_N6thrust23THRUST_200600_302600_NS5minusIhEEEE10hipError_tPvRmT2_T3_mT4_P12ihipStream_tbEUlT_E_NS1_11comp_targetILNS1_3genE10ELNS1_11target_archE1201ELNS1_3gpuE5ELNS1_3repE0EEENS1_30default_config_static_selectorELNS0_4arch9wavefront6targetE1EEEvT1_ ; -- Begin function _ZN7rocprim17ROCPRIM_400000_NS6detail17trampoline_kernelINS0_14default_configENS1_35adjacent_difference_config_selectorILb1EhEEZNS1_24adjacent_difference_implIS3_Lb1ELb0EPhS7_N6thrust23THRUST_200600_302600_NS5minusIhEEEE10hipError_tPvRmT2_T3_mT4_P12ihipStream_tbEUlT_E_NS1_11comp_targetILNS1_3genE10ELNS1_11target_archE1201ELNS1_3gpuE5ELNS1_3repE0EEENS1_30default_config_static_selectorELNS0_4arch9wavefront6targetE1EEEvT1_
	.globl	_ZN7rocprim17ROCPRIM_400000_NS6detail17trampoline_kernelINS0_14default_configENS1_35adjacent_difference_config_selectorILb1EhEEZNS1_24adjacent_difference_implIS3_Lb1ELb0EPhS7_N6thrust23THRUST_200600_302600_NS5minusIhEEEE10hipError_tPvRmT2_T3_mT4_P12ihipStream_tbEUlT_E_NS1_11comp_targetILNS1_3genE10ELNS1_11target_archE1201ELNS1_3gpuE5ELNS1_3repE0EEENS1_30default_config_static_selectorELNS0_4arch9wavefront6targetE1EEEvT1_
	.p2align	8
	.type	_ZN7rocprim17ROCPRIM_400000_NS6detail17trampoline_kernelINS0_14default_configENS1_35adjacent_difference_config_selectorILb1EhEEZNS1_24adjacent_difference_implIS3_Lb1ELb0EPhS7_N6thrust23THRUST_200600_302600_NS5minusIhEEEE10hipError_tPvRmT2_T3_mT4_P12ihipStream_tbEUlT_E_NS1_11comp_targetILNS1_3genE10ELNS1_11target_archE1201ELNS1_3gpuE5ELNS1_3repE0EEENS1_30default_config_static_selectorELNS0_4arch9wavefront6targetE1EEEvT1_,@function
_ZN7rocprim17ROCPRIM_400000_NS6detail17trampoline_kernelINS0_14default_configENS1_35adjacent_difference_config_selectorILb1EhEEZNS1_24adjacent_difference_implIS3_Lb1ELb0EPhS7_N6thrust23THRUST_200600_302600_NS5minusIhEEEE10hipError_tPvRmT2_T3_mT4_P12ihipStream_tbEUlT_E_NS1_11comp_targetILNS1_3genE10ELNS1_11target_archE1201ELNS1_3gpuE5ELNS1_3repE0EEENS1_30default_config_static_selectorELNS0_4arch9wavefront6targetE1EEEvT1_: ; @_ZN7rocprim17ROCPRIM_400000_NS6detail17trampoline_kernelINS0_14default_configENS1_35adjacent_difference_config_selectorILb1EhEEZNS1_24adjacent_difference_implIS3_Lb1ELb0EPhS7_N6thrust23THRUST_200600_302600_NS5minusIhEEEE10hipError_tPvRmT2_T3_mT4_P12ihipStream_tbEUlT_E_NS1_11comp_targetILNS1_3genE10ELNS1_11target_archE1201ELNS1_3gpuE5ELNS1_3repE0EEENS1_30default_config_static_selectorELNS0_4arch9wavefront6targetE1EEEvT1_
; %bb.0:
	.section	.rodata,"a",@progbits
	.p2align	6, 0x0
	.amdhsa_kernel _ZN7rocprim17ROCPRIM_400000_NS6detail17trampoline_kernelINS0_14default_configENS1_35adjacent_difference_config_selectorILb1EhEEZNS1_24adjacent_difference_implIS3_Lb1ELb0EPhS7_N6thrust23THRUST_200600_302600_NS5minusIhEEEE10hipError_tPvRmT2_T3_mT4_P12ihipStream_tbEUlT_E_NS1_11comp_targetILNS1_3genE10ELNS1_11target_archE1201ELNS1_3gpuE5ELNS1_3repE0EEENS1_30default_config_static_selectorELNS0_4arch9wavefront6targetE1EEEvT1_
		.amdhsa_group_segment_fixed_size 0
		.amdhsa_private_segment_fixed_size 0
		.amdhsa_kernarg_size 56
		.amdhsa_user_sgpr_count 2
		.amdhsa_user_sgpr_dispatch_ptr 0
		.amdhsa_user_sgpr_queue_ptr 0
		.amdhsa_user_sgpr_kernarg_segment_ptr 1
		.amdhsa_user_sgpr_dispatch_id 0
		.amdhsa_user_sgpr_kernarg_preload_length 0
		.amdhsa_user_sgpr_kernarg_preload_offset 0
		.amdhsa_user_sgpr_private_segment_size 0
		.amdhsa_uses_dynamic_stack 0
		.amdhsa_enable_private_segment 0
		.amdhsa_system_sgpr_workgroup_id_x 1
		.amdhsa_system_sgpr_workgroup_id_y 0
		.amdhsa_system_sgpr_workgroup_id_z 0
		.amdhsa_system_sgpr_workgroup_info 0
		.amdhsa_system_vgpr_workitem_id 0
		.amdhsa_next_free_vgpr 1
		.amdhsa_next_free_sgpr 0
		.amdhsa_accum_offset 4
		.amdhsa_reserve_vcc 0
		.amdhsa_float_round_mode_32 0
		.amdhsa_float_round_mode_16_64 0
		.amdhsa_float_denorm_mode_32 3
		.amdhsa_float_denorm_mode_16_64 3
		.amdhsa_dx10_clamp 1
		.amdhsa_ieee_mode 1
		.amdhsa_fp16_overflow 0
		.amdhsa_tg_split 0
		.amdhsa_exception_fp_ieee_invalid_op 0
		.amdhsa_exception_fp_denorm_src 0
		.amdhsa_exception_fp_ieee_div_zero 0
		.amdhsa_exception_fp_ieee_overflow 0
		.amdhsa_exception_fp_ieee_underflow 0
		.amdhsa_exception_fp_ieee_inexact 0
		.amdhsa_exception_int_div_zero 0
	.end_amdhsa_kernel
	.section	.text._ZN7rocprim17ROCPRIM_400000_NS6detail17trampoline_kernelINS0_14default_configENS1_35adjacent_difference_config_selectorILb1EhEEZNS1_24adjacent_difference_implIS3_Lb1ELb0EPhS7_N6thrust23THRUST_200600_302600_NS5minusIhEEEE10hipError_tPvRmT2_T3_mT4_P12ihipStream_tbEUlT_E_NS1_11comp_targetILNS1_3genE10ELNS1_11target_archE1201ELNS1_3gpuE5ELNS1_3repE0EEENS1_30default_config_static_selectorELNS0_4arch9wavefront6targetE1EEEvT1_,"axG",@progbits,_ZN7rocprim17ROCPRIM_400000_NS6detail17trampoline_kernelINS0_14default_configENS1_35adjacent_difference_config_selectorILb1EhEEZNS1_24adjacent_difference_implIS3_Lb1ELb0EPhS7_N6thrust23THRUST_200600_302600_NS5minusIhEEEE10hipError_tPvRmT2_T3_mT4_P12ihipStream_tbEUlT_E_NS1_11comp_targetILNS1_3genE10ELNS1_11target_archE1201ELNS1_3gpuE5ELNS1_3repE0EEENS1_30default_config_static_selectorELNS0_4arch9wavefront6targetE1EEEvT1_,comdat
.Lfunc_end281:
	.size	_ZN7rocprim17ROCPRIM_400000_NS6detail17trampoline_kernelINS0_14default_configENS1_35adjacent_difference_config_selectorILb1EhEEZNS1_24adjacent_difference_implIS3_Lb1ELb0EPhS7_N6thrust23THRUST_200600_302600_NS5minusIhEEEE10hipError_tPvRmT2_T3_mT4_P12ihipStream_tbEUlT_E_NS1_11comp_targetILNS1_3genE10ELNS1_11target_archE1201ELNS1_3gpuE5ELNS1_3repE0EEENS1_30default_config_static_selectorELNS0_4arch9wavefront6targetE1EEEvT1_, .Lfunc_end281-_ZN7rocprim17ROCPRIM_400000_NS6detail17trampoline_kernelINS0_14default_configENS1_35adjacent_difference_config_selectorILb1EhEEZNS1_24adjacent_difference_implIS3_Lb1ELb0EPhS7_N6thrust23THRUST_200600_302600_NS5minusIhEEEE10hipError_tPvRmT2_T3_mT4_P12ihipStream_tbEUlT_E_NS1_11comp_targetILNS1_3genE10ELNS1_11target_archE1201ELNS1_3gpuE5ELNS1_3repE0EEENS1_30default_config_static_selectorELNS0_4arch9wavefront6targetE1EEEvT1_
                                        ; -- End function
	.section	.AMDGPU.csdata,"",@progbits
; Kernel info:
; codeLenInByte = 0
; NumSgprs: 6
; NumVgprs: 0
; NumAgprs: 0
; TotalNumVgprs: 0
; ScratchSize: 0
; MemoryBound: 0
; FloatMode: 240
; IeeeMode: 1
; LDSByteSize: 0 bytes/workgroup (compile time only)
; SGPRBlocks: 0
; VGPRBlocks: 0
; NumSGPRsForWavesPerEU: 6
; NumVGPRsForWavesPerEU: 1
; AccumOffset: 4
; Occupancy: 8
; WaveLimiterHint : 0
; COMPUTE_PGM_RSRC2:SCRATCH_EN: 0
; COMPUTE_PGM_RSRC2:USER_SGPR: 2
; COMPUTE_PGM_RSRC2:TRAP_HANDLER: 0
; COMPUTE_PGM_RSRC2:TGID_X_EN: 1
; COMPUTE_PGM_RSRC2:TGID_Y_EN: 0
; COMPUTE_PGM_RSRC2:TGID_Z_EN: 0
; COMPUTE_PGM_RSRC2:TIDIG_COMP_CNT: 0
; COMPUTE_PGM_RSRC3_GFX90A:ACCUM_OFFSET: 0
; COMPUTE_PGM_RSRC3_GFX90A:TG_SPLIT: 0
	.section	.text._ZN7rocprim17ROCPRIM_400000_NS6detail17trampoline_kernelINS0_14default_configENS1_35adjacent_difference_config_selectorILb1EhEEZNS1_24adjacent_difference_implIS3_Lb1ELb0EPhS7_N6thrust23THRUST_200600_302600_NS5minusIhEEEE10hipError_tPvRmT2_T3_mT4_P12ihipStream_tbEUlT_E_NS1_11comp_targetILNS1_3genE5ELNS1_11target_archE942ELNS1_3gpuE9ELNS1_3repE0EEENS1_30default_config_static_selectorELNS0_4arch9wavefront6targetE1EEEvT1_,"axG",@progbits,_ZN7rocprim17ROCPRIM_400000_NS6detail17trampoline_kernelINS0_14default_configENS1_35adjacent_difference_config_selectorILb1EhEEZNS1_24adjacent_difference_implIS3_Lb1ELb0EPhS7_N6thrust23THRUST_200600_302600_NS5minusIhEEEE10hipError_tPvRmT2_T3_mT4_P12ihipStream_tbEUlT_E_NS1_11comp_targetILNS1_3genE5ELNS1_11target_archE942ELNS1_3gpuE9ELNS1_3repE0EEENS1_30default_config_static_selectorELNS0_4arch9wavefront6targetE1EEEvT1_,comdat
	.protected	_ZN7rocprim17ROCPRIM_400000_NS6detail17trampoline_kernelINS0_14default_configENS1_35adjacent_difference_config_selectorILb1EhEEZNS1_24adjacent_difference_implIS3_Lb1ELb0EPhS7_N6thrust23THRUST_200600_302600_NS5minusIhEEEE10hipError_tPvRmT2_T3_mT4_P12ihipStream_tbEUlT_E_NS1_11comp_targetILNS1_3genE5ELNS1_11target_archE942ELNS1_3gpuE9ELNS1_3repE0EEENS1_30default_config_static_selectorELNS0_4arch9wavefront6targetE1EEEvT1_ ; -- Begin function _ZN7rocprim17ROCPRIM_400000_NS6detail17trampoline_kernelINS0_14default_configENS1_35adjacent_difference_config_selectorILb1EhEEZNS1_24adjacent_difference_implIS3_Lb1ELb0EPhS7_N6thrust23THRUST_200600_302600_NS5minusIhEEEE10hipError_tPvRmT2_T3_mT4_P12ihipStream_tbEUlT_E_NS1_11comp_targetILNS1_3genE5ELNS1_11target_archE942ELNS1_3gpuE9ELNS1_3repE0EEENS1_30default_config_static_selectorELNS0_4arch9wavefront6targetE1EEEvT1_
	.globl	_ZN7rocprim17ROCPRIM_400000_NS6detail17trampoline_kernelINS0_14default_configENS1_35adjacent_difference_config_selectorILb1EhEEZNS1_24adjacent_difference_implIS3_Lb1ELb0EPhS7_N6thrust23THRUST_200600_302600_NS5minusIhEEEE10hipError_tPvRmT2_T3_mT4_P12ihipStream_tbEUlT_E_NS1_11comp_targetILNS1_3genE5ELNS1_11target_archE942ELNS1_3gpuE9ELNS1_3repE0EEENS1_30default_config_static_selectorELNS0_4arch9wavefront6targetE1EEEvT1_
	.p2align	8
	.type	_ZN7rocprim17ROCPRIM_400000_NS6detail17trampoline_kernelINS0_14default_configENS1_35adjacent_difference_config_selectorILb1EhEEZNS1_24adjacent_difference_implIS3_Lb1ELb0EPhS7_N6thrust23THRUST_200600_302600_NS5minusIhEEEE10hipError_tPvRmT2_T3_mT4_P12ihipStream_tbEUlT_E_NS1_11comp_targetILNS1_3genE5ELNS1_11target_archE942ELNS1_3gpuE9ELNS1_3repE0EEENS1_30default_config_static_selectorELNS0_4arch9wavefront6targetE1EEEvT1_,@function
_ZN7rocprim17ROCPRIM_400000_NS6detail17trampoline_kernelINS0_14default_configENS1_35adjacent_difference_config_selectorILb1EhEEZNS1_24adjacent_difference_implIS3_Lb1ELb0EPhS7_N6thrust23THRUST_200600_302600_NS5minusIhEEEE10hipError_tPvRmT2_T3_mT4_P12ihipStream_tbEUlT_E_NS1_11comp_targetILNS1_3genE5ELNS1_11target_archE942ELNS1_3gpuE9ELNS1_3repE0EEENS1_30default_config_static_selectorELNS0_4arch9wavefront6targetE1EEEvT1_: ; @_ZN7rocprim17ROCPRIM_400000_NS6detail17trampoline_kernelINS0_14default_configENS1_35adjacent_difference_config_selectorILb1EhEEZNS1_24adjacent_difference_implIS3_Lb1ELb0EPhS7_N6thrust23THRUST_200600_302600_NS5minusIhEEEE10hipError_tPvRmT2_T3_mT4_P12ihipStream_tbEUlT_E_NS1_11comp_targetILNS1_3genE5ELNS1_11target_archE942ELNS1_3gpuE9ELNS1_3repE0EEENS1_30default_config_static_selectorELNS0_4arch9wavefront6targetE1EEEvT1_
; %bb.0:
	s_load_dwordx8 s[16:23], s[0:1], 0x0
	s_load_dwordx4 s[4:7], s[0:1], 0x28
	s_movk_i32 s8, 0xb80
	s_mul_i32 s24, s2, 0xb80
	s_waitcnt lgkmcnt(0)
	s_add_u32 s3, s16, s18
	s_addc_u32 s25, s17, s19
	s_add_u32 s0, 0, 0x590b2000
	s_addc_u32 s1, 0, 0
	s_add_i32 s1, s1, 0x1642c8
	s_mul_hi_u32 s12, s0, 0xfffff480
	s_sub_i32 s12, s12, s0
	s_mul_i32 s13, s1, 0xfffff480
	s_mul_i32 s9, s0, 0xfffff480
	s_add_i32 s12, s12, s13
	s_mul_hi_u32 s10, s1, s9
	s_mul_i32 s11, s1, s9
	s_mul_i32 s14, s0, s12
	s_mul_hi_u32 s9, s0, s9
	s_mul_hi_u32 s13, s0, s12
	s_add_u32 s9, s9, s14
	s_addc_u32 s13, 0, s13
	s_add_u32 s9, s9, s11
	s_mul_hi_u32 s14, s1, s12
	s_addc_u32 s9, s13, s10
	s_addc_u32 s10, s14, 0
	s_mul_i32 s11, s1, s12
	s_add_u32 s9, s9, s11
	v_mov_b32_e32 v1, s9
	s_addc_u32 s10, 0, s10
	v_add_co_u32_e32 v1, vcc, s0, v1
	s_cmp_lg_u64 vcc, 0
	s_addc_u32 s0, s1, s10
	v_readfirstlane_b32 s10, v1
	s_mul_i32 s9, s22, s0
	s_mul_hi_u32 s11, s22, s10
	s_mul_hi_u32 s1, s22, s0
	s_add_u32 s9, s11, s9
	s_addc_u32 s1, 0, s1
	s_mul_hi_u32 s12, s23, s10
	s_mul_i32 s10, s23, s10
	s_add_u32 s9, s9, s10
	s_mul_hi_u32 s11, s23, s0
	s_addc_u32 s1, s1, s12
	s_addc_u32 s9, s11, 0
	s_mul_i32 s0, s23, s0
	s_add_u32 s0, s1, s0
	s_addc_u32 s1, 0, s9
	s_add_u32 s9, s0, 1
	s_addc_u32 s10, s1, 0
	s_add_u32 s11, s0, 2
	s_mul_i32 s13, s1, 0xb80
	s_mul_hi_u32 s14, s0, 0xb80
	s_addc_u32 s12, s1, 0
	s_add_i32 s14, s14, s13
	s_mul_i32 s13, s0, 0xb80
	v_mov_b32_e32 v1, s13
	v_sub_co_u32_e32 v1, vcc, s22, v1
	s_cmp_lg_u64 vcc, 0
	s_subb_u32 s13, s23, s14
	v_subrev_co_u32_e32 v2, vcc, s8, v1
	s_cmp_lg_u64 vcc, 0
	s_subb_u32 s8, s13, 0
	v_readfirstlane_b32 s14, v2
	s_cmpk_gt_u32 s14, 0xb7f
	s_cselect_b32 s14, -1, 0
	s_cmp_eq_u32 s8, 0
	s_cselect_b32 s8, s14, -1
	s_cmp_lg_u32 s8, 0
	s_cselect_b32 s8, s11, s9
	s_cselect_b32 s9, s12, s10
	v_readfirstlane_b32 s10, v1
	s_cmpk_gt_u32 s10, 0xb7f
	s_cselect_b32 s10, -1, 0
	s_cmp_eq_u32 s13, 0
	s_cselect_b32 s10, s10, -1
	s_cmp_lg_u32 s10, 0
	s_cselect_b32 s9, s9, s1
	s_cselect_b32 s8, s8, s0
	s_mul_i32 s0, s9, 0xb80
	s_mul_hi_u32 s1, s8, 0xb80
	s_add_i32 s1, s1, s0
	s_mul_i32 s0, s8, 0xb80
	s_sub_u32 s0, s22, s0
	s_subb_u32 s1, s23, s1
	s_cmp_lg_u64 s[0:1], 0
	s_cselect_b64 s[0:1], -1, 0
	v_cndmask_b32_e64 v1, 0, 1, s[0:1]
	s_mov_b64 s[14:15], -1
	v_readfirstlane_b32 s0, v1
	s_add_u32 s8, s8, s0
	s_addc_u32 s9, s9, 0
	s_add_u32 s10, s6, s2
	s_addc_u32 s11, s7, 0
	s_add_u32 s12, s8, -1
	s_addc_u32 s13, s9, -1
	v_mov_b64_e32 v[2:3], s[12:13]
	v_cmp_ge_u64_e64 s[0:1], s[10:11], v[2:3]
	s_and_b64 vcc, exec, s[0:1]
	s_mul_i32 s23, s12, 0xfffff480
	s_cbranch_vccz .LBB282_48
; %bb.1:
	s_add_i32 s26, s23, s22
	s_add_u32 s14, s3, s24
	s_addc_u32 s15, s25, 0
	v_cmp_gt_u32_e32 vcc, s26, v0
                                        ; implicit-def: $vgpr1
	s_and_saveexec_b64 s[16:17], vcc
	s_cbranch_execz .LBB282_3
; %bb.2:
	global_load_ubyte v1, v0, s[14:15]
.LBB282_3:
	s_or_b64 exec, exec, s[16:17]
	v_or_b32_e32 v2, 0x80, v0
	v_cmp_gt_u32_e32 vcc, s26, v2
                                        ; implicit-def: $vgpr2
	s_and_saveexec_b64 s[16:17], vcc
	s_cbranch_execz .LBB282_5
; %bb.4:
	global_load_ubyte v2, v0, s[14:15] offset:128
.LBB282_5:
	s_or_b64 exec, exec, s[16:17]
	v_or_b32_e32 v3, 0x100, v0
	v_cmp_gt_u32_e32 vcc, s26, v3
                                        ; implicit-def: $vgpr3
	s_and_saveexec_b64 s[16:17], vcc
	s_cbranch_execz .LBB282_7
; %bb.6:
	global_load_ubyte v3, v0, s[14:15] offset:256
.LBB282_7:
	s_or_b64 exec, exec, s[16:17]
	v_or_b32_e32 v4, 0x180, v0
	v_cmp_gt_u32_e32 vcc, s26, v4
                                        ; implicit-def: $vgpr4
	s_and_saveexec_b64 s[16:17], vcc
	s_cbranch_execz .LBB282_9
; %bb.8:
	global_load_ubyte v4, v0, s[14:15] offset:384
.LBB282_9:
	s_or_b64 exec, exec, s[16:17]
	v_or_b32_e32 v5, 0x200, v0
	v_cmp_gt_u32_e32 vcc, s26, v5
                                        ; implicit-def: $vgpr5
	s_and_saveexec_b64 s[16:17], vcc
	s_cbranch_execz .LBB282_11
; %bb.10:
	global_load_ubyte v5, v0, s[14:15] offset:512
.LBB282_11:
	s_or_b64 exec, exec, s[16:17]
	v_or_b32_e32 v6, 0x280, v0
	v_cmp_gt_u32_e32 vcc, s26, v6
                                        ; implicit-def: $vgpr6
	s_and_saveexec_b64 s[16:17], vcc
	s_cbranch_execz .LBB282_13
; %bb.12:
	global_load_ubyte v6, v0, s[14:15] offset:640
.LBB282_13:
	s_or_b64 exec, exec, s[16:17]
	v_or_b32_e32 v7, 0x300, v0
	v_cmp_gt_u32_e32 vcc, s26, v7
                                        ; implicit-def: $vgpr7
	s_and_saveexec_b64 s[16:17], vcc
	s_cbranch_execz .LBB282_15
; %bb.14:
	global_load_ubyte v7, v0, s[14:15] offset:768
.LBB282_15:
	s_or_b64 exec, exec, s[16:17]
	v_or_b32_e32 v8, 0x380, v0
	v_cmp_gt_u32_e32 vcc, s26, v8
                                        ; implicit-def: $vgpr8
	s_and_saveexec_b64 s[16:17], vcc
	s_cbranch_execz .LBB282_17
; %bb.16:
	global_load_ubyte v8, v0, s[14:15] offset:896
.LBB282_17:
	s_or_b64 exec, exec, s[16:17]
	v_or_b32_e32 v9, 0x400, v0
	v_cmp_gt_u32_e32 vcc, s26, v9
                                        ; implicit-def: $vgpr9
	s_and_saveexec_b64 s[16:17], vcc
	s_cbranch_execz .LBB282_19
; %bb.18:
	global_load_ubyte v9, v0, s[14:15] offset:1024
.LBB282_19:
	s_or_b64 exec, exec, s[16:17]
	v_or_b32_e32 v10, 0x480, v0
	v_cmp_gt_u32_e32 vcc, s26, v10
                                        ; implicit-def: $vgpr10
	s_and_saveexec_b64 s[16:17], vcc
	s_cbranch_execz .LBB282_21
; %bb.20:
	global_load_ubyte v10, v0, s[14:15] offset:1152
.LBB282_21:
	s_or_b64 exec, exec, s[16:17]
	v_or_b32_e32 v11, 0x500, v0
	v_cmp_gt_u32_e32 vcc, s26, v11
                                        ; implicit-def: $vgpr11
	s_and_saveexec_b64 s[16:17], vcc
	s_cbranch_execz .LBB282_23
; %bb.22:
	global_load_ubyte v11, v0, s[14:15] offset:1280
.LBB282_23:
	s_or_b64 exec, exec, s[16:17]
	v_or_b32_e32 v12, 0x580, v0
	v_cmp_gt_u32_e32 vcc, s26, v12
                                        ; implicit-def: $vgpr12
	s_and_saveexec_b64 s[16:17], vcc
	s_cbranch_execz .LBB282_25
; %bb.24:
	global_load_ubyte v12, v0, s[14:15] offset:1408
.LBB282_25:
	s_or_b64 exec, exec, s[16:17]
	v_or_b32_e32 v13, 0x600, v0
	v_cmp_gt_u32_e32 vcc, s26, v13
                                        ; implicit-def: $vgpr13
	s_and_saveexec_b64 s[16:17], vcc
	s_cbranch_execz .LBB282_27
; %bb.26:
	global_load_ubyte v13, v0, s[14:15] offset:1536
.LBB282_27:
	s_or_b64 exec, exec, s[16:17]
	v_or_b32_e32 v14, 0x680, v0
	v_cmp_gt_u32_e32 vcc, s26, v14
                                        ; implicit-def: $vgpr14
	s_and_saveexec_b64 s[16:17], vcc
	s_cbranch_execz .LBB282_29
; %bb.28:
	global_load_ubyte v14, v0, s[14:15] offset:1664
.LBB282_29:
	s_or_b64 exec, exec, s[16:17]
	v_or_b32_e32 v15, 0x700, v0
	v_cmp_gt_u32_e32 vcc, s26, v15
                                        ; implicit-def: $vgpr15
	s_and_saveexec_b64 s[16:17], vcc
	s_cbranch_execz .LBB282_31
; %bb.30:
	global_load_ubyte v15, v0, s[14:15] offset:1792
.LBB282_31:
	s_or_b64 exec, exec, s[16:17]
	v_or_b32_e32 v16, 0x780, v0
	v_cmp_gt_u32_e32 vcc, s26, v16
                                        ; implicit-def: $vgpr16
	s_and_saveexec_b64 s[16:17], vcc
	s_cbranch_execz .LBB282_33
; %bb.32:
	global_load_ubyte v16, v0, s[14:15] offset:1920
.LBB282_33:
	s_or_b64 exec, exec, s[16:17]
	v_or_b32_e32 v17, 0x800, v0
	v_cmp_gt_u32_e32 vcc, s26, v17
                                        ; implicit-def: $vgpr17
	s_and_saveexec_b64 s[16:17], vcc
	s_cbranch_execz .LBB282_35
; %bb.34:
	global_load_ubyte v17, v0, s[14:15] offset:2048
.LBB282_35:
	s_or_b64 exec, exec, s[16:17]
	v_or_b32_e32 v18, 0x880, v0
	v_cmp_gt_u32_e32 vcc, s26, v18
                                        ; implicit-def: $vgpr18
	s_and_saveexec_b64 s[16:17], vcc
	s_cbranch_execz .LBB282_37
; %bb.36:
	global_load_ubyte v18, v0, s[14:15] offset:2176
.LBB282_37:
	s_or_b64 exec, exec, s[16:17]
	v_or_b32_e32 v19, 0x900, v0
	v_cmp_gt_u32_e32 vcc, s26, v19
                                        ; implicit-def: $vgpr19
	s_and_saveexec_b64 s[16:17], vcc
	s_cbranch_execz .LBB282_39
; %bb.38:
	global_load_ubyte v19, v0, s[14:15] offset:2304
.LBB282_39:
	s_or_b64 exec, exec, s[16:17]
	v_or_b32_e32 v20, 0x980, v0
	v_cmp_gt_u32_e32 vcc, s26, v20
                                        ; implicit-def: $vgpr20
	s_and_saveexec_b64 s[16:17], vcc
	s_cbranch_execz .LBB282_41
; %bb.40:
	global_load_ubyte v20, v0, s[14:15] offset:2432
.LBB282_41:
	s_or_b64 exec, exec, s[16:17]
	v_or_b32_e32 v21, 0xa00, v0
	v_cmp_gt_u32_e32 vcc, s26, v21
                                        ; implicit-def: $vgpr21
	s_and_saveexec_b64 s[16:17], vcc
	s_cbranch_execz .LBB282_43
; %bb.42:
	global_load_ubyte v21, v0, s[14:15] offset:2560
.LBB282_43:
	s_or_b64 exec, exec, s[16:17]
	v_or_b32_e32 v22, 0xa80, v0
	v_cmp_gt_u32_e32 vcc, s26, v22
                                        ; implicit-def: $vgpr22
	s_and_saveexec_b64 s[16:17], vcc
	s_cbranch_execz .LBB282_45
; %bb.44:
	global_load_ubyte v22, v0, s[14:15] offset:2688
.LBB282_45:
	s_or_b64 exec, exec, s[16:17]
	v_or_b32_e32 v23, 0xb00, v0
	v_cmp_gt_u32_e32 vcc, s26, v23
                                        ; implicit-def: $vgpr23
	s_and_saveexec_b64 s[16:17], vcc
	s_cbranch_execz .LBB282_47
; %bb.46:
	global_load_ubyte v23, v0, s[14:15] offset:2816
.LBB282_47:
	s_or_b64 exec, exec, s[16:17]
	s_mov_b64 s[14:15], 0
	s_waitcnt vmcnt(0)
	ds_write_b8 v0, v1
	ds_write_b8 v0, v2 offset:128
	ds_write_b8 v0, v3 offset:256
	;; [unrolled: 1-line block ×22, first 2 shown]
	s_waitcnt lgkmcnt(0)
	s_barrier
.LBB282_48:
	s_and_b64 vcc, exec, s[14:15]
	s_cbranch_vccz .LBB282_50
; %bb.49:
	s_add_u32 s14, s3, s24
	s_addc_u32 s15, s25, 0
	global_load_ubyte v1, v0, s[14:15]
	global_load_ubyte v2, v0, s[14:15] offset:128
	global_load_ubyte v3, v0, s[14:15] offset:256
	global_load_ubyte v4, v0, s[14:15] offset:384
	global_load_ubyte v5, v0, s[14:15] offset:512
	global_load_ubyte v6, v0, s[14:15] offset:640
	global_load_ubyte v7, v0, s[14:15] offset:768
	global_load_ubyte v8, v0, s[14:15] offset:896
	global_load_ubyte v9, v0, s[14:15] offset:1024
	global_load_ubyte v10, v0, s[14:15] offset:1152
	global_load_ubyte v11, v0, s[14:15] offset:1280
	global_load_ubyte v12, v0, s[14:15] offset:1408
	global_load_ubyte v13, v0, s[14:15] offset:1536
	global_load_ubyte v14, v0, s[14:15] offset:1664
	global_load_ubyte v15, v0, s[14:15] offset:1792
	global_load_ubyte v16, v0, s[14:15] offset:1920
	global_load_ubyte v17, v0, s[14:15] offset:2048
	global_load_ubyte v18, v0, s[14:15] offset:2176
	global_load_ubyte v19, v0, s[14:15] offset:2304
	global_load_ubyte v20, v0, s[14:15] offset:2432
	global_load_ubyte v21, v0, s[14:15] offset:2560
	global_load_ubyte v22, v0, s[14:15] offset:2688
	global_load_ubyte v23, v0, s[14:15] offset:2816
	s_waitcnt vmcnt(22)
	ds_write_b8 v0, v1
	s_waitcnt vmcnt(21)
	ds_write_b8 v0, v2 offset:128
	s_waitcnt vmcnt(20)
	ds_write_b8 v0, v3 offset:256
	;; [unrolled: 2-line block ×22, first 2 shown]
	s_waitcnt lgkmcnt(0)
	s_barrier
.LBB282_50:
	v_mul_u32_u24_e32 v1, 23, v0
	ds_read_b96 v[2:4], v1 offset:9
	ds_read_u8 v5, v1
	ds_read_b64 v[6:7], v1 offset:1
	ds_read_u8 v8, v1 offset:21
	ds_read_u8 v1, v1 offset:22
	s_mov_b32 s3, 0x70605
	s_waitcnt lgkmcnt(4)
	v_perm_b32 v12, v3, v4, s3
	v_perm_b32 v10, v2, v3, s3
	v_lshrrev_b32_e32 v3, 8, v4
	v_lshrrev_b32_e32 v9, 16, v4
	;; [unrolled: 1-line block ×3, first 2 shown]
	s_cmp_eq_u64 s[10:11], 0
	s_waitcnt lgkmcnt(0)
	s_barrier
	s_cbranch_scc1 .LBB282_55
; %bb.51:
	s_add_u32 s3, s4, s6
	s_addc_u32 s4, s5, s7
	s_add_u32 s2, s3, s2
	s_addc_u32 s3, s4, 0
	v_mov_b32_e32 v4, 0
	global_load_ubyte v23, v4, s[2:3] offset:-1
	s_cmp_eq_u64 s[10:11], s[12:13]
	s_cbranch_scc1 .LBB282_56
; %bb.52:
	v_cmp_ne_u32_e32 vcc, 0, v0
	s_waitcnt vmcnt(0)
	v_mov_b32_e32 v4, v23
	ds_write_b8 v0, v1
	s_waitcnt lgkmcnt(0)
	s_barrier
	s_and_saveexec_b64 s[2:3], vcc
	s_cbranch_execz .LBB282_54
; %bb.53:
	v_add_u32_e32 v4, -1, v0
	ds_read_u8 v4, v4
.LBB282_54:
	s_or_b64 exec, exec, s[2:3]
	v_lshrrev_b32_e32 v13, 16, v10
	v_lshlrev_b16_e32 v17, 8, v13
	v_lshrrev_b32_e32 v13, 16, v6
	v_lshlrev_b16_e32 v16, 8, v10
	v_lshlrev_b16_e32 v19, 8, v6
	;; [unrolled: 1-line block ×3, first 2 shown]
	v_mov_b32_e32 v21, 8
	v_lshrrev_b32_sdwa v19, v21, v19 dst_sel:BYTE_1 dst_unused:UNUSED_PAD src0_sel:DWORD src1_sel:DWORD
	v_lshrrev_b32_sdwa v20, v21, v20 dst_sel:BYTE_1 dst_unused:UNUSED_PAD src0_sel:DWORD src1_sel:DWORD
	;; [unrolled: 1-line block ×4, first 2 shown]
	s_mov_b32 s2, 0x2010007
	v_or_b32_sdwa v19, v5, v19 dst_sel:DWORD dst_unused:UNUSED_PAD src0_sel:BYTE_0 src1_sel:DWORD
	v_or_b32_sdwa v20, v6, v20 dst_sel:WORD_1 dst_unused:UNUSED_PAD src0_sel:BYTE_1 src1_sel:DWORD
	v_or_b32_sdwa v16, v2, v16 dst_sel:DWORD dst_unused:UNUSED_PAD src0_sel:BYTE_0 src1_sel:DWORD
	v_or_b32_sdwa v17, v10, v17 dst_sel:WORD_1 dst_unused:UNUSED_PAD src0_sel:BYTE_1 src1_sel:DWORD
	s_waitcnt lgkmcnt(0)
	v_sub_u16_e32 v13, v5, v4
	v_perm_b32 v4, v6, v7, s2
	v_lshrrev_b32_e32 v15, 24, v7
	v_perm_b32 v18, v10, v12, s2
	v_lshrrev_b32_e32 v14, 24, v12
	v_or_b32_sdwa v22, v19, v20 dst_sel:DWORD dst_unused:UNUSED_PAD src0_sel:WORD_0 src1_sel:DWORD
	v_or_b32_sdwa v21, v16, v17 dst_sel:DWORD dst_unused:UNUSED_PAD src0_sel:WORD_0 src1_sel:DWORD
	s_mov_b64 s[2:3], 0
	s_branch .LBB282_57
.LBB282_55:
                                        ; implicit-def: $vgpr18
                                        ; implicit-def: $vgpr21
                                        ; implicit-def: $vgpr4
                                        ; implicit-def: $vgpr22
                                        ; implicit-def: $vgpr13
                                        ; implicit-def: $vgpr15
                                        ; implicit-def: $vgpr14
                                        ; implicit-def: $vgpr20
                                        ; implicit-def: $vgpr19
                                        ; implicit-def: $vgpr17
                                        ; implicit-def: $vgpr16
	s_branch .LBB282_62
.LBB282_56:
	s_mov_b64 s[2:3], -1
                                        ; implicit-def: $vgpr18
                                        ; implicit-def: $vgpr21
                                        ; implicit-def: $vgpr4
                                        ; implicit-def: $vgpr22
                                        ; implicit-def: $vgpr13
                                        ; implicit-def: $vgpr15
                                        ; implicit-def: $vgpr14
.LBB282_57:
	s_and_b64 vcc, exec, s[2:3]
	v_mov_b32_e32 v20, v3
	v_mov_b32_e32 v19, v9
	;; [unrolled: 1-line block ×4, first 2 shown]
	s_cbranch_vccz .LBB282_61
; %bb.58:
	v_mul_u32_u24_e32 v4, 23, v0
	v_cmp_ne_u32_e32 vcc, 0, v0
	ds_write_b8 v0, v1
	s_waitcnt lgkmcnt(0)
	s_barrier
	s_and_saveexec_b64 s[2:3], vcc
	s_cbranch_execz .LBB282_60
; %bb.59:
	v_add_u32_e32 v13, -1, v0
	s_waitcnt vmcnt(0)
	ds_read_u8 v23, v13
.LBB282_60:
	s_or_b64 exec, exec, s[2:3]
	s_mul_i32 s2, s10, 0xfffff480
	s_add_i32 s2, s2, s22
	v_add_u32_e32 v14, 22, v4
	v_cmp_gt_u32_e32 vcc, s2, v14
	v_add_u32_e32 v14, 21, v4
	v_lshrrev_b32_e32 v29, 24, v12
	v_cndmask_b32_e32 v16, 0, v8, vcc
	v_cmp_gt_u32_e32 vcc, s2, v14
	v_add_u32_e32 v14, 20, v4
	v_lshrrev_b16_e32 v22, 8, v12
	v_cndmask_b32_e32 v17, 0, v11, vcc
	v_cmp_gt_u32_e32 vcc, s2, v14
	v_add_u32_e32 v14, 19, v4
	v_add_u32_e32 v30, 17, v4
	v_cndmask_b32_e32 v19, 0, v9, vcc
	v_cmp_gt_u32_e32 vcc, s2, v14
	v_add_u32_e32 v14, 18, v4
	v_lshrrev_b32_e32 v21, 16, v12
	v_cndmask_b32_e32 v20, 0, v3, vcc
	v_cmp_gt_u32_e32 vcc, s2, v14
	v_add_u32_e32 v31, 14, v4
	v_lshrrev_b32_e32 v18, 24, v10
	v_cndmask_b32_e32 v14, 0, v29, vcc
	v_add_u32_e32 v29, 16, v4
	v_cmp_gt_u32_e32 vcc, s2, v29
	v_add_u32_e32 v32, 15, v4
	v_add_u32_e32 v33, 12, v4
	v_cndmask_b32_e32 v29, 0, v22, vcc
	v_cmp_gt_u32_e32 vcc, s2, v30
	v_mov_b32_e32 v30, 8
	v_lshrrev_b16_e32 v15, 8, v10
	v_cndmask_b32_e32 v21, 0, v21, vcc
	v_cmp_gt_u32_e32 vcc, s2, v31
	v_lshlrev_b16_e32 v21, 8, v21
	v_lshrrev_b32_sdwa v37, v30, v21 dst_sel:BYTE_1 dst_unused:UNUSED_PAD src0_sel:DWORD src1_sel:DWORD
	v_cndmask_b32_e32 v18, 0, v18, vcc
	v_cmp_gt_u32_e32 vcc, s2, v32
	v_add_u32_e32 v34, 13, v4
	v_lshrrev_b32_e32 v13, 16, v10
	v_cndmask_b32_e32 v21, 0, v12, vcc
	v_lshlrev_b16_e32 v21, 8, v21
	v_cmp_gt_u32_e32 vcc, s2, v33
	v_add_u32_e32 v35, 11, v4
	v_lshrrev_b32_sdwa v31, v30, v21 dst_sel:BYTE_1 dst_unused:UNUSED_PAD src0_sel:DWORD src1_sel:DWORD
	v_cndmask_b32_e32 v21, 0, v15, vcc
	v_cmp_gt_u32_e32 vcc, s2, v34
	v_add_u32_e32 v36, 10, v4
	v_lshrrev_b32_e32 v15, 24, v7
	v_cndmask_b32_e32 v13, 0, v13, vcc
	v_cmp_gt_u32_e32 vcc, s2, v35
	v_lshlrev_b16_e32 v32, 8, v13
	v_lshrrev_b16_e32 v28, 8, v7
	v_cndmask_b32_e32 v13, 0, v10, vcc
	v_lshlrev_b16_e32 v33, 8, v13
	v_cmp_gt_u32_e32 vcc, s2, v36
	v_add_u32_e32 v13, 9, v4
	v_add_u32_e32 v22, 8, v4
	v_cndmask_b32_e32 v34, 0, v2, vcc
	v_cmp_gt_u32_e32 vcc, s2, v13
	v_add_u32_e32 v13, 7, v4
	v_lshrrev_b32_e32 v27, 16, v7
	v_cndmask_b32_e32 v15, 0, v15, vcc
	v_cmp_gt_u32_e32 vcc, s2, v13
	v_add_u32_e32 v35, 5, v4
	v_lshrrev_b32_e32 v26, 24, v6
	v_cndmask_b32_e32 v28, 0, v28, vcc
	v_cmp_gt_u32_e32 vcc, s2, v22
	v_add_u32_e32 v36, 6, v4
	v_add_u32_e32 v38, 3, v4
	v_cndmask_b32_e32 v13, 0, v27, vcc
	v_cmp_gt_u32_e32 vcc, s2, v35
	v_lshlrev_b16_e32 v13, 8, v13
	v_lshrrev_b16_e32 v25, 8, v6
	v_cndmask_b32_e32 v26, 0, v26, vcc
	v_cmp_gt_u32_e32 vcc, s2, v36
	v_add_u32_e32 v39, 4, v4
	v_lshrrev_b32_sdwa v27, v30, v13 dst_sel:BYTE_1 dst_unused:UNUSED_PAD src0_sel:DWORD src1_sel:DWORD
	v_cndmask_b32_e32 v13, 0, v7, vcc
	v_cmp_gt_u32_e32 vcc, s2, v38
	v_lshrrev_b32_e32 v24, 16, v6
	v_add_u32_e32 v40, 2, v4
	v_lshlrev_b16_e32 v13, 8, v13
	v_cndmask_b32_e32 v22, 0, v25, vcc
	v_cmp_gt_u32_e32 vcc, s2, v39
	v_add_u32_e32 v41, 1, v4
	v_lshrrev_b32_sdwa v35, v30, v13 dst_sel:BYTE_1 dst_unused:UNUSED_PAD src0_sel:DWORD src1_sel:DWORD
	v_cndmask_b32_e32 v13, 0, v24, vcc
	v_cmp_gt_u32_e32 vcc, s2, v40
	v_lshlrev_b16_e32 v24, 8, v13
	v_or_b32_e32 v18, v18, v31
	v_cndmask_b32_e32 v13, 0, v6, vcc
	v_cmp_gt_u32_e32 vcc, s2, v41
	v_lshlrev_b16_e32 v25, 8, v13
	s_nop 0
	v_cndmask_b32_e32 v36, 0, v5, vcc
	v_cmp_gt_u32_e32 vcc, s2, v4
	s_waitcnt vmcnt(0) lgkmcnt(0)
	s_nop 0
	v_cndmask_b32_e32 v4, 0, v23, vcc
	v_sub_u16_e32 v13, v5, v4
	v_lshrrev_b32_sdwa v4, v30, v25 dst_sel:BYTE_1 dst_unused:UNUSED_PAD src0_sel:DWORD src1_sel:DWORD
	v_lshrrev_b32_sdwa v23, v30, v24 dst_sel:BYTE_1 dst_unused:UNUSED_PAD src0_sel:DWORD src1_sel:DWORD
	v_or_b32_sdwa v4, v36, v4 dst_sel:DWORD dst_unused:UNUSED_PAD src0_sel:BYTE_0 src1_sel:DWORD
	v_or_b32_sdwa v22, v22, v23 dst_sel:WORD_1 dst_unused:UNUSED_PAD src0_sel:DWORD src1_sel:DWORD
	v_or_b32_sdwa v23, v28, v27 dst_sel:WORD_1 dst_unused:UNUSED_PAD src0_sel:DWORD src1_sel:DWORD
	v_or_b32_sdwa v22, v4, v22 dst_sel:DWORD dst_unused:UNUSED_PAD src0_sel:WORD_0 src1_sel:DWORD
	v_or_b32_e32 v4, v26, v35
	v_or_b32_sdwa v4, v4, v23 dst_sel:DWORD dst_unused:UNUSED_PAD src0_sel:WORD_0 src1_sel:DWORD
	v_lshrrev_b32_sdwa v23, v30, v33 dst_sel:BYTE_1 dst_unused:UNUSED_PAD src0_sel:DWORD src1_sel:DWORD
	v_lshrrev_b32_sdwa v24, v30, v32 dst_sel:BYTE_1 dst_unused:UNUSED_PAD src0_sel:DWORD src1_sel:DWORD
	v_or_b32_sdwa v23, v34, v23 dst_sel:DWORD dst_unused:UNUSED_PAD src0_sel:BYTE_0 src1_sel:DWORD
	v_or_b32_sdwa v21, v21, v24 dst_sel:WORD_1 dst_unused:UNUSED_PAD src0_sel:DWORD src1_sel:DWORD
	s_nop 0
	v_or_b32_sdwa v21, v23, v21 dst_sel:DWORD dst_unused:UNUSED_PAD src0_sel:WORD_0 src1_sel:DWORD
	v_or_b32_sdwa v23, v29, v37 dst_sel:WORD_1 dst_unused:UNUSED_PAD src0_sel:DWORD src1_sel:DWORD
	s_nop 0
	v_or_b32_sdwa v18, v18, v23 dst_sel:DWORD dst_unused:UNUSED_PAD src0_sel:WORD_0 src1_sel:DWORD
.LBB282_61:
	s_cbranch_execnz .LBB282_71
.LBB282_62:
	s_cmp_eq_u64 s[8:9], 1
	v_cmp_ne_u32_e32 vcc, 0, v0
	s_cbranch_scc1 .LBB282_66
; %bb.63:
	v_lshlrev_b16_e32 v4, 8, v10
	v_lshrrev_b32_e32 v13, 16, v10
	v_lshlrev_b16_e32 v14, 8, v6
	v_lshrrev_b32_e32 v15, 16, v6
	v_mov_b32_e32 v18, 8
	v_lshlrev_b16_e32 v13, 8, v13
	v_lshlrev_b16_e32 v15, 8, v15
	v_lshrrev_b32_sdwa v14, v18, v14 dst_sel:BYTE_1 dst_unused:UNUSED_PAD src0_sel:DWORD src1_sel:DWORD
	v_lshrrev_b32_sdwa v4, v18, v4 dst_sel:BYTE_1 dst_unused:UNUSED_PAD src0_sel:DWORD src1_sel:DWORD
	v_or_b32_sdwa v16, v5, v14 dst_sel:DWORD dst_unused:UNUSED_PAD src0_sel:BYTE_0 src1_sel:DWORD
	v_lshrrev_b32_sdwa v14, v18, v15 dst_sel:BYTE_1 dst_unused:UNUSED_PAD src0_sel:DWORD src1_sel:DWORD
	v_or_b32_sdwa v19, v2, v4 dst_sel:DWORD dst_unused:UNUSED_PAD src0_sel:BYTE_0 src1_sel:DWORD
	v_lshrrev_b32_sdwa v4, v18, v13 dst_sel:BYTE_1 dst_unused:UNUSED_PAD src0_sel:DWORD src1_sel:DWORD
	s_mov_b32 s4, 0x2010007
	v_or_b32_sdwa v17, v6, v14 dst_sel:WORD_1 dst_unused:UNUSED_PAD src0_sel:BYTE_1 src1_sel:DWORD
	v_or_b32_sdwa v20, v10, v4 dst_sel:WORD_1 dst_unused:UNUSED_PAD src0_sel:BYTE_1 src1_sel:DWORD
	v_mov_b32_e32 v13, v5
	ds_write_b8 v0, v1
	s_waitcnt lgkmcnt(0)
	s_barrier
	s_and_saveexec_b64 s[2:3], vcc
	s_cbranch_execz .LBB282_65
; %bb.64:
	v_add_u32_e32 v4, -1, v0
	ds_read_u8 v4, v4
	s_waitcnt lgkmcnt(0)
	v_sub_u16_e32 v13, v5, v4
.LBB282_65:
	s_or_b64 exec, exec, s[2:3]
	v_perm_b32 v4, v6, v7, s4
	v_lshrrev_b32_e32 v15, 24, v7
	v_perm_b32 v18, v10, v12, s4
	v_lshrrev_b32_e32 v14, 24, v12
	v_or_b32_sdwa v22, v16, v17 dst_sel:DWORD dst_unused:UNUSED_PAD src0_sel:WORD_0 src1_sel:DWORD
	v_or_b32_sdwa v21, v19, v20 dst_sel:DWORD dst_unused:UNUSED_PAD src0_sel:WORD_0 src1_sel:DWORD
	s_mov_b64 s[2:3], 0
	s_branch .LBB282_67
.LBB282_66:
	s_mov_b64 s[2:3], -1
                                        ; implicit-def: $vgpr18
                                        ; implicit-def: $vgpr21
                                        ; implicit-def: $vgpr4
                                        ; implicit-def: $vgpr22
                                        ; implicit-def: $vgpr13
                                        ; implicit-def: $vgpr15
                                        ; implicit-def: $vgpr14
.LBB282_67:
	s_andn2_b64 vcc, exec, s[2:3]
	v_mov_b32_e32 v20, v3
	v_mov_b32_e32 v19, v9
	;; [unrolled: 1-line block ×4, first 2 shown]
	s_cbranch_vccnz .LBB282_71
; %bb.68:
	v_mad_u32_u24 v24, v0, 23, 16
	v_lshrrev_b16_e32 v17, 8, v12
	v_mad_u32_u24 v25, v0, 23, 17
	v_cmp_gt_u32_e64 s[10:11], s22, v24
	v_lshrrev_b32_e32 v16, 16, v12
	v_mad_u32_u24 v26, v0, 23, 14
	v_cndmask_b32_e64 v17, 0, v17, s[10:11]
	v_cmp_gt_u32_e64 s[10:11], s22, v25
	v_lshrrev_b32_e32 v15, 24, v10
	v_mad_u32_u24 v27, v0, 23, 15
	v_cndmask_b32_e64 v16, 0, v16, s[10:11]
	v_cmp_gt_u32_e64 s[10:11], s22, v26
	v_mad_u32_u24 v28, v0, 23, 12
	v_mov_b32_e32 v32, 8
	v_cndmask_b32_e64 v15, 0, v15, s[10:11]
	v_cmp_gt_u32_e64 s[10:11], s22, v27
	v_lshrrev_b16_e32 v14, 8, v10
	v_mad_u32_u24 v29, v0, 23, 13
	v_cndmask_b32_e64 v24, 0, v12, s[10:11]
	v_lshlrev_b16_e32 v24, 8, v24
	v_lshrrev_b32_sdwa v27, v32, v24 dst_sel:BYTE_1 dst_unused:UNUSED_PAD src0_sel:DWORD src1_sel:DWORD
	v_cmp_gt_u32_e64 s[10:11], s22, v28
	v_mad_u32_u24 v24, v0, 23, 7
	v_lshrrev_b32_e32 v13, 16, v10
	v_lshrrev_b16_e32 v22, 8, v7
	v_mad_u32_u24 v30, v0, 23, 11
	v_cndmask_b32_e64 v14, 0, v14, s[10:11]
	v_cmp_gt_u32_e64 s[10:11], s22, v29
	v_mad_u32_u24 v29, v0, 23, 8
	v_cmp_gt_u32_e64 s[12:13], s22, v24
	v_lshrrev_b32_e32 v21, 16, v7
	v_mad_u32_u24 v31, v0, 23, 10
	v_cndmask_b32_e64 v13, 0, v13, s[10:11]
	v_cmp_gt_u32_e64 s[10:11], s22, v30
	v_mad_u32_u24 v30, v0, 23, 5
	v_cndmask_b32_e64 v22, 0, v22, s[12:13]
	v_cmp_gt_u32_e64 s[12:13], s22, v29
	v_lshrrev_b32_e32 v20, 24, v6
	v_lshlrev_b16_e32 v26, 8, v13
	v_cndmask_b32_e64 v13, 0, v10, s[10:11]
	v_cmp_gt_u32_e64 s[10:11], s22, v31
	v_mad_u32_u24 v31, v0, 23, 6
	v_cndmask_b32_e64 v21, 0, v21, s[12:13]
	v_cmp_gt_u32_e64 s[12:13], s22, v30
	v_mad_u32_u24 v33, v0, 23, 3
	v_lshlrev_b16_e32 v21, 8, v21
	v_cndmask_b32_e64 v20, 0, v20, s[12:13]
	v_cmp_gt_u32_e64 s[12:13], s22, v31
	v_lshrrev_b16_e32 v19, 8, v6
	v_mad_u32_u24 v34, v0, 23, 4
	v_lshrrev_b32_sdwa v24, v32, v21 dst_sel:BYTE_1 dst_unused:UNUSED_PAD src0_sel:DWORD src1_sel:DWORD
	v_cndmask_b32_e64 v21, 0, v7, s[12:13]
	v_cmp_gt_u32_e64 s[12:13], s22, v33
	v_lshrrev_b32_e32 v18, 16, v6
	v_mad_u32_u24 v4, v0, 23, 22
	v_cndmask_b32_e64 v19, 0, v19, s[12:13]
	v_cmp_gt_u32_e64 s[12:13], s22, v34
	v_mad_u32_u24 v35, v0, 23, 2
	v_lshlrev_b16_e32 v21, 8, v21
	v_cndmask_b32_e64 v18, 0, v18, s[12:13]
	v_cmp_gt_u32_e32 vcc, s22, v4
	v_mad_u32_u24 v4, v0, 23, 21
	v_lshrrev_b32_sdwa v29, v32, v21 dst_sel:BYTE_1 dst_unused:UNUSED_PAD src0_sel:DWORD src1_sel:DWORD
	v_lshlrev_b16_e32 v21, 8, v18
	v_cmp_gt_u32_e64 s[12:13], s22, v35
	v_cmp_gt_u32_e64 s[2:3], s22, v4
	v_mad_u32_u24 v4, v0, 23, 20
	v_lshlrev_b16_e32 v25, 8, v13
	v_mad_u32_u24 v36, v0, 23, 1
	v_cndmask_b32_e64 v18, 0, v6, s[12:13]
	v_lshrrev_b32_sdwa v21, v32, v21 dst_sel:BYTE_1 dst_unused:UNUSED_PAD src0_sel:DWORD src1_sel:DWORD
	s_waitcnt vmcnt(0)
	v_mul_u32_u24_e32 v23, 23, v0
	v_cmp_gt_u32_e64 s[4:5], s22, v4
	v_mad_u32_u24 v4, v0, 23, 19
	v_lshlrev_b16_e32 v16, 8, v16
	v_cndmask_b32_e64 v28, 0, v2, s[10:11]
	v_lshlrev_b16_e32 v18, 8, v18
	v_cmp_gt_u32_e64 s[12:13], s22, v36
	v_or_b32_sdwa v21, v19, v21 dst_sel:WORD_1 dst_unused:UNUSED_PAD src0_sel:DWORD src1_sel:DWORD
	v_lshrrev_b32_sdwa v19, v32, v25 dst_sel:BYTE_1 dst_unused:UNUSED_PAD src0_sel:DWORD src1_sel:DWORD
	v_cmp_gt_u32_e64 s[6:7], s22, v4
	v_mad_u32_u24 v4, v0, 23, 18
	v_lshrrev_b32_sdwa v16, v32, v16 dst_sel:BYTE_1 dst_unused:UNUSED_PAD src0_sel:DWORD src1_sel:DWORD
	v_mad_u32_u24 v13, v0, 23, 9
	v_cndmask_b32_e64 v30, 0, v5, s[12:13]
	v_cmp_ne_u32_e64 s[12:13], 0, v0
	v_cmp_gt_u32_e64 s[14:15], s22, v23
	v_lshrrev_b32_sdwa v18, v32, v18 dst_sel:BYTE_1 dst_unused:UNUSED_PAD src0_sel:DWORD src1_sel:DWORD
	v_or_b32_sdwa v25, v28, v19 dst_sel:DWORD dst_unused:UNUSED_PAD src0_sel:BYTE_0 src1_sel:DWORD
	v_lshrrev_b32_sdwa v19, v32, v26 dst_sel:BYTE_1 dst_unused:UNUSED_PAD src0_sel:DWORD src1_sel:DWORD
	v_cmp_gt_u32_e64 s[8:9], s22, v4
	v_lshrrev_b32_e32 v4, 24, v12
	v_cmp_gt_u32_e64 s[10:11], s22, v13
	v_lshrrev_b32_e32 v13, 24, v7
	s_and_b64 s[14:15], s[12:13], s[14:15]
	v_or_b32_sdwa v18, v30, v18 dst_sel:DWORD dst_unused:UNUSED_PAD src0_sel:BYTE_0 src1_sel:DWORD
	v_or_b32_e32 v23, v20, v29
	v_or_b32_sdwa v24, v22, v24 dst_sel:WORD_1 dst_unused:UNUSED_PAD src0_sel:DWORD src1_sel:DWORD
	v_or_b32_sdwa v26, v14, v19 dst_sel:WORD_1 dst_unused:UNUSED_PAD src0_sel:DWORD src1_sel:DWORD
	v_or_b32_e32 v27, v15, v27
	v_or_b32_sdwa v28, v17, v16 dst_sel:WORD_1 dst_unused:UNUSED_PAD src0_sel:DWORD src1_sel:DWORD
	ds_write_b8 v0, v1
	s_waitcnt lgkmcnt(0)
	s_barrier
	s_and_saveexec_b64 s[12:13], s[14:15]
	s_cbranch_execz .LBB282_70
; %bb.69:
	v_add_u32_e32 v14, -1, v0
	ds_read_u8 v14, v14
	s_waitcnt lgkmcnt(0)
	v_sub_u16_e32 v5, v5, v14
.LBB282_70:
	s_or_b64 exec, exec, s[12:13]
	v_cndmask_b32_e32 v16, 0, v8, vcc
	v_cndmask_b32_e64 v17, 0, v11, s[2:3]
	v_cndmask_b32_e64 v19, 0, v9, s[4:5]
	;; [unrolled: 1-line block ×5, first 2 shown]
	v_or_b32_sdwa v22, v18, v21 dst_sel:DWORD dst_unused:UNUSED_PAD src0_sel:WORD_0 src1_sel:DWORD
	v_or_b32_sdwa v4, v23, v24 dst_sel:DWORD dst_unused:UNUSED_PAD src0_sel:WORD_0 src1_sel:DWORD
	;; [unrolled: 1-line block ×4, first 2 shown]
	v_mov_b32_e32 v13, v5
.LBB282_71:
	v_sub_u16_sdwa v5, v7, v4 dst_sel:BYTE_1 dst_unused:UNUSED_PAD src0_sel:BYTE_3 src1_sel:BYTE_3
	s_waitcnt vmcnt(0)
	v_sub_u16_sdwa v23, v7, v4 dst_sel:DWORD dst_unused:UNUSED_PAD src0_sel:WORD_1 src1_sel:WORD_1
	v_or_b32_sdwa v5, v23, v5 dst_sel:WORD_1 dst_unused:UNUSED_PAD src0_sel:BYTE_0 src1_sel:DWORD
	v_sub_u16_sdwa v23, v7, v4 dst_sel:BYTE_1 dst_unused:UNUSED_PAD src0_sel:BYTE_1 src1_sel:BYTE_1
	v_sub_u16_e32 v4, v7, v4
	v_or_b32_sdwa v4, v4, v23 dst_sel:DWORD dst_unused:UNUSED_PAD src0_sel:BYTE_0 src1_sel:DWORD
	v_or_b32_sdwa v5, v4, v5 dst_sel:DWORD dst_unused:UNUSED_PAD src0_sel:WORD_0 src1_sel:DWORD
	v_sub_u16_sdwa v4, v6, v22 dst_sel:BYTE_1 dst_unused:UNUSED_PAD src0_sel:BYTE_3 src1_sel:BYTE_3
	v_sub_u16_sdwa v7, v6, v22 dst_sel:DWORD dst_unused:UNUSED_PAD src0_sel:WORD_1 src1_sel:WORD_1
	v_or_b32_sdwa v4, v7, v4 dst_sel:WORD_1 dst_unused:UNUSED_PAD src0_sel:BYTE_0 src1_sel:DWORD
	v_sub_u16_sdwa v7, v6, v22 dst_sel:BYTE_1 dst_unused:UNUSED_PAD src0_sel:BYTE_1 src1_sel:BYTE_1
	v_sub_u16_e32 v6, v6, v22
	v_or_b32_sdwa v6, v6, v7 dst_sel:DWORD dst_unused:UNUSED_PAD src0_sel:BYTE_0 src1_sel:DWORD
	v_or_b32_sdwa v4, v6, v4 dst_sel:DWORD dst_unused:UNUSED_PAD src0_sel:WORD_0 src1_sel:DWORD
	v_sub_u16_e32 v6, v2, v15
	v_sub_u16_sdwa v2, v12, v18 dst_sel:BYTE_1 dst_unused:UNUSED_PAD src0_sel:BYTE_3 src1_sel:BYTE_3
	v_sub_u16_sdwa v7, v12, v18 dst_sel:DWORD dst_unused:UNUSED_PAD src0_sel:WORD_1 src1_sel:WORD_1
	v_or_b32_sdwa v2, v7, v2 dst_sel:WORD_1 dst_unused:UNUSED_PAD src0_sel:BYTE_0 src1_sel:DWORD
	v_sub_u16_sdwa v7, v12, v18 dst_sel:BYTE_1 dst_unused:UNUSED_PAD src0_sel:BYTE_1 src1_sel:BYTE_1
	v_sub_u16_e32 v12, v12, v18
	v_or_b32_sdwa v7, v12, v7 dst_sel:DWORD dst_unused:UNUSED_PAD src0_sel:BYTE_0 src1_sel:DWORD
	v_or_b32_sdwa v7, v7, v2 dst_sel:DWORD dst_unused:UNUSED_PAD src0_sel:WORD_0 src1_sel:DWORD
	v_sub_u16_sdwa v2, v10, v21 dst_sel:BYTE_1 dst_unused:UNUSED_PAD src0_sel:BYTE_3 src1_sel:BYTE_3
	v_sub_u16_sdwa v12, v10, v21 dst_sel:DWORD dst_unused:UNUSED_PAD src0_sel:WORD_1 src1_sel:WORD_1
	v_or_b32_sdwa v2, v12, v2 dst_sel:WORD_1 dst_unused:UNUSED_PAD src0_sel:BYTE_0 src1_sel:DWORD
	v_sub_u16_sdwa v12, v10, v21 dst_sel:BYTE_1 dst_unused:UNUSED_PAD src0_sel:BYTE_1 src1_sel:BYTE_1
	v_sub_u16_e32 v10, v10, v21
	v_or_b32_sdwa v10, v10, v12 dst_sel:DWORD dst_unused:UNUSED_PAD src0_sel:BYTE_0 src1_sel:DWORD
	s_add_u32 s4, s20, s18
	v_or_b32_sdwa v10, v10, v2 dst_sel:DWORD dst_unused:UNUSED_PAD src0_sel:WORD_0 src1_sel:DWORD
	v_sub_u16_e32 v2, v3, v14
	v_sub_u16_e32 v3, v11, v19
	s_addc_u32 s5, s21, s19
	v_sub_u16_e32 v12, v9, v20
	v_sub_u16_e32 v8, v8, v17
	;; [unrolled: 1-line block ×3, first 2 shown]
	s_and_b64 vcc, exec, s[0:1]
	v_mul_u32_u24_e32 v11, 23, v0
	v_lshrrev_b32_e32 v14, 8, v10
	v_lshrrev_b32_e32 v15, 16, v10
	v_lshlrev_b16_e32 v17, 8, v2
	v_lshlrev_b16_e32 v18, 8, v3
	;; [unrolled: 1-line block ×3, first 2 shown]
	s_barrier
	s_cbranch_vccz .LBB282_117
; %bb.72:
	v_or_b32_sdwa v1, v7, v17 dst_sel:DWORD dst_unused:UNUSED_PAD src0_sel:BYTE_3 src1_sel:DWORD
	v_or_b32_sdwa v2, v12, v18 dst_sel:WORD_1 dst_unused:UNUSED_PAD src0_sel:BYTE_0 src1_sel:DWORD
	s_mov_b32 s1, 0x2010007
	v_or_b32_sdwa v22, v1, v2 dst_sel:DWORD dst_unused:UNUSED_PAD src0_sel:WORD_0 src1_sel:DWORD
	v_lshlrev_b16_e32 v2, 8, v15
	v_or_b32_sdwa v1, v6, v16 dst_sel:DWORD dst_unused:UNUSED_PAD src0_sel:BYTE_0 src1_sel:DWORD
	v_or_b32_sdwa v2, v14, v2 dst_sel:WORD_1 dst_unused:UNUSED_PAD src0_sel:BYTE_0 src1_sel:DWORD
	v_perm_b32 v21, v10, v7, s1
	v_or_b32_sdwa v20, v1, v2 dst_sel:DWORD dst_unused:UNUSED_PAD src0_sel:WORD_0 src1_sel:DWORD
	ds_write_b8 v11, v13
	ds_write_b64 v11, v[4:5] offset:1
	ds_write_b96 v11, v[20:22] offset:9
	ds_write_b8 v11, v8 offset:21
	ds_write_b8 v11, v9 offset:22
	s_waitcnt lgkmcnt(0)
	s_barrier
	ds_read_u8 v40, v0 offset:128
	ds_read_u8 v39, v0 offset:256
	;; [unrolled: 1-line block ×22, first 2 shown]
	s_add_i32 s23, s23, s22
	s_add_u32 s0, s4, s24
	s_addc_u32 s1, s5, 0
	v_mov_b32_e32 v1, 0
	v_lshl_add_u64 v[2:3], s[0:1], 0, v[0:1]
	v_cmp_gt_u32_e32 vcc, s23, v0
	s_and_saveexec_b64 s[0:1], vcc
	s_cbranch_execz .LBB282_74
; %bb.73:
	ds_read_u8 v1, v0
	s_waitcnt lgkmcnt(0)
	global_store_byte v[2:3], v1, off
.LBB282_74:
	s_or_b64 exec, exec, s[0:1]
	v_or_b32_e32 v1, 0x80, v0
	v_cmp_gt_u32_e32 vcc, s23, v1
	s_and_saveexec_b64 s[0:1], vcc
	s_cbranch_execz .LBB282_76
; %bb.75:
	s_waitcnt lgkmcnt(14)
	global_store_byte v[2:3], v40, off offset:128
.LBB282_76:
	s_or_b64 exec, exec, s[0:1]
	v_or_b32_e32 v1, 0x100, v0
	v_cmp_gt_u32_e32 vcc, s23, v1
	s_and_saveexec_b64 s[0:1], vcc
	s_cbranch_execz .LBB282_78
; %bb.77:
	s_waitcnt lgkmcnt(14)
	global_store_byte v[2:3], v39, off offset:256
.LBB282_78:
	s_or_b64 exec, exec, s[0:1]
	v_or_b32_e32 v1, 0x180, v0
	v_cmp_gt_u32_e32 vcc, s23, v1
	s_and_saveexec_b64 s[0:1], vcc
	s_cbranch_execz .LBB282_80
; %bb.79:
	s_waitcnt lgkmcnt(14)
	global_store_byte v[2:3], v38, off offset:384
.LBB282_80:
	s_or_b64 exec, exec, s[0:1]
	v_or_b32_e32 v1, 0x200, v0
	v_cmp_gt_u32_e32 vcc, s23, v1
	s_and_saveexec_b64 s[0:1], vcc
	s_cbranch_execz .LBB282_82
; %bb.81:
	s_waitcnt lgkmcnt(14)
	global_store_byte v[2:3], v37, off offset:512
.LBB282_82:
	s_or_b64 exec, exec, s[0:1]
	v_or_b32_e32 v1, 0x280, v0
	v_cmp_gt_u32_e32 vcc, s23, v1
	s_and_saveexec_b64 s[0:1], vcc
	s_cbranch_execz .LBB282_84
; %bb.83:
	s_waitcnt lgkmcnt(14)
	global_store_byte v[2:3], v36, off offset:640
.LBB282_84:
	s_or_b64 exec, exec, s[0:1]
	v_or_b32_e32 v1, 0x300, v0
	v_cmp_gt_u32_e32 vcc, s23, v1
	s_and_saveexec_b64 s[0:1], vcc
	s_cbranch_execz .LBB282_86
; %bb.85:
	s_waitcnt lgkmcnt(14)
	global_store_byte v[2:3], v35, off offset:768
.LBB282_86:
	s_or_b64 exec, exec, s[0:1]
	v_or_b32_e32 v1, 0x380, v0
	v_cmp_gt_u32_e32 vcc, s23, v1
	s_and_saveexec_b64 s[0:1], vcc
	s_cbranch_execz .LBB282_88
; %bb.87:
	s_waitcnt lgkmcnt(14)
	global_store_byte v[2:3], v34, off offset:896
.LBB282_88:
	s_or_b64 exec, exec, s[0:1]
	v_or_b32_e32 v1, 0x400, v0
	v_cmp_gt_u32_e32 vcc, s23, v1
	s_and_saveexec_b64 s[0:1], vcc
	s_cbranch_execz .LBB282_90
; %bb.89:
	s_waitcnt lgkmcnt(14)
	global_store_byte v[2:3], v33, off offset:1024
.LBB282_90:
	s_or_b64 exec, exec, s[0:1]
	v_or_b32_e32 v1, 0x480, v0
	v_cmp_gt_u32_e32 vcc, s23, v1
	s_and_saveexec_b64 s[0:1], vcc
	s_cbranch_execz .LBB282_92
; %bb.91:
	s_waitcnt lgkmcnt(13)
	global_store_byte v[2:3], v32, off offset:1152
.LBB282_92:
	s_or_b64 exec, exec, s[0:1]
	v_or_b32_e32 v1, 0x500, v0
	v_cmp_gt_u32_e32 vcc, s23, v1
	s_and_saveexec_b64 s[0:1], vcc
	s_cbranch_execz .LBB282_94
; %bb.93:
	s_waitcnt lgkmcnt(12)
	global_store_byte v[2:3], v31, off offset:1280
.LBB282_94:
	s_or_b64 exec, exec, s[0:1]
	v_or_b32_e32 v1, 0x580, v0
	v_cmp_gt_u32_e32 vcc, s23, v1
	s_and_saveexec_b64 s[0:1], vcc
	s_cbranch_execz .LBB282_96
; %bb.95:
	s_waitcnt lgkmcnt(11)
	global_store_byte v[2:3], v30, off offset:1408
.LBB282_96:
	s_or_b64 exec, exec, s[0:1]
	v_or_b32_e32 v1, 0x600, v0
	v_cmp_gt_u32_e32 vcc, s23, v1
	s_and_saveexec_b64 s[0:1], vcc
	s_cbranch_execz .LBB282_98
; %bb.97:
	s_waitcnt lgkmcnt(10)
	global_store_byte v[2:3], v29, off offset:1536
.LBB282_98:
	s_or_b64 exec, exec, s[0:1]
	v_or_b32_e32 v1, 0x680, v0
	v_cmp_gt_u32_e32 vcc, s23, v1
	s_and_saveexec_b64 s[0:1], vcc
	s_cbranch_execz .LBB282_100
; %bb.99:
	s_waitcnt lgkmcnt(9)
	global_store_byte v[2:3], v28, off offset:1664
.LBB282_100:
	s_or_b64 exec, exec, s[0:1]
	v_or_b32_e32 v1, 0x700, v0
	v_cmp_gt_u32_e32 vcc, s23, v1
	s_and_saveexec_b64 s[0:1], vcc
	s_cbranch_execz .LBB282_102
; %bb.101:
	s_waitcnt lgkmcnt(8)
	global_store_byte v[2:3], v27, off offset:1792
.LBB282_102:
	s_or_b64 exec, exec, s[0:1]
	v_or_b32_e32 v1, 0x780, v0
	v_cmp_gt_u32_e32 vcc, s23, v1
	s_and_saveexec_b64 s[0:1], vcc
	s_cbranch_execz .LBB282_104
; %bb.103:
	s_waitcnt lgkmcnt(7)
	global_store_byte v[2:3], v26, off offset:1920
.LBB282_104:
	s_or_b64 exec, exec, s[0:1]
	v_or_b32_e32 v1, 0x800, v0
	v_cmp_gt_u32_e32 vcc, s23, v1
	s_and_saveexec_b64 s[0:1], vcc
	s_cbranch_execz .LBB282_106
; %bb.105:
	s_waitcnt lgkmcnt(6)
	global_store_byte v[2:3], v25, off offset:2048
.LBB282_106:
	s_or_b64 exec, exec, s[0:1]
	v_or_b32_e32 v1, 0x880, v0
	v_cmp_gt_u32_e32 vcc, s23, v1
	s_and_saveexec_b64 s[0:1], vcc
	s_cbranch_execz .LBB282_108
; %bb.107:
	s_waitcnt lgkmcnt(5)
	global_store_byte v[2:3], v24, off offset:2176
.LBB282_108:
	s_or_b64 exec, exec, s[0:1]
	v_or_b32_e32 v1, 0x900, v0
	v_cmp_gt_u32_e32 vcc, s23, v1
	s_and_saveexec_b64 s[0:1], vcc
	s_cbranch_execz .LBB282_110
; %bb.109:
	s_waitcnt lgkmcnt(4)
	global_store_byte v[2:3], v23, off offset:2304
.LBB282_110:
	s_or_b64 exec, exec, s[0:1]
	v_or_b32_e32 v1, 0x980, v0
	v_cmp_gt_u32_e32 vcc, s23, v1
	s_and_saveexec_b64 s[0:1], vcc
	s_cbranch_execz .LBB282_112
; %bb.111:
	s_waitcnt lgkmcnt(3)
	global_store_byte v[2:3], v22, off offset:2432
.LBB282_112:
	s_or_b64 exec, exec, s[0:1]
	v_or_b32_e32 v1, 0xa00, v0
	v_cmp_gt_u32_e32 vcc, s23, v1
	s_and_saveexec_b64 s[0:1], vcc
	s_cbranch_execz .LBB282_114
; %bb.113:
	s_waitcnt lgkmcnt(2)
	global_store_byte v[2:3], v21, off offset:2560
.LBB282_114:
	s_or_b64 exec, exec, s[0:1]
	v_or_b32_e32 v1, 0xa80, v0
	v_cmp_gt_u32_e32 vcc, s23, v1
	s_and_saveexec_b64 s[0:1], vcc
	s_cbranch_execz .LBB282_116
; %bb.115:
	s_waitcnt lgkmcnt(1)
	global_store_byte v[2:3], v20, off offset:2688
.LBB282_116:
	s_or_b64 exec, exec, s[0:1]
	v_or_b32_e32 v1, 0xb00, v0
	v_cmp_gt_u32_e64 s[0:1], s23, v1
	s_branch .LBB282_119
.LBB282_117:
	s_mov_b64 s[0:1], 0
                                        ; implicit-def: $vgpr19
                                        ; implicit-def: $vgpr2_vgpr3
	s_cbranch_execz .LBB282_119
; %bb.118:
	v_or_b32_sdwa v1, v7, v17 dst_sel:DWORD dst_unused:UNUSED_PAD src0_sel:BYTE_3 src1_sel:DWORD
	v_or_b32_sdwa v2, v12, v18 dst_sel:WORD_1 dst_unused:UNUSED_PAD src0_sel:BYTE_0 src1_sel:DWORD
	ds_write_b8 v11, v13
	ds_write_b64 v11, v[4:5] offset:1
	v_or_b32_sdwa v4, v1, v2 dst_sel:DWORD dst_unused:UNUSED_PAD src0_sel:WORD_0 src1_sel:DWORD
	v_lshlrev_b16_e32 v2, 8, v15
	s_add_u32 s2, s4, s24
	v_or_b32_sdwa v1, v6, v16 dst_sel:DWORD dst_unused:UNUSED_PAD src0_sel:BYTE_0 src1_sel:DWORD
	v_or_b32_sdwa v2, v14, v2 dst_sel:WORD_1 dst_unused:UNUSED_PAD src0_sel:BYTE_0 src1_sel:DWORD
	s_mov_b32 s4, 0x2010007
	v_or_b32_sdwa v2, v1, v2 dst_sel:DWORD dst_unused:UNUSED_PAD src0_sel:WORD_0 src1_sel:DWORD
	v_perm_b32 v3, v10, v7, s4
	ds_write_b96 v11, v[2:4] offset:9
	ds_write_b8 v11, v8 offset:21
	ds_write_b8 v11, v9 offset:22
	s_waitcnt lgkmcnt(0)
	s_barrier
	ds_read_u8 v4, v0
	ds_read_u8 v5, v0 offset:128
	ds_read_u8 v6, v0 offset:256
	;; [unrolled: 1-line block ×22, first 2 shown]
	s_addc_u32 s3, s5, 0
	v_mov_b32_e32 v1, 0
	v_lshl_add_u64 v[2:3], s[2:3], 0, v[0:1]
	s_or_b64 s[0:1], s[0:1], exec
	s_waitcnt lgkmcnt(14)
	global_store_byte v0, v4, s[2:3]
	global_store_byte v0, v5, s[2:3] offset:128
	global_store_byte v0, v6, s[2:3] offset:256
	;; [unrolled: 1-line block ×8, first 2 shown]
	s_waitcnt lgkmcnt(13)
	global_store_byte v0, v13, s[2:3] offset:1152
	s_waitcnt lgkmcnt(12)
	global_store_byte v0, v14, s[2:3] offset:1280
	;; [unrolled: 2-line block ×13, first 2 shown]
.LBB282_119:
	s_and_saveexec_b64 s[2:3], s[0:1]
	s_cbranch_execnz .LBB282_121
; %bb.120:
	s_endpgm
.LBB282_121:
	s_waitcnt lgkmcnt(0)
	global_store_byte v[2:3], v19, off offset:2816
	s_endpgm
	.section	.rodata,"a",@progbits
	.p2align	6, 0x0
	.amdhsa_kernel _ZN7rocprim17ROCPRIM_400000_NS6detail17trampoline_kernelINS0_14default_configENS1_35adjacent_difference_config_selectorILb1EhEEZNS1_24adjacent_difference_implIS3_Lb1ELb0EPhS7_N6thrust23THRUST_200600_302600_NS5minusIhEEEE10hipError_tPvRmT2_T3_mT4_P12ihipStream_tbEUlT_E_NS1_11comp_targetILNS1_3genE5ELNS1_11target_archE942ELNS1_3gpuE9ELNS1_3repE0EEENS1_30default_config_static_selectorELNS0_4arch9wavefront6targetE1EEEvT1_
		.amdhsa_group_segment_fixed_size 2944
		.amdhsa_private_segment_fixed_size 0
		.amdhsa_kernarg_size 56
		.amdhsa_user_sgpr_count 2
		.amdhsa_user_sgpr_dispatch_ptr 0
		.amdhsa_user_sgpr_queue_ptr 0
		.amdhsa_user_sgpr_kernarg_segment_ptr 1
		.amdhsa_user_sgpr_dispatch_id 0
		.amdhsa_user_sgpr_kernarg_preload_length 0
		.amdhsa_user_sgpr_kernarg_preload_offset 0
		.amdhsa_user_sgpr_private_segment_size 0
		.amdhsa_uses_dynamic_stack 0
		.amdhsa_enable_private_segment 0
		.amdhsa_system_sgpr_workgroup_id_x 1
		.amdhsa_system_sgpr_workgroup_id_y 0
		.amdhsa_system_sgpr_workgroup_id_z 0
		.amdhsa_system_sgpr_workgroup_info 0
		.amdhsa_system_vgpr_workitem_id 0
		.amdhsa_next_free_vgpr 42
		.amdhsa_next_free_sgpr 27
		.amdhsa_accum_offset 44
		.amdhsa_reserve_vcc 1
		.amdhsa_float_round_mode_32 0
		.amdhsa_float_round_mode_16_64 0
		.amdhsa_float_denorm_mode_32 3
		.amdhsa_float_denorm_mode_16_64 3
		.amdhsa_dx10_clamp 1
		.amdhsa_ieee_mode 1
		.amdhsa_fp16_overflow 0
		.amdhsa_tg_split 0
		.amdhsa_exception_fp_ieee_invalid_op 0
		.amdhsa_exception_fp_denorm_src 0
		.amdhsa_exception_fp_ieee_div_zero 0
		.amdhsa_exception_fp_ieee_overflow 0
		.amdhsa_exception_fp_ieee_underflow 0
		.amdhsa_exception_fp_ieee_inexact 0
		.amdhsa_exception_int_div_zero 0
	.end_amdhsa_kernel
	.section	.text._ZN7rocprim17ROCPRIM_400000_NS6detail17trampoline_kernelINS0_14default_configENS1_35adjacent_difference_config_selectorILb1EhEEZNS1_24adjacent_difference_implIS3_Lb1ELb0EPhS7_N6thrust23THRUST_200600_302600_NS5minusIhEEEE10hipError_tPvRmT2_T3_mT4_P12ihipStream_tbEUlT_E_NS1_11comp_targetILNS1_3genE5ELNS1_11target_archE942ELNS1_3gpuE9ELNS1_3repE0EEENS1_30default_config_static_selectorELNS0_4arch9wavefront6targetE1EEEvT1_,"axG",@progbits,_ZN7rocprim17ROCPRIM_400000_NS6detail17trampoline_kernelINS0_14default_configENS1_35adjacent_difference_config_selectorILb1EhEEZNS1_24adjacent_difference_implIS3_Lb1ELb0EPhS7_N6thrust23THRUST_200600_302600_NS5minusIhEEEE10hipError_tPvRmT2_T3_mT4_P12ihipStream_tbEUlT_E_NS1_11comp_targetILNS1_3genE5ELNS1_11target_archE942ELNS1_3gpuE9ELNS1_3repE0EEENS1_30default_config_static_selectorELNS0_4arch9wavefront6targetE1EEEvT1_,comdat
.Lfunc_end282:
	.size	_ZN7rocprim17ROCPRIM_400000_NS6detail17trampoline_kernelINS0_14default_configENS1_35adjacent_difference_config_selectorILb1EhEEZNS1_24adjacent_difference_implIS3_Lb1ELb0EPhS7_N6thrust23THRUST_200600_302600_NS5minusIhEEEE10hipError_tPvRmT2_T3_mT4_P12ihipStream_tbEUlT_E_NS1_11comp_targetILNS1_3genE5ELNS1_11target_archE942ELNS1_3gpuE9ELNS1_3repE0EEENS1_30default_config_static_selectorELNS0_4arch9wavefront6targetE1EEEvT1_, .Lfunc_end282-_ZN7rocprim17ROCPRIM_400000_NS6detail17trampoline_kernelINS0_14default_configENS1_35adjacent_difference_config_selectorILb1EhEEZNS1_24adjacent_difference_implIS3_Lb1ELb0EPhS7_N6thrust23THRUST_200600_302600_NS5minusIhEEEE10hipError_tPvRmT2_T3_mT4_P12ihipStream_tbEUlT_E_NS1_11comp_targetILNS1_3genE5ELNS1_11target_archE942ELNS1_3gpuE9ELNS1_3repE0EEENS1_30default_config_static_selectorELNS0_4arch9wavefront6targetE1EEEvT1_
                                        ; -- End function
	.section	.AMDGPU.csdata,"",@progbits
; Kernel info:
; codeLenInByte = 5948
; NumSgprs: 33
; NumVgprs: 42
; NumAgprs: 0
; TotalNumVgprs: 42
; ScratchSize: 0
; MemoryBound: 0
; FloatMode: 240
; IeeeMode: 1
; LDSByteSize: 2944 bytes/workgroup (compile time only)
; SGPRBlocks: 4
; VGPRBlocks: 5
; NumSGPRsForWavesPerEU: 33
; NumVGPRsForWavesPerEU: 42
; AccumOffset: 44
; Occupancy: 8
; WaveLimiterHint : 1
; COMPUTE_PGM_RSRC2:SCRATCH_EN: 0
; COMPUTE_PGM_RSRC2:USER_SGPR: 2
; COMPUTE_PGM_RSRC2:TRAP_HANDLER: 0
; COMPUTE_PGM_RSRC2:TGID_X_EN: 1
; COMPUTE_PGM_RSRC2:TGID_Y_EN: 0
; COMPUTE_PGM_RSRC2:TGID_Z_EN: 0
; COMPUTE_PGM_RSRC2:TIDIG_COMP_CNT: 0
; COMPUTE_PGM_RSRC3_GFX90A:ACCUM_OFFSET: 10
; COMPUTE_PGM_RSRC3_GFX90A:TG_SPLIT: 0
	.section	.text._ZN7rocprim17ROCPRIM_400000_NS6detail17trampoline_kernelINS0_14default_configENS1_35adjacent_difference_config_selectorILb1EhEEZNS1_24adjacent_difference_implIS3_Lb1ELb0EPhS7_N6thrust23THRUST_200600_302600_NS5minusIhEEEE10hipError_tPvRmT2_T3_mT4_P12ihipStream_tbEUlT_E_NS1_11comp_targetILNS1_3genE4ELNS1_11target_archE910ELNS1_3gpuE8ELNS1_3repE0EEENS1_30default_config_static_selectorELNS0_4arch9wavefront6targetE1EEEvT1_,"axG",@progbits,_ZN7rocprim17ROCPRIM_400000_NS6detail17trampoline_kernelINS0_14default_configENS1_35adjacent_difference_config_selectorILb1EhEEZNS1_24adjacent_difference_implIS3_Lb1ELb0EPhS7_N6thrust23THRUST_200600_302600_NS5minusIhEEEE10hipError_tPvRmT2_T3_mT4_P12ihipStream_tbEUlT_E_NS1_11comp_targetILNS1_3genE4ELNS1_11target_archE910ELNS1_3gpuE8ELNS1_3repE0EEENS1_30default_config_static_selectorELNS0_4arch9wavefront6targetE1EEEvT1_,comdat
	.protected	_ZN7rocprim17ROCPRIM_400000_NS6detail17trampoline_kernelINS0_14default_configENS1_35adjacent_difference_config_selectorILb1EhEEZNS1_24adjacent_difference_implIS3_Lb1ELb0EPhS7_N6thrust23THRUST_200600_302600_NS5minusIhEEEE10hipError_tPvRmT2_T3_mT4_P12ihipStream_tbEUlT_E_NS1_11comp_targetILNS1_3genE4ELNS1_11target_archE910ELNS1_3gpuE8ELNS1_3repE0EEENS1_30default_config_static_selectorELNS0_4arch9wavefront6targetE1EEEvT1_ ; -- Begin function _ZN7rocprim17ROCPRIM_400000_NS6detail17trampoline_kernelINS0_14default_configENS1_35adjacent_difference_config_selectorILb1EhEEZNS1_24adjacent_difference_implIS3_Lb1ELb0EPhS7_N6thrust23THRUST_200600_302600_NS5minusIhEEEE10hipError_tPvRmT2_T3_mT4_P12ihipStream_tbEUlT_E_NS1_11comp_targetILNS1_3genE4ELNS1_11target_archE910ELNS1_3gpuE8ELNS1_3repE0EEENS1_30default_config_static_selectorELNS0_4arch9wavefront6targetE1EEEvT1_
	.globl	_ZN7rocprim17ROCPRIM_400000_NS6detail17trampoline_kernelINS0_14default_configENS1_35adjacent_difference_config_selectorILb1EhEEZNS1_24adjacent_difference_implIS3_Lb1ELb0EPhS7_N6thrust23THRUST_200600_302600_NS5minusIhEEEE10hipError_tPvRmT2_T3_mT4_P12ihipStream_tbEUlT_E_NS1_11comp_targetILNS1_3genE4ELNS1_11target_archE910ELNS1_3gpuE8ELNS1_3repE0EEENS1_30default_config_static_selectorELNS0_4arch9wavefront6targetE1EEEvT1_
	.p2align	8
	.type	_ZN7rocprim17ROCPRIM_400000_NS6detail17trampoline_kernelINS0_14default_configENS1_35adjacent_difference_config_selectorILb1EhEEZNS1_24adjacent_difference_implIS3_Lb1ELb0EPhS7_N6thrust23THRUST_200600_302600_NS5minusIhEEEE10hipError_tPvRmT2_T3_mT4_P12ihipStream_tbEUlT_E_NS1_11comp_targetILNS1_3genE4ELNS1_11target_archE910ELNS1_3gpuE8ELNS1_3repE0EEENS1_30default_config_static_selectorELNS0_4arch9wavefront6targetE1EEEvT1_,@function
_ZN7rocprim17ROCPRIM_400000_NS6detail17trampoline_kernelINS0_14default_configENS1_35adjacent_difference_config_selectorILb1EhEEZNS1_24adjacent_difference_implIS3_Lb1ELb0EPhS7_N6thrust23THRUST_200600_302600_NS5minusIhEEEE10hipError_tPvRmT2_T3_mT4_P12ihipStream_tbEUlT_E_NS1_11comp_targetILNS1_3genE4ELNS1_11target_archE910ELNS1_3gpuE8ELNS1_3repE0EEENS1_30default_config_static_selectorELNS0_4arch9wavefront6targetE1EEEvT1_: ; @_ZN7rocprim17ROCPRIM_400000_NS6detail17trampoline_kernelINS0_14default_configENS1_35adjacent_difference_config_selectorILb1EhEEZNS1_24adjacent_difference_implIS3_Lb1ELb0EPhS7_N6thrust23THRUST_200600_302600_NS5minusIhEEEE10hipError_tPvRmT2_T3_mT4_P12ihipStream_tbEUlT_E_NS1_11comp_targetILNS1_3genE4ELNS1_11target_archE910ELNS1_3gpuE8ELNS1_3repE0EEENS1_30default_config_static_selectorELNS0_4arch9wavefront6targetE1EEEvT1_
; %bb.0:
	.section	.rodata,"a",@progbits
	.p2align	6, 0x0
	.amdhsa_kernel _ZN7rocprim17ROCPRIM_400000_NS6detail17trampoline_kernelINS0_14default_configENS1_35adjacent_difference_config_selectorILb1EhEEZNS1_24adjacent_difference_implIS3_Lb1ELb0EPhS7_N6thrust23THRUST_200600_302600_NS5minusIhEEEE10hipError_tPvRmT2_T3_mT4_P12ihipStream_tbEUlT_E_NS1_11comp_targetILNS1_3genE4ELNS1_11target_archE910ELNS1_3gpuE8ELNS1_3repE0EEENS1_30default_config_static_selectorELNS0_4arch9wavefront6targetE1EEEvT1_
		.amdhsa_group_segment_fixed_size 0
		.amdhsa_private_segment_fixed_size 0
		.amdhsa_kernarg_size 56
		.amdhsa_user_sgpr_count 2
		.amdhsa_user_sgpr_dispatch_ptr 0
		.amdhsa_user_sgpr_queue_ptr 0
		.amdhsa_user_sgpr_kernarg_segment_ptr 1
		.amdhsa_user_sgpr_dispatch_id 0
		.amdhsa_user_sgpr_kernarg_preload_length 0
		.amdhsa_user_sgpr_kernarg_preload_offset 0
		.amdhsa_user_sgpr_private_segment_size 0
		.amdhsa_uses_dynamic_stack 0
		.amdhsa_enable_private_segment 0
		.amdhsa_system_sgpr_workgroup_id_x 1
		.amdhsa_system_sgpr_workgroup_id_y 0
		.amdhsa_system_sgpr_workgroup_id_z 0
		.amdhsa_system_sgpr_workgroup_info 0
		.amdhsa_system_vgpr_workitem_id 0
		.amdhsa_next_free_vgpr 1
		.amdhsa_next_free_sgpr 0
		.amdhsa_accum_offset 4
		.amdhsa_reserve_vcc 0
		.amdhsa_float_round_mode_32 0
		.amdhsa_float_round_mode_16_64 0
		.amdhsa_float_denorm_mode_32 3
		.amdhsa_float_denorm_mode_16_64 3
		.amdhsa_dx10_clamp 1
		.amdhsa_ieee_mode 1
		.amdhsa_fp16_overflow 0
		.amdhsa_tg_split 0
		.amdhsa_exception_fp_ieee_invalid_op 0
		.amdhsa_exception_fp_denorm_src 0
		.amdhsa_exception_fp_ieee_div_zero 0
		.amdhsa_exception_fp_ieee_overflow 0
		.amdhsa_exception_fp_ieee_underflow 0
		.amdhsa_exception_fp_ieee_inexact 0
		.amdhsa_exception_int_div_zero 0
	.end_amdhsa_kernel
	.section	.text._ZN7rocprim17ROCPRIM_400000_NS6detail17trampoline_kernelINS0_14default_configENS1_35adjacent_difference_config_selectorILb1EhEEZNS1_24adjacent_difference_implIS3_Lb1ELb0EPhS7_N6thrust23THRUST_200600_302600_NS5minusIhEEEE10hipError_tPvRmT2_T3_mT4_P12ihipStream_tbEUlT_E_NS1_11comp_targetILNS1_3genE4ELNS1_11target_archE910ELNS1_3gpuE8ELNS1_3repE0EEENS1_30default_config_static_selectorELNS0_4arch9wavefront6targetE1EEEvT1_,"axG",@progbits,_ZN7rocprim17ROCPRIM_400000_NS6detail17trampoline_kernelINS0_14default_configENS1_35adjacent_difference_config_selectorILb1EhEEZNS1_24adjacent_difference_implIS3_Lb1ELb0EPhS7_N6thrust23THRUST_200600_302600_NS5minusIhEEEE10hipError_tPvRmT2_T3_mT4_P12ihipStream_tbEUlT_E_NS1_11comp_targetILNS1_3genE4ELNS1_11target_archE910ELNS1_3gpuE8ELNS1_3repE0EEENS1_30default_config_static_selectorELNS0_4arch9wavefront6targetE1EEEvT1_,comdat
.Lfunc_end283:
	.size	_ZN7rocprim17ROCPRIM_400000_NS6detail17trampoline_kernelINS0_14default_configENS1_35adjacent_difference_config_selectorILb1EhEEZNS1_24adjacent_difference_implIS3_Lb1ELb0EPhS7_N6thrust23THRUST_200600_302600_NS5minusIhEEEE10hipError_tPvRmT2_T3_mT4_P12ihipStream_tbEUlT_E_NS1_11comp_targetILNS1_3genE4ELNS1_11target_archE910ELNS1_3gpuE8ELNS1_3repE0EEENS1_30default_config_static_selectorELNS0_4arch9wavefront6targetE1EEEvT1_, .Lfunc_end283-_ZN7rocprim17ROCPRIM_400000_NS6detail17trampoline_kernelINS0_14default_configENS1_35adjacent_difference_config_selectorILb1EhEEZNS1_24adjacent_difference_implIS3_Lb1ELb0EPhS7_N6thrust23THRUST_200600_302600_NS5minusIhEEEE10hipError_tPvRmT2_T3_mT4_P12ihipStream_tbEUlT_E_NS1_11comp_targetILNS1_3genE4ELNS1_11target_archE910ELNS1_3gpuE8ELNS1_3repE0EEENS1_30default_config_static_selectorELNS0_4arch9wavefront6targetE1EEEvT1_
                                        ; -- End function
	.section	.AMDGPU.csdata,"",@progbits
; Kernel info:
; codeLenInByte = 0
; NumSgprs: 6
; NumVgprs: 0
; NumAgprs: 0
; TotalNumVgprs: 0
; ScratchSize: 0
; MemoryBound: 0
; FloatMode: 240
; IeeeMode: 1
; LDSByteSize: 0 bytes/workgroup (compile time only)
; SGPRBlocks: 0
; VGPRBlocks: 0
; NumSGPRsForWavesPerEU: 6
; NumVGPRsForWavesPerEU: 1
; AccumOffset: 4
; Occupancy: 8
; WaveLimiterHint : 0
; COMPUTE_PGM_RSRC2:SCRATCH_EN: 0
; COMPUTE_PGM_RSRC2:USER_SGPR: 2
; COMPUTE_PGM_RSRC2:TRAP_HANDLER: 0
; COMPUTE_PGM_RSRC2:TGID_X_EN: 1
; COMPUTE_PGM_RSRC2:TGID_Y_EN: 0
; COMPUTE_PGM_RSRC2:TGID_Z_EN: 0
; COMPUTE_PGM_RSRC2:TIDIG_COMP_CNT: 0
; COMPUTE_PGM_RSRC3_GFX90A:ACCUM_OFFSET: 0
; COMPUTE_PGM_RSRC3_GFX90A:TG_SPLIT: 0
	.section	.text._ZN7rocprim17ROCPRIM_400000_NS6detail17trampoline_kernelINS0_14default_configENS1_35adjacent_difference_config_selectorILb1EhEEZNS1_24adjacent_difference_implIS3_Lb1ELb0EPhS7_N6thrust23THRUST_200600_302600_NS5minusIhEEEE10hipError_tPvRmT2_T3_mT4_P12ihipStream_tbEUlT_E_NS1_11comp_targetILNS1_3genE3ELNS1_11target_archE908ELNS1_3gpuE7ELNS1_3repE0EEENS1_30default_config_static_selectorELNS0_4arch9wavefront6targetE1EEEvT1_,"axG",@progbits,_ZN7rocprim17ROCPRIM_400000_NS6detail17trampoline_kernelINS0_14default_configENS1_35adjacent_difference_config_selectorILb1EhEEZNS1_24adjacent_difference_implIS3_Lb1ELb0EPhS7_N6thrust23THRUST_200600_302600_NS5minusIhEEEE10hipError_tPvRmT2_T3_mT4_P12ihipStream_tbEUlT_E_NS1_11comp_targetILNS1_3genE3ELNS1_11target_archE908ELNS1_3gpuE7ELNS1_3repE0EEENS1_30default_config_static_selectorELNS0_4arch9wavefront6targetE1EEEvT1_,comdat
	.protected	_ZN7rocprim17ROCPRIM_400000_NS6detail17trampoline_kernelINS0_14default_configENS1_35adjacent_difference_config_selectorILb1EhEEZNS1_24adjacent_difference_implIS3_Lb1ELb0EPhS7_N6thrust23THRUST_200600_302600_NS5minusIhEEEE10hipError_tPvRmT2_T3_mT4_P12ihipStream_tbEUlT_E_NS1_11comp_targetILNS1_3genE3ELNS1_11target_archE908ELNS1_3gpuE7ELNS1_3repE0EEENS1_30default_config_static_selectorELNS0_4arch9wavefront6targetE1EEEvT1_ ; -- Begin function _ZN7rocprim17ROCPRIM_400000_NS6detail17trampoline_kernelINS0_14default_configENS1_35adjacent_difference_config_selectorILb1EhEEZNS1_24adjacent_difference_implIS3_Lb1ELb0EPhS7_N6thrust23THRUST_200600_302600_NS5minusIhEEEE10hipError_tPvRmT2_T3_mT4_P12ihipStream_tbEUlT_E_NS1_11comp_targetILNS1_3genE3ELNS1_11target_archE908ELNS1_3gpuE7ELNS1_3repE0EEENS1_30default_config_static_selectorELNS0_4arch9wavefront6targetE1EEEvT1_
	.globl	_ZN7rocprim17ROCPRIM_400000_NS6detail17trampoline_kernelINS0_14default_configENS1_35adjacent_difference_config_selectorILb1EhEEZNS1_24adjacent_difference_implIS3_Lb1ELb0EPhS7_N6thrust23THRUST_200600_302600_NS5minusIhEEEE10hipError_tPvRmT2_T3_mT4_P12ihipStream_tbEUlT_E_NS1_11comp_targetILNS1_3genE3ELNS1_11target_archE908ELNS1_3gpuE7ELNS1_3repE0EEENS1_30default_config_static_selectorELNS0_4arch9wavefront6targetE1EEEvT1_
	.p2align	8
	.type	_ZN7rocprim17ROCPRIM_400000_NS6detail17trampoline_kernelINS0_14default_configENS1_35adjacent_difference_config_selectorILb1EhEEZNS1_24adjacent_difference_implIS3_Lb1ELb0EPhS7_N6thrust23THRUST_200600_302600_NS5minusIhEEEE10hipError_tPvRmT2_T3_mT4_P12ihipStream_tbEUlT_E_NS1_11comp_targetILNS1_3genE3ELNS1_11target_archE908ELNS1_3gpuE7ELNS1_3repE0EEENS1_30default_config_static_selectorELNS0_4arch9wavefront6targetE1EEEvT1_,@function
_ZN7rocprim17ROCPRIM_400000_NS6detail17trampoline_kernelINS0_14default_configENS1_35adjacent_difference_config_selectorILb1EhEEZNS1_24adjacent_difference_implIS3_Lb1ELb0EPhS7_N6thrust23THRUST_200600_302600_NS5minusIhEEEE10hipError_tPvRmT2_T3_mT4_P12ihipStream_tbEUlT_E_NS1_11comp_targetILNS1_3genE3ELNS1_11target_archE908ELNS1_3gpuE7ELNS1_3repE0EEENS1_30default_config_static_selectorELNS0_4arch9wavefront6targetE1EEEvT1_: ; @_ZN7rocprim17ROCPRIM_400000_NS6detail17trampoline_kernelINS0_14default_configENS1_35adjacent_difference_config_selectorILb1EhEEZNS1_24adjacent_difference_implIS3_Lb1ELb0EPhS7_N6thrust23THRUST_200600_302600_NS5minusIhEEEE10hipError_tPvRmT2_T3_mT4_P12ihipStream_tbEUlT_E_NS1_11comp_targetILNS1_3genE3ELNS1_11target_archE908ELNS1_3gpuE7ELNS1_3repE0EEENS1_30default_config_static_selectorELNS0_4arch9wavefront6targetE1EEEvT1_
; %bb.0:
	.section	.rodata,"a",@progbits
	.p2align	6, 0x0
	.amdhsa_kernel _ZN7rocprim17ROCPRIM_400000_NS6detail17trampoline_kernelINS0_14default_configENS1_35adjacent_difference_config_selectorILb1EhEEZNS1_24adjacent_difference_implIS3_Lb1ELb0EPhS7_N6thrust23THRUST_200600_302600_NS5minusIhEEEE10hipError_tPvRmT2_T3_mT4_P12ihipStream_tbEUlT_E_NS1_11comp_targetILNS1_3genE3ELNS1_11target_archE908ELNS1_3gpuE7ELNS1_3repE0EEENS1_30default_config_static_selectorELNS0_4arch9wavefront6targetE1EEEvT1_
		.amdhsa_group_segment_fixed_size 0
		.amdhsa_private_segment_fixed_size 0
		.amdhsa_kernarg_size 56
		.amdhsa_user_sgpr_count 2
		.amdhsa_user_sgpr_dispatch_ptr 0
		.amdhsa_user_sgpr_queue_ptr 0
		.amdhsa_user_sgpr_kernarg_segment_ptr 1
		.amdhsa_user_sgpr_dispatch_id 0
		.amdhsa_user_sgpr_kernarg_preload_length 0
		.amdhsa_user_sgpr_kernarg_preload_offset 0
		.amdhsa_user_sgpr_private_segment_size 0
		.amdhsa_uses_dynamic_stack 0
		.amdhsa_enable_private_segment 0
		.amdhsa_system_sgpr_workgroup_id_x 1
		.amdhsa_system_sgpr_workgroup_id_y 0
		.amdhsa_system_sgpr_workgroup_id_z 0
		.amdhsa_system_sgpr_workgroup_info 0
		.amdhsa_system_vgpr_workitem_id 0
		.amdhsa_next_free_vgpr 1
		.amdhsa_next_free_sgpr 0
		.amdhsa_accum_offset 4
		.amdhsa_reserve_vcc 0
		.amdhsa_float_round_mode_32 0
		.amdhsa_float_round_mode_16_64 0
		.amdhsa_float_denorm_mode_32 3
		.amdhsa_float_denorm_mode_16_64 3
		.amdhsa_dx10_clamp 1
		.amdhsa_ieee_mode 1
		.amdhsa_fp16_overflow 0
		.amdhsa_tg_split 0
		.amdhsa_exception_fp_ieee_invalid_op 0
		.amdhsa_exception_fp_denorm_src 0
		.amdhsa_exception_fp_ieee_div_zero 0
		.amdhsa_exception_fp_ieee_overflow 0
		.amdhsa_exception_fp_ieee_underflow 0
		.amdhsa_exception_fp_ieee_inexact 0
		.amdhsa_exception_int_div_zero 0
	.end_amdhsa_kernel
	.section	.text._ZN7rocprim17ROCPRIM_400000_NS6detail17trampoline_kernelINS0_14default_configENS1_35adjacent_difference_config_selectorILb1EhEEZNS1_24adjacent_difference_implIS3_Lb1ELb0EPhS7_N6thrust23THRUST_200600_302600_NS5minusIhEEEE10hipError_tPvRmT2_T3_mT4_P12ihipStream_tbEUlT_E_NS1_11comp_targetILNS1_3genE3ELNS1_11target_archE908ELNS1_3gpuE7ELNS1_3repE0EEENS1_30default_config_static_selectorELNS0_4arch9wavefront6targetE1EEEvT1_,"axG",@progbits,_ZN7rocprim17ROCPRIM_400000_NS6detail17trampoline_kernelINS0_14default_configENS1_35adjacent_difference_config_selectorILb1EhEEZNS1_24adjacent_difference_implIS3_Lb1ELb0EPhS7_N6thrust23THRUST_200600_302600_NS5minusIhEEEE10hipError_tPvRmT2_T3_mT4_P12ihipStream_tbEUlT_E_NS1_11comp_targetILNS1_3genE3ELNS1_11target_archE908ELNS1_3gpuE7ELNS1_3repE0EEENS1_30default_config_static_selectorELNS0_4arch9wavefront6targetE1EEEvT1_,comdat
.Lfunc_end284:
	.size	_ZN7rocprim17ROCPRIM_400000_NS6detail17trampoline_kernelINS0_14default_configENS1_35adjacent_difference_config_selectorILb1EhEEZNS1_24adjacent_difference_implIS3_Lb1ELb0EPhS7_N6thrust23THRUST_200600_302600_NS5minusIhEEEE10hipError_tPvRmT2_T3_mT4_P12ihipStream_tbEUlT_E_NS1_11comp_targetILNS1_3genE3ELNS1_11target_archE908ELNS1_3gpuE7ELNS1_3repE0EEENS1_30default_config_static_selectorELNS0_4arch9wavefront6targetE1EEEvT1_, .Lfunc_end284-_ZN7rocprim17ROCPRIM_400000_NS6detail17trampoline_kernelINS0_14default_configENS1_35adjacent_difference_config_selectorILb1EhEEZNS1_24adjacent_difference_implIS3_Lb1ELb0EPhS7_N6thrust23THRUST_200600_302600_NS5minusIhEEEE10hipError_tPvRmT2_T3_mT4_P12ihipStream_tbEUlT_E_NS1_11comp_targetILNS1_3genE3ELNS1_11target_archE908ELNS1_3gpuE7ELNS1_3repE0EEENS1_30default_config_static_selectorELNS0_4arch9wavefront6targetE1EEEvT1_
                                        ; -- End function
	.section	.AMDGPU.csdata,"",@progbits
; Kernel info:
; codeLenInByte = 0
; NumSgprs: 6
; NumVgprs: 0
; NumAgprs: 0
; TotalNumVgprs: 0
; ScratchSize: 0
; MemoryBound: 0
; FloatMode: 240
; IeeeMode: 1
; LDSByteSize: 0 bytes/workgroup (compile time only)
; SGPRBlocks: 0
; VGPRBlocks: 0
; NumSGPRsForWavesPerEU: 6
; NumVGPRsForWavesPerEU: 1
; AccumOffset: 4
; Occupancy: 8
; WaveLimiterHint : 0
; COMPUTE_PGM_RSRC2:SCRATCH_EN: 0
; COMPUTE_PGM_RSRC2:USER_SGPR: 2
; COMPUTE_PGM_RSRC2:TRAP_HANDLER: 0
; COMPUTE_PGM_RSRC2:TGID_X_EN: 1
; COMPUTE_PGM_RSRC2:TGID_Y_EN: 0
; COMPUTE_PGM_RSRC2:TGID_Z_EN: 0
; COMPUTE_PGM_RSRC2:TIDIG_COMP_CNT: 0
; COMPUTE_PGM_RSRC3_GFX90A:ACCUM_OFFSET: 0
; COMPUTE_PGM_RSRC3_GFX90A:TG_SPLIT: 0
	.section	.text._ZN7rocprim17ROCPRIM_400000_NS6detail17trampoline_kernelINS0_14default_configENS1_35adjacent_difference_config_selectorILb1EhEEZNS1_24adjacent_difference_implIS3_Lb1ELb0EPhS7_N6thrust23THRUST_200600_302600_NS5minusIhEEEE10hipError_tPvRmT2_T3_mT4_P12ihipStream_tbEUlT_E_NS1_11comp_targetILNS1_3genE2ELNS1_11target_archE906ELNS1_3gpuE6ELNS1_3repE0EEENS1_30default_config_static_selectorELNS0_4arch9wavefront6targetE1EEEvT1_,"axG",@progbits,_ZN7rocprim17ROCPRIM_400000_NS6detail17trampoline_kernelINS0_14default_configENS1_35adjacent_difference_config_selectorILb1EhEEZNS1_24adjacent_difference_implIS3_Lb1ELb0EPhS7_N6thrust23THRUST_200600_302600_NS5minusIhEEEE10hipError_tPvRmT2_T3_mT4_P12ihipStream_tbEUlT_E_NS1_11comp_targetILNS1_3genE2ELNS1_11target_archE906ELNS1_3gpuE6ELNS1_3repE0EEENS1_30default_config_static_selectorELNS0_4arch9wavefront6targetE1EEEvT1_,comdat
	.protected	_ZN7rocprim17ROCPRIM_400000_NS6detail17trampoline_kernelINS0_14default_configENS1_35adjacent_difference_config_selectorILb1EhEEZNS1_24adjacent_difference_implIS3_Lb1ELb0EPhS7_N6thrust23THRUST_200600_302600_NS5minusIhEEEE10hipError_tPvRmT2_T3_mT4_P12ihipStream_tbEUlT_E_NS1_11comp_targetILNS1_3genE2ELNS1_11target_archE906ELNS1_3gpuE6ELNS1_3repE0EEENS1_30default_config_static_selectorELNS0_4arch9wavefront6targetE1EEEvT1_ ; -- Begin function _ZN7rocprim17ROCPRIM_400000_NS6detail17trampoline_kernelINS0_14default_configENS1_35adjacent_difference_config_selectorILb1EhEEZNS1_24adjacent_difference_implIS3_Lb1ELb0EPhS7_N6thrust23THRUST_200600_302600_NS5minusIhEEEE10hipError_tPvRmT2_T3_mT4_P12ihipStream_tbEUlT_E_NS1_11comp_targetILNS1_3genE2ELNS1_11target_archE906ELNS1_3gpuE6ELNS1_3repE0EEENS1_30default_config_static_selectorELNS0_4arch9wavefront6targetE1EEEvT1_
	.globl	_ZN7rocprim17ROCPRIM_400000_NS6detail17trampoline_kernelINS0_14default_configENS1_35adjacent_difference_config_selectorILb1EhEEZNS1_24adjacent_difference_implIS3_Lb1ELb0EPhS7_N6thrust23THRUST_200600_302600_NS5minusIhEEEE10hipError_tPvRmT2_T3_mT4_P12ihipStream_tbEUlT_E_NS1_11comp_targetILNS1_3genE2ELNS1_11target_archE906ELNS1_3gpuE6ELNS1_3repE0EEENS1_30default_config_static_selectorELNS0_4arch9wavefront6targetE1EEEvT1_
	.p2align	8
	.type	_ZN7rocprim17ROCPRIM_400000_NS6detail17trampoline_kernelINS0_14default_configENS1_35adjacent_difference_config_selectorILb1EhEEZNS1_24adjacent_difference_implIS3_Lb1ELb0EPhS7_N6thrust23THRUST_200600_302600_NS5minusIhEEEE10hipError_tPvRmT2_T3_mT4_P12ihipStream_tbEUlT_E_NS1_11comp_targetILNS1_3genE2ELNS1_11target_archE906ELNS1_3gpuE6ELNS1_3repE0EEENS1_30default_config_static_selectorELNS0_4arch9wavefront6targetE1EEEvT1_,@function
_ZN7rocprim17ROCPRIM_400000_NS6detail17trampoline_kernelINS0_14default_configENS1_35adjacent_difference_config_selectorILb1EhEEZNS1_24adjacent_difference_implIS3_Lb1ELb0EPhS7_N6thrust23THRUST_200600_302600_NS5minusIhEEEE10hipError_tPvRmT2_T3_mT4_P12ihipStream_tbEUlT_E_NS1_11comp_targetILNS1_3genE2ELNS1_11target_archE906ELNS1_3gpuE6ELNS1_3repE0EEENS1_30default_config_static_selectorELNS0_4arch9wavefront6targetE1EEEvT1_: ; @_ZN7rocprim17ROCPRIM_400000_NS6detail17trampoline_kernelINS0_14default_configENS1_35adjacent_difference_config_selectorILb1EhEEZNS1_24adjacent_difference_implIS3_Lb1ELb0EPhS7_N6thrust23THRUST_200600_302600_NS5minusIhEEEE10hipError_tPvRmT2_T3_mT4_P12ihipStream_tbEUlT_E_NS1_11comp_targetILNS1_3genE2ELNS1_11target_archE906ELNS1_3gpuE6ELNS1_3repE0EEENS1_30default_config_static_selectorELNS0_4arch9wavefront6targetE1EEEvT1_
; %bb.0:
	.section	.rodata,"a",@progbits
	.p2align	6, 0x0
	.amdhsa_kernel _ZN7rocprim17ROCPRIM_400000_NS6detail17trampoline_kernelINS0_14default_configENS1_35adjacent_difference_config_selectorILb1EhEEZNS1_24adjacent_difference_implIS3_Lb1ELb0EPhS7_N6thrust23THRUST_200600_302600_NS5minusIhEEEE10hipError_tPvRmT2_T3_mT4_P12ihipStream_tbEUlT_E_NS1_11comp_targetILNS1_3genE2ELNS1_11target_archE906ELNS1_3gpuE6ELNS1_3repE0EEENS1_30default_config_static_selectorELNS0_4arch9wavefront6targetE1EEEvT1_
		.amdhsa_group_segment_fixed_size 0
		.amdhsa_private_segment_fixed_size 0
		.amdhsa_kernarg_size 56
		.amdhsa_user_sgpr_count 2
		.amdhsa_user_sgpr_dispatch_ptr 0
		.amdhsa_user_sgpr_queue_ptr 0
		.amdhsa_user_sgpr_kernarg_segment_ptr 1
		.amdhsa_user_sgpr_dispatch_id 0
		.amdhsa_user_sgpr_kernarg_preload_length 0
		.amdhsa_user_sgpr_kernarg_preload_offset 0
		.amdhsa_user_sgpr_private_segment_size 0
		.amdhsa_uses_dynamic_stack 0
		.amdhsa_enable_private_segment 0
		.amdhsa_system_sgpr_workgroup_id_x 1
		.amdhsa_system_sgpr_workgroup_id_y 0
		.amdhsa_system_sgpr_workgroup_id_z 0
		.amdhsa_system_sgpr_workgroup_info 0
		.amdhsa_system_vgpr_workitem_id 0
		.amdhsa_next_free_vgpr 1
		.amdhsa_next_free_sgpr 0
		.amdhsa_accum_offset 4
		.amdhsa_reserve_vcc 0
		.amdhsa_float_round_mode_32 0
		.amdhsa_float_round_mode_16_64 0
		.amdhsa_float_denorm_mode_32 3
		.amdhsa_float_denorm_mode_16_64 3
		.amdhsa_dx10_clamp 1
		.amdhsa_ieee_mode 1
		.amdhsa_fp16_overflow 0
		.amdhsa_tg_split 0
		.amdhsa_exception_fp_ieee_invalid_op 0
		.amdhsa_exception_fp_denorm_src 0
		.amdhsa_exception_fp_ieee_div_zero 0
		.amdhsa_exception_fp_ieee_overflow 0
		.amdhsa_exception_fp_ieee_underflow 0
		.amdhsa_exception_fp_ieee_inexact 0
		.amdhsa_exception_int_div_zero 0
	.end_amdhsa_kernel
	.section	.text._ZN7rocprim17ROCPRIM_400000_NS6detail17trampoline_kernelINS0_14default_configENS1_35adjacent_difference_config_selectorILb1EhEEZNS1_24adjacent_difference_implIS3_Lb1ELb0EPhS7_N6thrust23THRUST_200600_302600_NS5minusIhEEEE10hipError_tPvRmT2_T3_mT4_P12ihipStream_tbEUlT_E_NS1_11comp_targetILNS1_3genE2ELNS1_11target_archE906ELNS1_3gpuE6ELNS1_3repE0EEENS1_30default_config_static_selectorELNS0_4arch9wavefront6targetE1EEEvT1_,"axG",@progbits,_ZN7rocprim17ROCPRIM_400000_NS6detail17trampoline_kernelINS0_14default_configENS1_35adjacent_difference_config_selectorILb1EhEEZNS1_24adjacent_difference_implIS3_Lb1ELb0EPhS7_N6thrust23THRUST_200600_302600_NS5minusIhEEEE10hipError_tPvRmT2_T3_mT4_P12ihipStream_tbEUlT_E_NS1_11comp_targetILNS1_3genE2ELNS1_11target_archE906ELNS1_3gpuE6ELNS1_3repE0EEENS1_30default_config_static_selectorELNS0_4arch9wavefront6targetE1EEEvT1_,comdat
.Lfunc_end285:
	.size	_ZN7rocprim17ROCPRIM_400000_NS6detail17trampoline_kernelINS0_14default_configENS1_35adjacent_difference_config_selectorILb1EhEEZNS1_24adjacent_difference_implIS3_Lb1ELb0EPhS7_N6thrust23THRUST_200600_302600_NS5minusIhEEEE10hipError_tPvRmT2_T3_mT4_P12ihipStream_tbEUlT_E_NS1_11comp_targetILNS1_3genE2ELNS1_11target_archE906ELNS1_3gpuE6ELNS1_3repE0EEENS1_30default_config_static_selectorELNS0_4arch9wavefront6targetE1EEEvT1_, .Lfunc_end285-_ZN7rocprim17ROCPRIM_400000_NS6detail17trampoline_kernelINS0_14default_configENS1_35adjacent_difference_config_selectorILb1EhEEZNS1_24adjacent_difference_implIS3_Lb1ELb0EPhS7_N6thrust23THRUST_200600_302600_NS5minusIhEEEE10hipError_tPvRmT2_T3_mT4_P12ihipStream_tbEUlT_E_NS1_11comp_targetILNS1_3genE2ELNS1_11target_archE906ELNS1_3gpuE6ELNS1_3repE0EEENS1_30default_config_static_selectorELNS0_4arch9wavefront6targetE1EEEvT1_
                                        ; -- End function
	.section	.AMDGPU.csdata,"",@progbits
; Kernel info:
; codeLenInByte = 0
; NumSgprs: 6
; NumVgprs: 0
; NumAgprs: 0
; TotalNumVgprs: 0
; ScratchSize: 0
; MemoryBound: 0
; FloatMode: 240
; IeeeMode: 1
; LDSByteSize: 0 bytes/workgroup (compile time only)
; SGPRBlocks: 0
; VGPRBlocks: 0
; NumSGPRsForWavesPerEU: 6
; NumVGPRsForWavesPerEU: 1
; AccumOffset: 4
; Occupancy: 8
; WaveLimiterHint : 0
; COMPUTE_PGM_RSRC2:SCRATCH_EN: 0
; COMPUTE_PGM_RSRC2:USER_SGPR: 2
; COMPUTE_PGM_RSRC2:TRAP_HANDLER: 0
; COMPUTE_PGM_RSRC2:TGID_X_EN: 1
; COMPUTE_PGM_RSRC2:TGID_Y_EN: 0
; COMPUTE_PGM_RSRC2:TGID_Z_EN: 0
; COMPUTE_PGM_RSRC2:TIDIG_COMP_CNT: 0
; COMPUTE_PGM_RSRC3_GFX90A:ACCUM_OFFSET: 0
; COMPUTE_PGM_RSRC3_GFX90A:TG_SPLIT: 0
	.section	.text._ZN7rocprim17ROCPRIM_400000_NS6detail17trampoline_kernelINS0_14default_configENS1_35adjacent_difference_config_selectorILb1EhEEZNS1_24adjacent_difference_implIS3_Lb1ELb0EPhS7_N6thrust23THRUST_200600_302600_NS5minusIhEEEE10hipError_tPvRmT2_T3_mT4_P12ihipStream_tbEUlT_E_NS1_11comp_targetILNS1_3genE9ELNS1_11target_archE1100ELNS1_3gpuE3ELNS1_3repE0EEENS1_30default_config_static_selectorELNS0_4arch9wavefront6targetE1EEEvT1_,"axG",@progbits,_ZN7rocprim17ROCPRIM_400000_NS6detail17trampoline_kernelINS0_14default_configENS1_35adjacent_difference_config_selectorILb1EhEEZNS1_24adjacent_difference_implIS3_Lb1ELb0EPhS7_N6thrust23THRUST_200600_302600_NS5minusIhEEEE10hipError_tPvRmT2_T3_mT4_P12ihipStream_tbEUlT_E_NS1_11comp_targetILNS1_3genE9ELNS1_11target_archE1100ELNS1_3gpuE3ELNS1_3repE0EEENS1_30default_config_static_selectorELNS0_4arch9wavefront6targetE1EEEvT1_,comdat
	.protected	_ZN7rocprim17ROCPRIM_400000_NS6detail17trampoline_kernelINS0_14default_configENS1_35adjacent_difference_config_selectorILb1EhEEZNS1_24adjacent_difference_implIS3_Lb1ELb0EPhS7_N6thrust23THRUST_200600_302600_NS5minusIhEEEE10hipError_tPvRmT2_T3_mT4_P12ihipStream_tbEUlT_E_NS1_11comp_targetILNS1_3genE9ELNS1_11target_archE1100ELNS1_3gpuE3ELNS1_3repE0EEENS1_30default_config_static_selectorELNS0_4arch9wavefront6targetE1EEEvT1_ ; -- Begin function _ZN7rocprim17ROCPRIM_400000_NS6detail17trampoline_kernelINS0_14default_configENS1_35adjacent_difference_config_selectorILb1EhEEZNS1_24adjacent_difference_implIS3_Lb1ELb0EPhS7_N6thrust23THRUST_200600_302600_NS5minusIhEEEE10hipError_tPvRmT2_T3_mT4_P12ihipStream_tbEUlT_E_NS1_11comp_targetILNS1_3genE9ELNS1_11target_archE1100ELNS1_3gpuE3ELNS1_3repE0EEENS1_30default_config_static_selectorELNS0_4arch9wavefront6targetE1EEEvT1_
	.globl	_ZN7rocprim17ROCPRIM_400000_NS6detail17trampoline_kernelINS0_14default_configENS1_35adjacent_difference_config_selectorILb1EhEEZNS1_24adjacent_difference_implIS3_Lb1ELb0EPhS7_N6thrust23THRUST_200600_302600_NS5minusIhEEEE10hipError_tPvRmT2_T3_mT4_P12ihipStream_tbEUlT_E_NS1_11comp_targetILNS1_3genE9ELNS1_11target_archE1100ELNS1_3gpuE3ELNS1_3repE0EEENS1_30default_config_static_selectorELNS0_4arch9wavefront6targetE1EEEvT1_
	.p2align	8
	.type	_ZN7rocprim17ROCPRIM_400000_NS6detail17trampoline_kernelINS0_14default_configENS1_35adjacent_difference_config_selectorILb1EhEEZNS1_24adjacent_difference_implIS3_Lb1ELb0EPhS7_N6thrust23THRUST_200600_302600_NS5minusIhEEEE10hipError_tPvRmT2_T3_mT4_P12ihipStream_tbEUlT_E_NS1_11comp_targetILNS1_3genE9ELNS1_11target_archE1100ELNS1_3gpuE3ELNS1_3repE0EEENS1_30default_config_static_selectorELNS0_4arch9wavefront6targetE1EEEvT1_,@function
_ZN7rocprim17ROCPRIM_400000_NS6detail17trampoline_kernelINS0_14default_configENS1_35adjacent_difference_config_selectorILb1EhEEZNS1_24adjacent_difference_implIS3_Lb1ELb0EPhS7_N6thrust23THRUST_200600_302600_NS5minusIhEEEE10hipError_tPvRmT2_T3_mT4_P12ihipStream_tbEUlT_E_NS1_11comp_targetILNS1_3genE9ELNS1_11target_archE1100ELNS1_3gpuE3ELNS1_3repE0EEENS1_30default_config_static_selectorELNS0_4arch9wavefront6targetE1EEEvT1_: ; @_ZN7rocprim17ROCPRIM_400000_NS6detail17trampoline_kernelINS0_14default_configENS1_35adjacent_difference_config_selectorILb1EhEEZNS1_24adjacent_difference_implIS3_Lb1ELb0EPhS7_N6thrust23THRUST_200600_302600_NS5minusIhEEEE10hipError_tPvRmT2_T3_mT4_P12ihipStream_tbEUlT_E_NS1_11comp_targetILNS1_3genE9ELNS1_11target_archE1100ELNS1_3gpuE3ELNS1_3repE0EEENS1_30default_config_static_selectorELNS0_4arch9wavefront6targetE1EEEvT1_
; %bb.0:
	.section	.rodata,"a",@progbits
	.p2align	6, 0x0
	.amdhsa_kernel _ZN7rocprim17ROCPRIM_400000_NS6detail17trampoline_kernelINS0_14default_configENS1_35adjacent_difference_config_selectorILb1EhEEZNS1_24adjacent_difference_implIS3_Lb1ELb0EPhS7_N6thrust23THRUST_200600_302600_NS5minusIhEEEE10hipError_tPvRmT2_T3_mT4_P12ihipStream_tbEUlT_E_NS1_11comp_targetILNS1_3genE9ELNS1_11target_archE1100ELNS1_3gpuE3ELNS1_3repE0EEENS1_30default_config_static_selectorELNS0_4arch9wavefront6targetE1EEEvT1_
		.amdhsa_group_segment_fixed_size 0
		.amdhsa_private_segment_fixed_size 0
		.amdhsa_kernarg_size 56
		.amdhsa_user_sgpr_count 2
		.amdhsa_user_sgpr_dispatch_ptr 0
		.amdhsa_user_sgpr_queue_ptr 0
		.amdhsa_user_sgpr_kernarg_segment_ptr 1
		.amdhsa_user_sgpr_dispatch_id 0
		.amdhsa_user_sgpr_kernarg_preload_length 0
		.amdhsa_user_sgpr_kernarg_preload_offset 0
		.amdhsa_user_sgpr_private_segment_size 0
		.amdhsa_uses_dynamic_stack 0
		.amdhsa_enable_private_segment 0
		.amdhsa_system_sgpr_workgroup_id_x 1
		.amdhsa_system_sgpr_workgroup_id_y 0
		.amdhsa_system_sgpr_workgroup_id_z 0
		.amdhsa_system_sgpr_workgroup_info 0
		.amdhsa_system_vgpr_workitem_id 0
		.amdhsa_next_free_vgpr 1
		.amdhsa_next_free_sgpr 0
		.amdhsa_accum_offset 4
		.amdhsa_reserve_vcc 0
		.amdhsa_float_round_mode_32 0
		.amdhsa_float_round_mode_16_64 0
		.amdhsa_float_denorm_mode_32 3
		.amdhsa_float_denorm_mode_16_64 3
		.amdhsa_dx10_clamp 1
		.amdhsa_ieee_mode 1
		.amdhsa_fp16_overflow 0
		.amdhsa_tg_split 0
		.amdhsa_exception_fp_ieee_invalid_op 0
		.amdhsa_exception_fp_denorm_src 0
		.amdhsa_exception_fp_ieee_div_zero 0
		.amdhsa_exception_fp_ieee_overflow 0
		.amdhsa_exception_fp_ieee_underflow 0
		.amdhsa_exception_fp_ieee_inexact 0
		.amdhsa_exception_int_div_zero 0
	.end_amdhsa_kernel
	.section	.text._ZN7rocprim17ROCPRIM_400000_NS6detail17trampoline_kernelINS0_14default_configENS1_35adjacent_difference_config_selectorILb1EhEEZNS1_24adjacent_difference_implIS3_Lb1ELb0EPhS7_N6thrust23THRUST_200600_302600_NS5minusIhEEEE10hipError_tPvRmT2_T3_mT4_P12ihipStream_tbEUlT_E_NS1_11comp_targetILNS1_3genE9ELNS1_11target_archE1100ELNS1_3gpuE3ELNS1_3repE0EEENS1_30default_config_static_selectorELNS0_4arch9wavefront6targetE1EEEvT1_,"axG",@progbits,_ZN7rocprim17ROCPRIM_400000_NS6detail17trampoline_kernelINS0_14default_configENS1_35adjacent_difference_config_selectorILb1EhEEZNS1_24adjacent_difference_implIS3_Lb1ELb0EPhS7_N6thrust23THRUST_200600_302600_NS5minusIhEEEE10hipError_tPvRmT2_T3_mT4_P12ihipStream_tbEUlT_E_NS1_11comp_targetILNS1_3genE9ELNS1_11target_archE1100ELNS1_3gpuE3ELNS1_3repE0EEENS1_30default_config_static_selectorELNS0_4arch9wavefront6targetE1EEEvT1_,comdat
.Lfunc_end286:
	.size	_ZN7rocprim17ROCPRIM_400000_NS6detail17trampoline_kernelINS0_14default_configENS1_35adjacent_difference_config_selectorILb1EhEEZNS1_24adjacent_difference_implIS3_Lb1ELb0EPhS7_N6thrust23THRUST_200600_302600_NS5minusIhEEEE10hipError_tPvRmT2_T3_mT4_P12ihipStream_tbEUlT_E_NS1_11comp_targetILNS1_3genE9ELNS1_11target_archE1100ELNS1_3gpuE3ELNS1_3repE0EEENS1_30default_config_static_selectorELNS0_4arch9wavefront6targetE1EEEvT1_, .Lfunc_end286-_ZN7rocprim17ROCPRIM_400000_NS6detail17trampoline_kernelINS0_14default_configENS1_35adjacent_difference_config_selectorILb1EhEEZNS1_24adjacent_difference_implIS3_Lb1ELb0EPhS7_N6thrust23THRUST_200600_302600_NS5minusIhEEEE10hipError_tPvRmT2_T3_mT4_P12ihipStream_tbEUlT_E_NS1_11comp_targetILNS1_3genE9ELNS1_11target_archE1100ELNS1_3gpuE3ELNS1_3repE0EEENS1_30default_config_static_selectorELNS0_4arch9wavefront6targetE1EEEvT1_
                                        ; -- End function
	.section	.AMDGPU.csdata,"",@progbits
; Kernel info:
; codeLenInByte = 0
; NumSgprs: 6
; NumVgprs: 0
; NumAgprs: 0
; TotalNumVgprs: 0
; ScratchSize: 0
; MemoryBound: 0
; FloatMode: 240
; IeeeMode: 1
; LDSByteSize: 0 bytes/workgroup (compile time only)
; SGPRBlocks: 0
; VGPRBlocks: 0
; NumSGPRsForWavesPerEU: 6
; NumVGPRsForWavesPerEU: 1
; AccumOffset: 4
; Occupancy: 8
; WaveLimiterHint : 0
; COMPUTE_PGM_RSRC2:SCRATCH_EN: 0
; COMPUTE_PGM_RSRC2:USER_SGPR: 2
; COMPUTE_PGM_RSRC2:TRAP_HANDLER: 0
; COMPUTE_PGM_RSRC2:TGID_X_EN: 1
; COMPUTE_PGM_RSRC2:TGID_Y_EN: 0
; COMPUTE_PGM_RSRC2:TGID_Z_EN: 0
; COMPUTE_PGM_RSRC2:TIDIG_COMP_CNT: 0
; COMPUTE_PGM_RSRC3_GFX90A:ACCUM_OFFSET: 0
; COMPUTE_PGM_RSRC3_GFX90A:TG_SPLIT: 0
	.section	.text._ZN7rocprim17ROCPRIM_400000_NS6detail17trampoline_kernelINS0_14default_configENS1_35adjacent_difference_config_selectorILb1EhEEZNS1_24adjacent_difference_implIS3_Lb1ELb0EPhS7_N6thrust23THRUST_200600_302600_NS5minusIhEEEE10hipError_tPvRmT2_T3_mT4_P12ihipStream_tbEUlT_E_NS1_11comp_targetILNS1_3genE8ELNS1_11target_archE1030ELNS1_3gpuE2ELNS1_3repE0EEENS1_30default_config_static_selectorELNS0_4arch9wavefront6targetE1EEEvT1_,"axG",@progbits,_ZN7rocprim17ROCPRIM_400000_NS6detail17trampoline_kernelINS0_14default_configENS1_35adjacent_difference_config_selectorILb1EhEEZNS1_24adjacent_difference_implIS3_Lb1ELb0EPhS7_N6thrust23THRUST_200600_302600_NS5minusIhEEEE10hipError_tPvRmT2_T3_mT4_P12ihipStream_tbEUlT_E_NS1_11comp_targetILNS1_3genE8ELNS1_11target_archE1030ELNS1_3gpuE2ELNS1_3repE0EEENS1_30default_config_static_selectorELNS0_4arch9wavefront6targetE1EEEvT1_,comdat
	.protected	_ZN7rocprim17ROCPRIM_400000_NS6detail17trampoline_kernelINS0_14default_configENS1_35adjacent_difference_config_selectorILb1EhEEZNS1_24adjacent_difference_implIS3_Lb1ELb0EPhS7_N6thrust23THRUST_200600_302600_NS5minusIhEEEE10hipError_tPvRmT2_T3_mT4_P12ihipStream_tbEUlT_E_NS1_11comp_targetILNS1_3genE8ELNS1_11target_archE1030ELNS1_3gpuE2ELNS1_3repE0EEENS1_30default_config_static_selectorELNS0_4arch9wavefront6targetE1EEEvT1_ ; -- Begin function _ZN7rocprim17ROCPRIM_400000_NS6detail17trampoline_kernelINS0_14default_configENS1_35adjacent_difference_config_selectorILb1EhEEZNS1_24adjacent_difference_implIS3_Lb1ELb0EPhS7_N6thrust23THRUST_200600_302600_NS5minusIhEEEE10hipError_tPvRmT2_T3_mT4_P12ihipStream_tbEUlT_E_NS1_11comp_targetILNS1_3genE8ELNS1_11target_archE1030ELNS1_3gpuE2ELNS1_3repE0EEENS1_30default_config_static_selectorELNS0_4arch9wavefront6targetE1EEEvT1_
	.globl	_ZN7rocprim17ROCPRIM_400000_NS6detail17trampoline_kernelINS0_14default_configENS1_35adjacent_difference_config_selectorILb1EhEEZNS1_24adjacent_difference_implIS3_Lb1ELb0EPhS7_N6thrust23THRUST_200600_302600_NS5minusIhEEEE10hipError_tPvRmT2_T3_mT4_P12ihipStream_tbEUlT_E_NS1_11comp_targetILNS1_3genE8ELNS1_11target_archE1030ELNS1_3gpuE2ELNS1_3repE0EEENS1_30default_config_static_selectorELNS0_4arch9wavefront6targetE1EEEvT1_
	.p2align	8
	.type	_ZN7rocprim17ROCPRIM_400000_NS6detail17trampoline_kernelINS0_14default_configENS1_35adjacent_difference_config_selectorILb1EhEEZNS1_24adjacent_difference_implIS3_Lb1ELb0EPhS7_N6thrust23THRUST_200600_302600_NS5minusIhEEEE10hipError_tPvRmT2_T3_mT4_P12ihipStream_tbEUlT_E_NS1_11comp_targetILNS1_3genE8ELNS1_11target_archE1030ELNS1_3gpuE2ELNS1_3repE0EEENS1_30default_config_static_selectorELNS0_4arch9wavefront6targetE1EEEvT1_,@function
_ZN7rocprim17ROCPRIM_400000_NS6detail17trampoline_kernelINS0_14default_configENS1_35adjacent_difference_config_selectorILb1EhEEZNS1_24adjacent_difference_implIS3_Lb1ELb0EPhS7_N6thrust23THRUST_200600_302600_NS5minusIhEEEE10hipError_tPvRmT2_T3_mT4_P12ihipStream_tbEUlT_E_NS1_11comp_targetILNS1_3genE8ELNS1_11target_archE1030ELNS1_3gpuE2ELNS1_3repE0EEENS1_30default_config_static_selectorELNS0_4arch9wavefront6targetE1EEEvT1_: ; @_ZN7rocprim17ROCPRIM_400000_NS6detail17trampoline_kernelINS0_14default_configENS1_35adjacent_difference_config_selectorILb1EhEEZNS1_24adjacent_difference_implIS3_Lb1ELb0EPhS7_N6thrust23THRUST_200600_302600_NS5minusIhEEEE10hipError_tPvRmT2_T3_mT4_P12ihipStream_tbEUlT_E_NS1_11comp_targetILNS1_3genE8ELNS1_11target_archE1030ELNS1_3gpuE2ELNS1_3repE0EEENS1_30default_config_static_selectorELNS0_4arch9wavefront6targetE1EEEvT1_
; %bb.0:
	.section	.rodata,"a",@progbits
	.p2align	6, 0x0
	.amdhsa_kernel _ZN7rocprim17ROCPRIM_400000_NS6detail17trampoline_kernelINS0_14default_configENS1_35adjacent_difference_config_selectorILb1EhEEZNS1_24adjacent_difference_implIS3_Lb1ELb0EPhS7_N6thrust23THRUST_200600_302600_NS5minusIhEEEE10hipError_tPvRmT2_T3_mT4_P12ihipStream_tbEUlT_E_NS1_11comp_targetILNS1_3genE8ELNS1_11target_archE1030ELNS1_3gpuE2ELNS1_3repE0EEENS1_30default_config_static_selectorELNS0_4arch9wavefront6targetE1EEEvT1_
		.amdhsa_group_segment_fixed_size 0
		.amdhsa_private_segment_fixed_size 0
		.amdhsa_kernarg_size 56
		.amdhsa_user_sgpr_count 2
		.amdhsa_user_sgpr_dispatch_ptr 0
		.amdhsa_user_sgpr_queue_ptr 0
		.amdhsa_user_sgpr_kernarg_segment_ptr 1
		.amdhsa_user_sgpr_dispatch_id 0
		.amdhsa_user_sgpr_kernarg_preload_length 0
		.amdhsa_user_sgpr_kernarg_preload_offset 0
		.amdhsa_user_sgpr_private_segment_size 0
		.amdhsa_uses_dynamic_stack 0
		.amdhsa_enable_private_segment 0
		.amdhsa_system_sgpr_workgroup_id_x 1
		.amdhsa_system_sgpr_workgroup_id_y 0
		.amdhsa_system_sgpr_workgroup_id_z 0
		.amdhsa_system_sgpr_workgroup_info 0
		.amdhsa_system_vgpr_workitem_id 0
		.amdhsa_next_free_vgpr 1
		.amdhsa_next_free_sgpr 0
		.amdhsa_accum_offset 4
		.amdhsa_reserve_vcc 0
		.amdhsa_float_round_mode_32 0
		.amdhsa_float_round_mode_16_64 0
		.amdhsa_float_denorm_mode_32 3
		.amdhsa_float_denorm_mode_16_64 3
		.amdhsa_dx10_clamp 1
		.amdhsa_ieee_mode 1
		.amdhsa_fp16_overflow 0
		.amdhsa_tg_split 0
		.amdhsa_exception_fp_ieee_invalid_op 0
		.amdhsa_exception_fp_denorm_src 0
		.amdhsa_exception_fp_ieee_div_zero 0
		.amdhsa_exception_fp_ieee_overflow 0
		.amdhsa_exception_fp_ieee_underflow 0
		.amdhsa_exception_fp_ieee_inexact 0
		.amdhsa_exception_int_div_zero 0
	.end_amdhsa_kernel
	.section	.text._ZN7rocprim17ROCPRIM_400000_NS6detail17trampoline_kernelINS0_14default_configENS1_35adjacent_difference_config_selectorILb1EhEEZNS1_24adjacent_difference_implIS3_Lb1ELb0EPhS7_N6thrust23THRUST_200600_302600_NS5minusIhEEEE10hipError_tPvRmT2_T3_mT4_P12ihipStream_tbEUlT_E_NS1_11comp_targetILNS1_3genE8ELNS1_11target_archE1030ELNS1_3gpuE2ELNS1_3repE0EEENS1_30default_config_static_selectorELNS0_4arch9wavefront6targetE1EEEvT1_,"axG",@progbits,_ZN7rocprim17ROCPRIM_400000_NS6detail17trampoline_kernelINS0_14default_configENS1_35adjacent_difference_config_selectorILb1EhEEZNS1_24adjacent_difference_implIS3_Lb1ELb0EPhS7_N6thrust23THRUST_200600_302600_NS5minusIhEEEE10hipError_tPvRmT2_T3_mT4_P12ihipStream_tbEUlT_E_NS1_11comp_targetILNS1_3genE8ELNS1_11target_archE1030ELNS1_3gpuE2ELNS1_3repE0EEENS1_30default_config_static_selectorELNS0_4arch9wavefront6targetE1EEEvT1_,comdat
.Lfunc_end287:
	.size	_ZN7rocprim17ROCPRIM_400000_NS6detail17trampoline_kernelINS0_14default_configENS1_35adjacent_difference_config_selectorILb1EhEEZNS1_24adjacent_difference_implIS3_Lb1ELb0EPhS7_N6thrust23THRUST_200600_302600_NS5minusIhEEEE10hipError_tPvRmT2_T3_mT4_P12ihipStream_tbEUlT_E_NS1_11comp_targetILNS1_3genE8ELNS1_11target_archE1030ELNS1_3gpuE2ELNS1_3repE0EEENS1_30default_config_static_selectorELNS0_4arch9wavefront6targetE1EEEvT1_, .Lfunc_end287-_ZN7rocprim17ROCPRIM_400000_NS6detail17trampoline_kernelINS0_14default_configENS1_35adjacent_difference_config_selectorILb1EhEEZNS1_24adjacent_difference_implIS3_Lb1ELb0EPhS7_N6thrust23THRUST_200600_302600_NS5minusIhEEEE10hipError_tPvRmT2_T3_mT4_P12ihipStream_tbEUlT_E_NS1_11comp_targetILNS1_3genE8ELNS1_11target_archE1030ELNS1_3gpuE2ELNS1_3repE0EEENS1_30default_config_static_selectorELNS0_4arch9wavefront6targetE1EEEvT1_
                                        ; -- End function
	.section	.AMDGPU.csdata,"",@progbits
; Kernel info:
; codeLenInByte = 0
; NumSgprs: 6
; NumVgprs: 0
; NumAgprs: 0
; TotalNumVgprs: 0
; ScratchSize: 0
; MemoryBound: 0
; FloatMode: 240
; IeeeMode: 1
; LDSByteSize: 0 bytes/workgroup (compile time only)
; SGPRBlocks: 0
; VGPRBlocks: 0
; NumSGPRsForWavesPerEU: 6
; NumVGPRsForWavesPerEU: 1
; AccumOffset: 4
; Occupancy: 8
; WaveLimiterHint : 0
; COMPUTE_PGM_RSRC2:SCRATCH_EN: 0
; COMPUTE_PGM_RSRC2:USER_SGPR: 2
; COMPUTE_PGM_RSRC2:TRAP_HANDLER: 0
; COMPUTE_PGM_RSRC2:TGID_X_EN: 1
; COMPUTE_PGM_RSRC2:TGID_Y_EN: 0
; COMPUTE_PGM_RSRC2:TGID_Z_EN: 0
; COMPUTE_PGM_RSRC2:TIDIG_COMP_CNT: 0
; COMPUTE_PGM_RSRC3_GFX90A:ACCUM_OFFSET: 0
; COMPUTE_PGM_RSRC3_GFX90A:TG_SPLIT: 0
	.section	.text._ZN7rocprim17ROCPRIM_400000_NS6detail17trampoline_kernelINS0_14default_configENS1_35adjacent_difference_config_selectorILb0EhEEZNS1_24adjacent_difference_implIS3_Lb0ELb0EPhS7_N6thrust23THRUST_200600_302600_NS4plusIhEEEE10hipError_tPvRmT2_T3_mT4_P12ihipStream_tbEUlT_E_NS1_11comp_targetILNS1_3genE0ELNS1_11target_archE4294967295ELNS1_3gpuE0ELNS1_3repE0EEENS1_30default_config_static_selectorELNS0_4arch9wavefront6targetE1EEEvT1_,"axG",@progbits,_ZN7rocprim17ROCPRIM_400000_NS6detail17trampoline_kernelINS0_14default_configENS1_35adjacent_difference_config_selectorILb0EhEEZNS1_24adjacent_difference_implIS3_Lb0ELb0EPhS7_N6thrust23THRUST_200600_302600_NS4plusIhEEEE10hipError_tPvRmT2_T3_mT4_P12ihipStream_tbEUlT_E_NS1_11comp_targetILNS1_3genE0ELNS1_11target_archE4294967295ELNS1_3gpuE0ELNS1_3repE0EEENS1_30default_config_static_selectorELNS0_4arch9wavefront6targetE1EEEvT1_,comdat
	.protected	_ZN7rocprim17ROCPRIM_400000_NS6detail17trampoline_kernelINS0_14default_configENS1_35adjacent_difference_config_selectorILb0EhEEZNS1_24adjacent_difference_implIS3_Lb0ELb0EPhS7_N6thrust23THRUST_200600_302600_NS4plusIhEEEE10hipError_tPvRmT2_T3_mT4_P12ihipStream_tbEUlT_E_NS1_11comp_targetILNS1_3genE0ELNS1_11target_archE4294967295ELNS1_3gpuE0ELNS1_3repE0EEENS1_30default_config_static_selectorELNS0_4arch9wavefront6targetE1EEEvT1_ ; -- Begin function _ZN7rocprim17ROCPRIM_400000_NS6detail17trampoline_kernelINS0_14default_configENS1_35adjacent_difference_config_selectorILb0EhEEZNS1_24adjacent_difference_implIS3_Lb0ELb0EPhS7_N6thrust23THRUST_200600_302600_NS4plusIhEEEE10hipError_tPvRmT2_T3_mT4_P12ihipStream_tbEUlT_E_NS1_11comp_targetILNS1_3genE0ELNS1_11target_archE4294967295ELNS1_3gpuE0ELNS1_3repE0EEENS1_30default_config_static_selectorELNS0_4arch9wavefront6targetE1EEEvT1_
	.globl	_ZN7rocprim17ROCPRIM_400000_NS6detail17trampoline_kernelINS0_14default_configENS1_35adjacent_difference_config_selectorILb0EhEEZNS1_24adjacent_difference_implIS3_Lb0ELb0EPhS7_N6thrust23THRUST_200600_302600_NS4plusIhEEEE10hipError_tPvRmT2_T3_mT4_P12ihipStream_tbEUlT_E_NS1_11comp_targetILNS1_3genE0ELNS1_11target_archE4294967295ELNS1_3gpuE0ELNS1_3repE0EEENS1_30default_config_static_selectorELNS0_4arch9wavefront6targetE1EEEvT1_
	.p2align	8
	.type	_ZN7rocprim17ROCPRIM_400000_NS6detail17trampoline_kernelINS0_14default_configENS1_35adjacent_difference_config_selectorILb0EhEEZNS1_24adjacent_difference_implIS3_Lb0ELb0EPhS7_N6thrust23THRUST_200600_302600_NS4plusIhEEEE10hipError_tPvRmT2_T3_mT4_P12ihipStream_tbEUlT_E_NS1_11comp_targetILNS1_3genE0ELNS1_11target_archE4294967295ELNS1_3gpuE0ELNS1_3repE0EEENS1_30default_config_static_selectorELNS0_4arch9wavefront6targetE1EEEvT1_,@function
_ZN7rocprim17ROCPRIM_400000_NS6detail17trampoline_kernelINS0_14default_configENS1_35adjacent_difference_config_selectorILb0EhEEZNS1_24adjacent_difference_implIS3_Lb0ELb0EPhS7_N6thrust23THRUST_200600_302600_NS4plusIhEEEE10hipError_tPvRmT2_T3_mT4_P12ihipStream_tbEUlT_E_NS1_11comp_targetILNS1_3genE0ELNS1_11target_archE4294967295ELNS1_3gpuE0ELNS1_3repE0EEENS1_30default_config_static_selectorELNS0_4arch9wavefront6targetE1EEEvT1_: ; @_ZN7rocprim17ROCPRIM_400000_NS6detail17trampoline_kernelINS0_14default_configENS1_35adjacent_difference_config_selectorILb0EhEEZNS1_24adjacent_difference_implIS3_Lb0ELb0EPhS7_N6thrust23THRUST_200600_302600_NS4plusIhEEEE10hipError_tPvRmT2_T3_mT4_P12ihipStream_tbEUlT_E_NS1_11comp_targetILNS1_3genE0ELNS1_11target_archE4294967295ELNS1_3gpuE0ELNS1_3repE0EEENS1_30default_config_static_selectorELNS0_4arch9wavefront6targetE1EEEvT1_
; %bb.0:
	.section	.rodata,"a",@progbits
	.p2align	6, 0x0
	.amdhsa_kernel _ZN7rocprim17ROCPRIM_400000_NS6detail17trampoline_kernelINS0_14default_configENS1_35adjacent_difference_config_selectorILb0EhEEZNS1_24adjacent_difference_implIS3_Lb0ELb0EPhS7_N6thrust23THRUST_200600_302600_NS4plusIhEEEE10hipError_tPvRmT2_T3_mT4_P12ihipStream_tbEUlT_E_NS1_11comp_targetILNS1_3genE0ELNS1_11target_archE4294967295ELNS1_3gpuE0ELNS1_3repE0EEENS1_30default_config_static_selectorELNS0_4arch9wavefront6targetE1EEEvT1_
		.amdhsa_group_segment_fixed_size 0
		.amdhsa_private_segment_fixed_size 0
		.amdhsa_kernarg_size 56
		.amdhsa_user_sgpr_count 2
		.amdhsa_user_sgpr_dispatch_ptr 0
		.amdhsa_user_sgpr_queue_ptr 0
		.amdhsa_user_sgpr_kernarg_segment_ptr 1
		.amdhsa_user_sgpr_dispatch_id 0
		.amdhsa_user_sgpr_kernarg_preload_length 0
		.amdhsa_user_sgpr_kernarg_preload_offset 0
		.amdhsa_user_sgpr_private_segment_size 0
		.amdhsa_uses_dynamic_stack 0
		.amdhsa_enable_private_segment 0
		.amdhsa_system_sgpr_workgroup_id_x 1
		.amdhsa_system_sgpr_workgroup_id_y 0
		.amdhsa_system_sgpr_workgroup_id_z 0
		.amdhsa_system_sgpr_workgroup_info 0
		.amdhsa_system_vgpr_workitem_id 0
		.amdhsa_next_free_vgpr 1
		.amdhsa_next_free_sgpr 0
		.amdhsa_accum_offset 4
		.amdhsa_reserve_vcc 0
		.amdhsa_float_round_mode_32 0
		.amdhsa_float_round_mode_16_64 0
		.amdhsa_float_denorm_mode_32 3
		.amdhsa_float_denorm_mode_16_64 3
		.amdhsa_dx10_clamp 1
		.amdhsa_ieee_mode 1
		.amdhsa_fp16_overflow 0
		.amdhsa_tg_split 0
		.amdhsa_exception_fp_ieee_invalid_op 0
		.amdhsa_exception_fp_denorm_src 0
		.amdhsa_exception_fp_ieee_div_zero 0
		.amdhsa_exception_fp_ieee_overflow 0
		.amdhsa_exception_fp_ieee_underflow 0
		.amdhsa_exception_fp_ieee_inexact 0
		.amdhsa_exception_int_div_zero 0
	.end_amdhsa_kernel
	.section	.text._ZN7rocprim17ROCPRIM_400000_NS6detail17trampoline_kernelINS0_14default_configENS1_35adjacent_difference_config_selectorILb0EhEEZNS1_24adjacent_difference_implIS3_Lb0ELb0EPhS7_N6thrust23THRUST_200600_302600_NS4plusIhEEEE10hipError_tPvRmT2_T3_mT4_P12ihipStream_tbEUlT_E_NS1_11comp_targetILNS1_3genE0ELNS1_11target_archE4294967295ELNS1_3gpuE0ELNS1_3repE0EEENS1_30default_config_static_selectorELNS0_4arch9wavefront6targetE1EEEvT1_,"axG",@progbits,_ZN7rocprim17ROCPRIM_400000_NS6detail17trampoline_kernelINS0_14default_configENS1_35adjacent_difference_config_selectorILb0EhEEZNS1_24adjacent_difference_implIS3_Lb0ELb0EPhS7_N6thrust23THRUST_200600_302600_NS4plusIhEEEE10hipError_tPvRmT2_T3_mT4_P12ihipStream_tbEUlT_E_NS1_11comp_targetILNS1_3genE0ELNS1_11target_archE4294967295ELNS1_3gpuE0ELNS1_3repE0EEENS1_30default_config_static_selectorELNS0_4arch9wavefront6targetE1EEEvT1_,comdat
.Lfunc_end288:
	.size	_ZN7rocprim17ROCPRIM_400000_NS6detail17trampoline_kernelINS0_14default_configENS1_35adjacent_difference_config_selectorILb0EhEEZNS1_24adjacent_difference_implIS3_Lb0ELb0EPhS7_N6thrust23THRUST_200600_302600_NS4plusIhEEEE10hipError_tPvRmT2_T3_mT4_P12ihipStream_tbEUlT_E_NS1_11comp_targetILNS1_3genE0ELNS1_11target_archE4294967295ELNS1_3gpuE0ELNS1_3repE0EEENS1_30default_config_static_selectorELNS0_4arch9wavefront6targetE1EEEvT1_, .Lfunc_end288-_ZN7rocprim17ROCPRIM_400000_NS6detail17trampoline_kernelINS0_14default_configENS1_35adjacent_difference_config_selectorILb0EhEEZNS1_24adjacent_difference_implIS3_Lb0ELb0EPhS7_N6thrust23THRUST_200600_302600_NS4plusIhEEEE10hipError_tPvRmT2_T3_mT4_P12ihipStream_tbEUlT_E_NS1_11comp_targetILNS1_3genE0ELNS1_11target_archE4294967295ELNS1_3gpuE0ELNS1_3repE0EEENS1_30default_config_static_selectorELNS0_4arch9wavefront6targetE1EEEvT1_
                                        ; -- End function
	.section	.AMDGPU.csdata,"",@progbits
; Kernel info:
; codeLenInByte = 0
; NumSgprs: 6
; NumVgprs: 0
; NumAgprs: 0
; TotalNumVgprs: 0
; ScratchSize: 0
; MemoryBound: 0
; FloatMode: 240
; IeeeMode: 1
; LDSByteSize: 0 bytes/workgroup (compile time only)
; SGPRBlocks: 0
; VGPRBlocks: 0
; NumSGPRsForWavesPerEU: 6
; NumVGPRsForWavesPerEU: 1
; AccumOffset: 4
; Occupancy: 8
; WaveLimiterHint : 0
; COMPUTE_PGM_RSRC2:SCRATCH_EN: 0
; COMPUTE_PGM_RSRC2:USER_SGPR: 2
; COMPUTE_PGM_RSRC2:TRAP_HANDLER: 0
; COMPUTE_PGM_RSRC2:TGID_X_EN: 1
; COMPUTE_PGM_RSRC2:TGID_Y_EN: 0
; COMPUTE_PGM_RSRC2:TGID_Z_EN: 0
; COMPUTE_PGM_RSRC2:TIDIG_COMP_CNT: 0
; COMPUTE_PGM_RSRC3_GFX90A:ACCUM_OFFSET: 0
; COMPUTE_PGM_RSRC3_GFX90A:TG_SPLIT: 0
	.section	.text._ZN7rocprim17ROCPRIM_400000_NS6detail17trampoline_kernelINS0_14default_configENS1_35adjacent_difference_config_selectorILb0EhEEZNS1_24adjacent_difference_implIS3_Lb0ELb0EPhS7_N6thrust23THRUST_200600_302600_NS4plusIhEEEE10hipError_tPvRmT2_T3_mT4_P12ihipStream_tbEUlT_E_NS1_11comp_targetILNS1_3genE10ELNS1_11target_archE1201ELNS1_3gpuE5ELNS1_3repE0EEENS1_30default_config_static_selectorELNS0_4arch9wavefront6targetE1EEEvT1_,"axG",@progbits,_ZN7rocprim17ROCPRIM_400000_NS6detail17trampoline_kernelINS0_14default_configENS1_35adjacent_difference_config_selectorILb0EhEEZNS1_24adjacent_difference_implIS3_Lb0ELb0EPhS7_N6thrust23THRUST_200600_302600_NS4plusIhEEEE10hipError_tPvRmT2_T3_mT4_P12ihipStream_tbEUlT_E_NS1_11comp_targetILNS1_3genE10ELNS1_11target_archE1201ELNS1_3gpuE5ELNS1_3repE0EEENS1_30default_config_static_selectorELNS0_4arch9wavefront6targetE1EEEvT1_,comdat
	.protected	_ZN7rocprim17ROCPRIM_400000_NS6detail17trampoline_kernelINS0_14default_configENS1_35adjacent_difference_config_selectorILb0EhEEZNS1_24adjacent_difference_implIS3_Lb0ELb0EPhS7_N6thrust23THRUST_200600_302600_NS4plusIhEEEE10hipError_tPvRmT2_T3_mT4_P12ihipStream_tbEUlT_E_NS1_11comp_targetILNS1_3genE10ELNS1_11target_archE1201ELNS1_3gpuE5ELNS1_3repE0EEENS1_30default_config_static_selectorELNS0_4arch9wavefront6targetE1EEEvT1_ ; -- Begin function _ZN7rocprim17ROCPRIM_400000_NS6detail17trampoline_kernelINS0_14default_configENS1_35adjacent_difference_config_selectorILb0EhEEZNS1_24adjacent_difference_implIS3_Lb0ELb0EPhS7_N6thrust23THRUST_200600_302600_NS4plusIhEEEE10hipError_tPvRmT2_T3_mT4_P12ihipStream_tbEUlT_E_NS1_11comp_targetILNS1_3genE10ELNS1_11target_archE1201ELNS1_3gpuE5ELNS1_3repE0EEENS1_30default_config_static_selectorELNS0_4arch9wavefront6targetE1EEEvT1_
	.globl	_ZN7rocprim17ROCPRIM_400000_NS6detail17trampoline_kernelINS0_14default_configENS1_35adjacent_difference_config_selectorILb0EhEEZNS1_24adjacent_difference_implIS3_Lb0ELb0EPhS7_N6thrust23THRUST_200600_302600_NS4plusIhEEEE10hipError_tPvRmT2_T3_mT4_P12ihipStream_tbEUlT_E_NS1_11comp_targetILNS1_3genE10ELNS1_11target_archE1201ELNS1_3gpuE5ELNS1_3repE0EEENS1_30default_config_static_selectorELNS0_4arch9wavefront6targetE1EEEvT1_
	.p2align	8
	.type	_ZN7rocprim17ROCPRIM_400000_NS6detail17trampoline_kernelINS0_14default_configENS1_35adjacent_difference_config_selectorILb0EhEEZNS1_24adjacent_difference_implIS3_Lb0ELb0EPhS7_N6thrust23THRUST_200600_302600_NS4plusIhEEEE10hipError_tPvRmT2_T3_mT4_P12ihipStream_tbEUlT_E_NS1_11comp_targetILNS1_3genE10ELNS1_11target_archE1201ELNS1_3gpuE5ELNS1_3repE0EEENS1_30default_config_static_selectorELNS0_4arch9wavefront6targetE1EEEvT1_,@function
_ZN7rocprim17ROCPRIM_400000_NS6detail17trampoline_kernelINS0_14default_configENS1_35adjacent_difference_config_selectorILb0EhEEZNS1_24adjacent_difference_implIS3_Lb0ELb0EPhS7_N6thrust23THRUST_200600_302600_NS4plusIhEEEE10hipError_tPvRmT2_T3_mT4_P12ihipStream_tbEUlT_E_NS1_11comp_targetILNS1_3genE10ELNS1_11target_archE1201ELNS1_3gpuE5ELNS1_3repE0EEENS1_30default_config_static_selectorELNS0_4arch9wavefront6targetE1EEEvT1_: ; @_ZN7rocprim17ROCPRIM_400000_NS6detail17trampoline_kernelINS0_14default_configENS1_35adjacent_difference_config_selectorILb0EhEEZNS1_24adjacent_difference_implIS3_Lb0ELb0EPhS7_N6thrust23THRUST_200600_302600_NS4plusIhEEEE10hipError_tPvRmT2_T3_mT4_P12ihipStream_tbEUlT_E_NS1_11comp_targetILNS1_3genE10ELNS1_11target_archE1201ELNS1_3gpuE5ELNS1_3repE0EEENS1_30default_config_static_selectorELNS0_4arch9wavefront6targetE1EEEvT1_
; %bb.0:
	.section	.rodata,"a",@progbits
	.p2align	6, 0x0
	.amdhsa_kernel _ZN7rocprim17ROCPRIM_400000_NS6detail17trampoline_kernelINS0_14default_configENS1_35adjacent_difference_config_selectorILb0EhEEZNS1_24adjacent_difference_implIS3_Lb0ELb0EPhS7_N6thrust23THRUST_200600_302600_NS4plusIhEEEE10hipError_tPvRmT2_T3_mT4_P12ihipStream_tbEUlT_E_NS1_11comp_targetILNS1_3genE10ELNS1_11target_archE1201ELNS1_3gpuE5ELNS1_3repE0EEENS1_30default_config_static_selectorELNS0_4arch9wavefront6targetE1EEEvT1_
		.amdhsa_group_segment_fixed_size 0
		.amdhsa_private_segment_fixed_size 0
		.amdhsa_kernarg_size 56
		.amdhsa_user_sgpr_count 2
		.amdhsa_user_sgpr_dispatch_ptr 0
		.amdhsa_user_sgpr_queue_ptr 0
		.amdhsa_user_sgpr_kernarg_segment_ptr 1
		.amdhsa_user_sgpr_dispatch_id 0
		.amdhsa_user_sgpr_kernarg_preload_length 0
		.amdhsa_user_sgpr_kernarg_preload_offset 0
		.amdhsa_user_sgpr_private_segment_size 0
		.amdhsa_uses_dynamic_stack 0
		.amdhsa_enable_private_segment 0
		.amdhsa_system_sgpr_workgroup_id_x 1
		.amdhsa_system_sgpr_workgroup_id_y 0
		.amdhsa_system_sgpr_workgroup_id_z 0
		.amdhsa_system_sgpr_workgroup_info 0
		.amdhsa_system_vgpr_workitem_id 0
		.amdhsa_next_free_vgpr 1
		.amdhsa_next_free_sgpr 0
		.amdhsa_accum_offset 4
		.amdhsa_reserve_vcc 0
		.amdhsa_float_round_mode_32 0
		.amdhsa_float_round_mode_16_64 0
		.amdhsa_float_denorm_mode_32 3
		.amdhsa_float_denorm_mode_16_64 3
		.amdhsa_dx10_clamp 1
		.amdhsa_ieee_mode 1
		.amdhsa_fp16_overflow 0
		.amdhsa_tg_split 0
		.amdhsa_exception_fp_ieee_invalid_op 0
		.amdhsa_exception_fp_denorm_src 0
		.amdhsa_exception_fp_ieee_div_zero 0
		.amdhsa_exception_fp_ieee_overflow 0
		.amdhsa_exception_fp_ieee_underflow 0
		.amdhsa_exception_fp_ieee_inexact 0
		.amdhsa_exception_int_div_zero 0
	.end_amdhsa_kernel
	.section	.text._ZN7rocprim17ROCPRIM_400000_NS6detail17trampoline_kernelINS0_14default_configENS1_35adjacent_difference_config_selectorILb0EhEEZNS1_24adjacent_difference_implIS3_Lb0ELb0EPhS7_N6thrust23THRUST_200600_302600_NS4plusIhEEEE10hipError_tPvRmT2_T3_mT4_P12ihipStream_tbEUlT_E_NS1_11comp_targetILNS1_3genE10ELNS1_11target_archE1201ELNS1_3gpuE5ELNS1_3repE0EEENS1_30default_config_static_selectorELNS0_4arch9wavefront6targetE1EEEvT1_,"axG",@progbits,_ZN7rocprim17ROCPRIM_400000_NS6detail17trampoline_kernelINS0_14default_configENS1_35adjacent_difference_config_selectorILb0EhEEZNS1_24adjacent_difference_implIS3_Lb0ELb0EPhS7_N6thrust23THRUST_200600_302600_NS4plusIhEEEE10hipError_tPvRmT2_T3_mT4_P12ihipStream_tbEUlT_E_NS1_11comp_targetILNS1_3genE10ELNS1_11target_archE1201ELNS1_3gpuE5ELNS1_3repE0EEENS1_30default_config_static_selectorELNS0_4arch9wavefront6targetE1EEEvT1_,comdat
.Lfunc_end289:
	.size	_ZN7rocprim17ROCPRIM_400000_NS6detail17trampoline_kernelINS0_14default_configENS1_35adjacent_difference_config_selectorILb0EhEEZNS1_24adjacent_difference_implIS3_Lb0ELb0EPhS7_N6thrust23THRUST_200600_302600_NS4plusIhEEEE10hipError_tPvRmT2_T3_mT4_P12ihipStream_tbEUlT_E_NS1_11comp_targetILNS1_3genE10ELNS1_11target_archE1201ELNS1_3gpuE5ELNS1_3repE0EEENS1_30default_config_static_selectorELNS0_4arch9wavefront6targetE1EEEvT1_, .Lfunc_end289-_ZN7rocprim17ROCPRIM_400000_NS6detail17trampoline_kernelINS0_14default_configENS1_35adjacent_difference_config_selectorILb0EhEEZNS1_24adjacent_difference_implIS3_Lb0ELb0EPhS7_N6thrust23THRUST_200600_302600_NS4plusIhEEEE10hipError_tPvRmT2_T3_mT4_P12ihipStream_tbEUlT_E_NS1_11comp_targetILNS1_3genE10ELNS1_11target_archE1201ELNS1_3gpuE5ELNS1_3repE0EEENS1_30default_config_static_selectorELNS0_4arch9wavefront6targetE1EEEvT1_
                                        ; -- End function
	.section	.AMDGPU.csdata,"",@progbits
; Kernel info:
; codeLenInByte = 0
; NumSgprs: 6
; NumVgprs: 0
; NumAgprs: 0
; TotalNumVgprs: 0
; ScratchSize: 0
; MemoryBound: 0
; FloatMode: 240
; IeeeMode: 1
; LDSByteSize: 0 bytes/workgroup (compile time only)
; SGPRBlocks: 0
; VGPRBlocks: 0
; NumSGPRsForWavesPerEU: 6
; NumVGPRsForWavesPerEU: 1
; AccumOffset: 4
; Occupancy: 8
; WaveLimiterHint : 0
; COMPUTE_PGM_RSRC2:SCRATCH_EN: 0
; COMPUTE_PGM_RSRC2:USER_SGPR: 2
; COMPUTE_PGM_RSRC2:TRAP_HANDLER: 0
; COMPUTE_PGM_RSRC2:TGID_X_EN: 1
; COMPUTE_PGM_RSRC2:TGID_Y_EN: 0
; COMPUTE_PGM_RSRC2:TGID_Z_EN: 0
; COMPUTE_PGM_RSRC2:TIDIG_COMP_CNT: 0
; COMPUTE_PGM_RSRC3_GFX90A:ACCUM_OFFSET: 0
; COMPUTE_PGM_RSRC3_GFX90A:TG_SPLIT: 0
	.section	.text._ZN7rocprim17ROCPRIM_400000_NS6detail17trampoline_kernelINS0_14default_configENS1_35adjacent_difference_config_selectorILb0EhEEZNS1_24adjacent_difference_implIS3_Lb0ELb0EPhS7_N6thrust23THRUST_200600_302600_NS4plusIhEEEE10hipError_tPvRmT2_T3_mT4_P12ihipStream_tbEUlT_E_NS1_11comp_targetILNS1_3genE5ELNS1_11target_archE942ELNS1_3gpuE9ELNS1_3repE0EEENS1_30default_config_static_selectorELNS0_4arch9wavefront6targetE1EEEvT1_,"axG",@progbits,_ZN7rocprim17ROCPRIM_400000_NS6detail17trampoline_kernelINS0_14default_configENS1_35adjacent_difference_config_selectorILb0EhEEZNS1_24adjacent_difference_implIS3_Lb0ELb0EPhS7_N6thrust23THRUST_200600_302600_NS4plusIhEEEE10hipError_tPvRmT2_T3_mT4_P12ihipStream_tbEUlT_E_NS1_11comp_targetILNS1_3genE5ELNS1_11target_archE942ELNS1_3gpuE9ELNS1_3repE0EEENS1_30default_config_static_selectorELNS0_4arch9wavefront6targetE1EEEvT1_,comdat
	.protected	_ZN7rocprim17ROCPRIM_400000_NS6detail17trampoline_kernelINS0_14default_configENS1_35adjacent_difference_config_selectorILb0EhEEZNS1_24adjacent_difference_implIS3_Lb0ELb0EPhS7_N6thrust23THRUST_200600_302600_NS4plusIhEEEE10hipError_tPvRmT2_T3_mT4_P12ihipStream_tbEUlT_E_NS1_11comp_targetILNS1_3genE5ELNS1_11target_archE942ELNS1_3gpuE9ELNS1_3repE0EEENS1_30default_config_static_selectorELNS0_4arch9wavefront6targetE1EEEvT1_ ; -- Begin function _ZN7rocprim17ROCPRIM_400000_NS6detail17trampoline_kernelINS0_14default_configENS1_35adjacent_difference_config_selectorILb0EhEEZNS1_24adjacent_difference_implIS3_Lb0ELb0EPhS7_N6thrust23THRUST_200600_302600_NS4plusIhEEEE10hipError_tPvRmT2_T3_mT4_P12ihipStream_tbEUlT_E_NS1_11comp_targetILNS1_3genE5ELNS1_11target_archE942ELNS1_3gpuE9ELNS1_3repE0EEENS1_30default_config_static_selectorELNS0_4arch9wavefront6targetE1EEEvT1_
	.globl	_ZN7rocprim17ROCPRIM_400000_NS6detail17trampoline_kernelINS0_14default_configENS1_35adjacent_difference_config_selectorILb0EhEEZNS1_24adjacent_difference_implIS3_Lb0ELb0EPhS7_N6thrust23THRUST_200600_302600_NS4plusIhEEEE10hipError_tPvRmT2_T3_mT4_P12ihipStream_tbEUlT_E_NS1_11comp_targetILNS1_3genE5ELNS1_11target_archE942ELNS1_3gpuE9ELNS1_3repE0EEENS1_30default_config_static_selectorELNS0_4arch9wavefront6targetE1EEEvT1_
	.p2align	8
	.type	_ZN7rocprim17ROCPRIM_400000_NS6detail17trampoline_kernelINS0_14default_configENS1_35adjacent_difference_config_selectorILb0EhEEZNS1_24adjacent_difference_implIS3_Lb0ELb0EPhS7_N6thrust23THRUST_200600_302600_NS4plusIhEEEE10hipError_tPvRmT2_T3_mT4_P12ihipStream_tbEUlT_E_NS1_11comp_targetILNS1_3genE5ELNS1_11target_archE942ELNS1_3gpuE9ELNS1_3repE0EEENS1_30default_config_static_selectorELNS0_4arch9wavefront6targetE1EEEvT1_,@function
_ZN7rocprim17ROCPRIM_400000_NS6detail17trampoline_kernelINS0_14default_configENS1_35adjacent_difference_config_selectorILb0EhEEZNS1_24adjacent_difference_implIS3_Lb0ELb0EPhS7_N6thrust23THRUST_200600_302600_NS4plusIhEEEE10hipError_tPvRmT2_T3_mT4_P12ihipStream_tbEUlT_E_NS1_11comp_targetILNS1_3genE5ELNS1_11target_archE942ELNS1_3gpuE9ELNS1_3repE0EEENS1_30default_config_static_selectorELNS0_4arch9wavefront6targetE1EEEvT1_: ; @_ZN7rocprim17ROCPRIM_400000_NS6detail17trampoline_kernelINS0_14default_configENS1_35adjacent_difference_config_selectorILb0EhEEZNS1_24adjacent_difference_implIS3_Lb0ELb0EPhS7_N6thrust23THRUST_200600_302600_NS4plusIhEEEE10hipError_tPvRmT2_T3_mT4_P12ihipStream_tbEUlT_E_NS1_11comp_targetILNS1_3genE5ELNS1_11target_archE942ELNS1_3gpuE9ELNS1_3repE0EEENS1_30default_config_static_selectorELNS0_4arch9wavefront6targetE1EEEvT1_
; %bb.0:
	s_load_dwordx8 s[40:47], s[0:1], 0x0
	s_mov_b32 s4, 0x5ca1aca0
	v_bfrev_b32_e32 v1, 6
	s_movk_i32 s3, 0x980
	s_load_dwordx2 s[0:1], s[0:1], 0x30
	s_waitcnt lgkmcnt(0)
	s_add_u32 s6, s40, s42
	s_addc_u32 s7, s41, s43
	s_add_u32 s4, 0x14a, s4
	s_addc_u32 s5, 0, 0
	v_add_co_u32_e32 v1, vcc, s4, v1
	s_cmp_lg_u64 vcc, 0
	v_readfirstlane_b32 s8, v1
	s_addc_u32 s4, s5, 0x1af286
	s_mul_hi_u32 s9, s8, 0xfffff680
	s_mul_i32 s5, s4, 0xfffff680
	s_sub_i32 s9, s9, s8
	s_add_i32 s9, s9, s5
	s_mul_i32 s11, s8, 0xfffff680
	s_mul_hi_u32 s5, s8, s9
	s_mul_i32 s10, s8, s9
	s_mul_hi_u32 s8, s8, s11
	s_add_u32 s8, s8, s10
	s_addc_u32 s5, 0, s5
	s_mul_hi_u32 s12, s4, s11
	s_mul_i32 s11, s4, s11
	s_add_u32 s8, s8, s11
	s_mul_hi_u32 s10, s4, s9
	s_addc_u32 s5, s5, s12
	s_addc_u32 s8, s10, 0
	s_mul_i32 s9, s4, s9
	s_add_u32 s5, s5, s9
	s_addc_u32 s8, 0, s8
	v_add_co_u32_e32 v1, vcc, s5, v1
	s_cmp_lg_u64 vcc, 0
	s_addc_u32 s4, s4, s8
	v_readfirstlane_b32 s9, v1
	s_mul_i32 s8, s46, s4
	s_mul_hi_u32 s10, s46, s9
	s_mul_hi_u32 s5, s46, s4
	s_add_u32 s8, s10, s8
	s_addc_u32 s5, 0, s5
	s_mul_hi_u32 s11, s47, s9
	s_mul_i32 s9, s47, s9
	s_add_u32 s8, s8, s9
	s_mul_hi_u32 s10, s47, s4
	s_addc_u32 s5, s5, s11
	s_addc_u32 s8, s10, 0
	s_mul_i32 s4, s47, s4
	s_add_u32 s4, s5, s4
	s_addc_u32 s5, 0, s8
	s_add_u32 s8, s4, 1
	s_addc_u32 s9, s5, 0
	s_add_u32 s10, s4, 2
	s_mul_i32 s12, s5, 0x980
	s_mul_hi_u32 s13, s4, 0x980
	s_addc_u32 s11, s5, 0
	s_add_i32 s13, s13, s12
	s_mul_i32 s12, s4, 0x980
	v_mov_b32_e32 v1, s12
	v_sub_co_u32_e32 v1, vcc, s46, v1
	s_cmp_lg_u64 vcc, 0
	s_subb_u32 s12, s47, s13
	v_subrev_co_u32_e32 v2, vcc, s3, v1
	s_cmp_lg_u64 vcc, 0
	s_subb_u32 s3, s12, 0
	v_readfirstlane_b32 s13, v2
	s_cmpk_gt_u32 s13, 0x97f
	s_cselect_b32 s13, -1, 0
	s_cmp_eq_u32 s3, 0
	s_cselect_b32 s3, s13, -1
	s_cmp_lg_u32 s3, 0
	s_cselect_b32 s3, s10, s8
	s_cselect_b32 s8, s11, s9
	v_readfirstlane_b32 s9, v1
	s_cmpk_gt_u32 s9, 0x97f
	s_cselect_b32 s9, -1, 0
	s_cmp_eq_u32 s12, 0
	s_cselect_b32 s9, s9, -1
	s_cmp_lg_u32 s9, 0
	s_cselect_b32 s8, s8, s5
	s_cselect_b32 s3, s3, s4
	s_mul_i32 s4, s8, 0x980
	s_mul_hi_u32 s5, s3, 0x980
	s_add_i32 s5, s5, s4
	s_mul_i32 s4, s3, 0x980
	s_sub_u32 s4, s46, s4
	s_subb_u32 s5, s47, s5
	s_cmp_lg_u64 s[4:5], 0
	s_cselect_b64 s[4:5], -1, 0
	v_cndmask_b32_e64 v1, 0, 1, s[4:5]
	s_mul_i32 s33, s2, 0x980
	v_readfirstlane_b32 s4, v1
	s_add_u32 s4, s3, s4
	s_addc_u32 s5, s8, 0
	s_add_u32 s2, s0, s2
	s_addc_u32 s3, s1, 0
	s_add_u32 s8, s4, -1
	s_addc_u32 s9, s5, -1
	v_mov_b64_e32 v[2:3], s[8:9]
	v_cmp_ge_u64_e64 s[0:1], s[2:3], v[2:3]
	s_mov_b64 s[10:11], -1
	s_and_b64 vcc, exec, s[0:1]
	s_mul_i32 s47, s8, 0xfffff680
	s_cbranch_vccz .LBB290_40
; %bb.1:
	s_add_i32 s14, s47, s46
	s_add_u32 s10, s6, s33
	s_addc_u32 s11, s7, 0
	v_cmp_gt_u32_e32 vcc, s14, v0
                                        ; implicit-def: $vgpr1
	s_and_saveexec_b64 s[12:13], vcc
	s_cbranch_execz .LBB290_3
; %bb.2:
	global_load_ubyte v1, v0, s[10:11]
.LBB290_3:
	s_or_b64 exec, exec, s[12:13]
	v_or_b32_e32 v2, 0x80, v0
	v_cmp_gt_u32_e32 vcc, s14, v2
                                        ; implicit-def: $vgpr2
	s_and_saveexec_b64 s[12:13], vcc
	s_cbranch_execz .LBB290_5
; %bb.4:
	global_load_ubyte v2, v0, s[10:11] offset:128
.LBB290_5:
	s_or_b64 exec, exec, s[12:13]
	v_or_b32_e32 v3, 0x100, v0
	v_cmp_gt_u32_e32 vcc, s14, v3
                                        ; implicit-def: $vgpr3
	s_and_saveexec_b64 s[12:13], vcc
	s_cbranch_execz .LBB290_7
; %bb.6:
	global_load_ubyte v3, v0, s[10:11] offset:256
.LBB290_7:
	s_or_b64 exec, exec, s[12:13]
	v_or_b32_e32 v4, 0x180, v0
	v_cmp_gt_u32_e32 vcc, s14, v4
                                        ; implicit-def: $vgpr4
	s_and_saveexec_b64 s[12:13], vcc
	s_cbranch_execz .LBB290_9
; %bb.8:
	global_load_ubyte v4, v0, s[10:11] offset:384
.LBB290_9:
	s_or_b64 exec, exec, s[12:13]
	v_or_b32_e32 v5, 0x200, v0
	v_cmp_gt_u32_e32 vcc, s14, v5
                                        ; implicit-def: $vgpr5
	s_and_saveexec_b64 s[12:13], vcc
	s_cbranch_execz .LBB290_11
; %bb.10:
	global_load_ubyte v5, v0, s[10:11] offset:512
.LBB290_11:
	s_or_b64 exec, exec, s[12:13]
	v_or_b32_e32 v6, 0x280, v0
	v_cmp_gt_u32_e32 vcc, s14, v6
                                        ; implicit-def: $vgpr6
	s_and_saveexec_b64 s[12:13], vcc
	s_cbranch_execz .LBB290_13
; %bb.12:
	global_load_ubyte v6, v0, s[10:11] offset:640
.LBB290_13:
	s_or_b64 exec, exec, s[12:13]
	v_or_b32_e32 v7, 0x300, v0
	v_cmp_gt_u32_e32 vcc, s14, v7
                                        ; implicit-def: $vgpr7
	s_and_saveexec_b64 s[12:13], vcc
	s_cbranch_execz .LBB290_15
; %bb.14:
	global_load_ubyte v7, v0, s[10:11] offset:768
.LBB290_15:
	s_or_b64 exec, exec, s[12:13]
	v_or_b32_e32 v8, 0x380, v0
	v_cmp_gt_u32_e32 vcc, s14, v8
                                        ; implicit-def: $vgpr8
	s_and_saveexec_b64 s[12:13], vcc
	s_cbranch_execz .LBB290_17
; %bb.16:
	global_load_ubyte v8, v0, s[10:11] offset:896
.LBB290_17:
	s_or_b64 exec, exec, s[12:13]
	v_or_b32_e32 v9, 0x400, v0
	v_cmp_gt_u32_e32 vcc, s14, v9
                                        ; implicit-def: $vgpr9
	s_and_saveexec_b64 s[12:13], vcc
	s_cbranch_execz .LBB290_19
; %bb.18:
	global_load_ubyte v9, v0, s[10:11] offset:1024
.LBB290_19:
	s_or_b64 exec, exec, s[12:13]
	v_or_b32_e32 v10, 0x480, v0
	v_cmp_gt_u32_e32 vcc, s14, v10
                                        ; implicit-def: $vgpr10
	s_and_saveexec_b64 s[12:13], vcc
	s_cbranch_execz .LBB290_21
; %bb.20:
	global_load_ubyte v10, v0, s[10:11] offset:1152
.LBB290_21:
	s_or_b64 exec, exec, s[12:13]
	v_or_b32_e32 v11, 0x500, v0
	v_cmp_gt_u32_e32 vcc, s14, v11
                                        ; implicit-def: $vgpr11
	s_and_saveexec_b64 s[12:13], vcc
	s_cbranch_execz .LBB290_23
; %bb.22:
	global_load_ubyte v11, v0, s[10:11] offset:1280
.LBB290_23:
	s_or_b64 exec, exec, s[12:13]
	v_or_b32_e32 v12, 0x580, v0
	v_cmp_gt_u32_e32 vcc, s14, v12
                                        ; implicit-def: $vgpr12
	s_and_saveexec_b64 s[12:13], vcc
	s_cbranch_execz .LBB290_25
; %bb.24:
	global_load_ubyte v12, v0, s[10:11] offset:1408
.LBB290_25:
	s_or_b64 exec, exec, s[12:13]
	v_or_b32_e32 v13, 0x600, v0
	v_cmp_gt_u32_e32 vcc, s14, v13
                                        ; implicit-def: $vgpr13
	s_and_saveexec_b64 s[12:13], vcc
	s_cbranch_execz .LBB290_27
; %bb.26:
	global_load_ubyte v13, v0, s[10:11] offset:1536
.LBB290_27:
	s_or_b64 exec, exec, s[12:13]
	v_or_b32_e32 v14, 0x680, v0
	v_cmp_gt_u32_e32 vcc, s14, v14
                                        ; implicit-def: $vgpr14
	s_and_saveexec_b64 s[12:13], vcc
	s_cbranch_execz .LBB290_29
; %bb.28:
	global_load_ubyte v14, v0, s[10:11] offset:1664
.LBB290_29:
	s_or_b64 exec, exec, s[12:13]
	v_or_b32_e32 v15, 0x700, v0
	v_cmp_gt_u32_e32 vcc, s14, v15
                                        ; implicit-def: $vgpr15
	s_and_saveexec_b64 s[12:13], vcc
	s_cbranch_execz .LBB290_31
; %bb.30:
	global_load_ubyte v15, v0, s[10:11] offset:1792
.LBB290_31:
	s_or_b64 exec, exec, s[12:13]
	v_or_b32_e32 v16, 0x780, v0
	v_cmp_gt_u32_e32 vcc, s14, v16
                                        ; implicit-def: $vgpr16
	s_and_saveexec_b64 s[12:13], vcc
	s_cbranch_execz .LBB290_33
; %bb.32:
	global_load_ubyte v16, v0, s[10:11] offset:1920
.LBB290_33:
	s_or_b64 exec, exec, s[12:13]
	v_or_b32_e32 v17, 0x800, v0
	v_cmp_gt_u32_e32 vcc, s14, v17
                                        ; implicit-def: $vgpr17
	s_and_saveexec_b64 s[12:13], vcc
	s_cbranch_execz .LBB290_35
; %bb.34:
	global_load_ubyte v17, v0, s[10:11] offset:2048
.LBB290_35:
	s_or_b64 exec, exec, s[12:13]
	v_or_b32_e32 v18, 0x880, v0
	v_cmp_gt_u32_e32 vcc, s14, v18
                                        ; implicit-def: $vgpr18
	s_and_saveexec_b64 s[12:13], vcc
	s_cbranch_execz .LBB290_37
; %bb.36:
	global_load_ubyte v18, v0, s[10:11] offset:2176
.LBB290_37:
	s_or_b64 exec, exec, s[12:13]
	v_or_b32_e32 v19, 0x900, v0
	v_cmp_gt_u32_e32 vcc, s14, v19
                                        ; implicit-def: $vgpr19
	s_and_saveexec_b64 s[12:13], vcc
	s_cbranch_execz .LBB290_39
; %bb.38:
	global_load_ubyte v19, v0, s[10:11] offset:2304
.LBB290_39:
	s_or_b64 exec, exec, s[12:13]
	s_mov_b64 s[10:11], 0
	s_waitcnt vmcnt(0)
	ds_write_b8 v0, v1
	ds_write_b8 v0, v2 offset:128
	ds_write_b8 v0, v3 offset:256
	;; [unrolled: 1-line block ×18, first 2 shown]
	s_waitcnt lgkmcnt(0)
	s_barrier
.LBB290_40:
	s_and_b64 vcc, exec, s[10:11]
	s_cbranch_vccz .LBB290_42
; %bb.41:
	s_add_u32 s10, s6, s33
	s_addc_u32 s11, s7, 0
	global_load_ubyte v1, v0, s[10:11]
	global_load_ubyte v2, v0, s[10:11] offset:128
	global_load_ubyte v3, v0, s[10:11] offset:256
	;; [unrolled: 1-line block ×18, first 2 shown]
	s_waitcnt vmcnt(18)
	ds_write_b8 v0, v1
	s_waitcnt vmcnt(17)
	ds_write_b8 v0, v2 offset:128
	s_waitcnt vmcnt(16)
	ds_write_b8 v0, v3 offset:256
	s_waitcnt vmcnt(15)
	ds_write_b8 v0, v4 offset:384
	s_waitcnt vmcnt(14)
	ds_write_b8 v0, v5 offset:512
	s_waitcnt vmcnt(13)
	ds_write_b8 v0, v6 offset:640
	s_waitcnt vmcnt(12)
	ds_write_b8 v0, v7 offset:768
	s_waitcnt vmcnt(11)
	ds_write_b8 v0, v8 offset:896
	s_waitcnt vmcnt(10)
	ds_write_b8 v0, v9 offset:1024
	s_waitcnt vmcnt(9)
	ds_write_b8 v0, v10 offset:1152
	s_waitcnt vmcnt(8)
	ds_write_b8 v0, v11 offset:1280
	s_waitcnt vmcnt(7)
	ds_write_b8 v0, v12 offset:1408
	s_waitcnt vmcnt(6)
	ds_write_b8 v0, v13 offset:1536
	s_waitcnt vmcnt(5)
	ds_write_b8 v0, v14 offset:1664
	s_waitcnt vmcnt(4)
	ds_write_b8 v0, v15 offset:1792
	s_waitcnt vmcnt(3)
	ds_write_b8 v0, v16 offset:1920
	s_waitcnt vmcnt(2)
	ds_write_b8 v0, v17 offset:2048
	s_waitcnt vmcnt(1)
	ds_write_b8 v0, v18 offset:2176
	s_waitcnt vmcnt(0)
	ds_write_b8 v0, v19 offset:2304
	s_waitcnt lgkmcnt(0)
	s_barrier
.LBB290_42:
	v_mul_u32_u24_e32 v6, 19, v0
	ds_read_b128 v[2:5], v6
	ds_read_u8 v1, v6 offset:16
	ds_read_u8 v7, v6 offset:17
	;; [unrolled: 1-line block ×3, first 2 shown]
	s_cmp_eq_u64 s[2:3], 0
	s_waitcnt lgkmcnt(3)
	v_lshrrev_b32_e32 v9, 8, v2
	v_lshrrev_b32_e32 v10, 16, v2
	v_lshrrev_b32_e32 v11, 24, v2
	v_lshrrev_b32_e32 v12, 8, v3
	v_lshrrev_b32_e32 v13, 16, v3
	v_lshrrev_b32_e32 v14, 24, v3
	v_lshrrev_b32_e32 v15, 8, v4
	v_lshrrev_b32_e32 v16, 16, v4
	v_lshrrev_b32_e32 v17, 24, v4
	v_lshrrev_b32_e32 v18, 8, v5
	v_lshrrev_b32_e32 v19, 16, v5
	v_lshrrev_b32_e32 v20, 24, v5
	s_waitcnt lgkmcnt(0)
	s_barrier
	s_cbranch_scc1 .LBB290_47
; %bb.43:
	v_mov_b32_e32 v6, s33
	global_load_ubyte v38, v6, s[6:7] offset:-1
	s_cmp_eq_u64 s[2:3], s[8:9]
	s_cbranch_scc1 .LBB290_48
; %bb.44:
	v_cmp_ne_u32_e32 vcc, 0, v0
	s_waitcnt vmcnt(0)
	v_mov_b32_e32 v6, v38
	ds_write_b8 v0, v8
	s_waitcnt lgkmcnt(0)
	s_barrier
	s_and_saveexec_b64 s[6:7], vcc
	s_cbranch_execz .LBB290_46
; %bb.45:
	v_add_u32_e32 v6, -1, v0
	ds_read_u8 v6, v6
.LBB290_46:
	s_or_b64 exec, exec, s[6:7]
	s_waitcnt lgkmcnt(0)
	v_add_u16_e32 v6, v6, v2
	s_mov_b64 s[6:7], 0
	s_branch .LBB290_49
.LBB290_47:
                                        ; implicit-def: $vgpr6
                                        ; implicit-def: $vgpr39
                                        ; implicit-def: $vgpr37
                                        ; implicit-def: $vgpr36
                                        ; implicit-def: $vgpr35
                                        ; implicit-def: $vgpr34
                                        ; implicit-def: $vgpr33
                                        ; implicit-def: $vgpr32
                                        ; implicit-def: $vgpr31
                                        ; implicit-def: $vgpr30
                                        ; implicit-def: $vgpr28
                                        ; implicit-def: $vgpr27
                                        ; implicit-def: $vgpr26
                                        ; implicit-def: $vgpr25
                                        ; implicit-def: $vgpr24
                                        ; implicit-def: $vgpr23
                                        ; implicit-def: $vgpr22
                                        ; implicit-def: $vgpr21
                                        ; implicit-def: $vgpr29
	s_branch .LBB290_54
.LBB290_48:
	s_mov_b64 s[6:7], -1
                                        ; implicit-def: $vgpr6
.LBB290_49:
	s_and_b64 vcc, exec, s[6:7]
	v_mov_b32_e32 v39, v2
	v_mov_b32_e32 v37, v9
	;; [unrolled: 1-line block ×18, first 2 shown]
	s_cbranch_vccz .LBB290_53
; %bb.50:
	v_mul_u32_u24_e32 v6, 19, v0
	v_cmp_ne_u32_e32 vcc, 0, v0
	ds_write_b8 v0, v8
	s_waitcnt lgkmcnt(0)
	s_barrier
	s_and_saveexec_b64 s[6:7], vcc
	s_cbranch_execz .LBB290_52
; %bb.51:
	v_add_u32_e32 v21, -1, v0
	s_waitcnt vmcnt(0)
	ds_read_u8 v38, v21
.LBB290_52:
	s_or_b64 exec, exec, s[6:7]
	s_mulk_i32 s2, 0xf680
	s_add_i32 s2, s2, s46
	v_add_u32_e32 v21, 18, v6
	v_cmp_gt_u32_e32 vcc, s2, v21
	v_add_u32_e32 v21, 17, v6
	v_add_u32_e32 v22, 16, v6
	v_cndmask_b32_e32 v29, 0, v7, vcc
	v_cmp_gt_u32_e32 vcc, s2, v21
	v_add_u32_e32 v23, 15, v6
	v_add_u32_e32 v24, 14, v6
	v_cndmask_b32_e32 v21, 0, v1, vcc
	v_cmp_gt_u32_e32 vcc, s2, v22
	v_add_u32_e32 v25, 13, v6
	v_add_u32_e32 v26, 12, v6
	v_cndmask_b32_e32 v22, 0, v20, vcc
	v_cmp_gt_u32_e32 vcc, s2, v23
	v_add_u32_e32 v27, 11, v6
	v_add_u32_e32 v28, 10, v6
	v_cndmask_b32_e32 v23, 0, v19, vcc
	v_cmp_gt_u32_e32 vcc, s2, v24
	v_add_u32_e32 v30, 9, v6
	v_add_u32_e32 v31, 8, v6
	v_cndmask_b32_e32 v24, 0, v18, vcc
	v_cmp_gt_u32_e32 vcc, s2, v25
	v_add_u32_e32 v32, 7, v6
	v_add_u32_e32 v33, 6, v6
	v_cndmask_b32_e32 v25, 0, v5, vcc
	v_cmp_gt_u32_e32 vcc, s2, v26
	v_add_u32_e32 v34, 5, v6
	v_add_u32_e32 v35, 4, v6
	v_cndmask_b32_e32 v26, 0, v17, vcc
	v_cmp_gt_u32_e32 vcc, s2, v27
	v_add_u32_e32 v36, 3, v6
	v_add_u32_e32 v37, 2, v6
	v_cndmask_b32_e32 v27, 0, v16, vcc
	v_cmp_gt_u32_e32 vcc, s2, v28
	v_add_u32_e32 v39, 1, v6
	s_nop 0
	v_cndmask_b32_e32 v28, 0, v15, vcc
	v_cmp_gt_u32_e32 vcc, s2, v30
	s_nop 1
	v_cndmask_b32_e32 v30, 0, v4, vcc
	v_cmp_gt_u32_e32 vcc, s2, v31
	;; [unrolled: 3-line block ×10, first 2 shown]
	s_waitcnt vmcnt(0) lgkmcnt(0)
	s_nop 0
	v_cndmask_b32_e32 v6, 0, v38, vcc
	v_add_u16_e32 v6, v6, v2
.LBB290_53:
	s_cbranch_execnz .LBB290_64
.LBB290_54:
	s_cmp_eq_u64 s[4:5], 1
	v_cmp_ne_u32_e32 vcc, 0, v0
	s_cbranch_scc1 .LBB290_58
; %bb.55:
	v_mov_b32_e32 v6, v2
	ds_write_b8 v0, v8
	s_waitcnt lgkmcnt(0)
	s_barrier
	s_and_saveexec_b64 s[2:3], vcc
	s_cbranch_execz .LBB290_57
; %bb.56:
	v_add_u32_e32 v6, -1, v0
	ds_read_u8 v6, v6
	s_waitcnt lgkmcnt(0)
	v_add_u16_e32 v6, v6, v2
.LBB290_57:
	s_or_b64 exec, exec, s[2:3]
	s_mov_b64 s[2:3], 0
	s_branch .LBB290_59
.LBB290_58:
	s_mov_b64 s[2:3], -1
                                        ; implicit-def: $vgpr6
.LBB290_59:
	s_andn2_b64 vcc, exec, s[2:3]
	v_mov_b32_e32 v37, v9
	v_mov_b32_e32 v36, v10
	;; [unrolled: 1-line block ×17, first 2 shown]
	s_cbranch_vccnz .LBB290_63
; %bb.60:
	v_mad_u32_u24 v21, v0, 19, 18
	v_cmp_gt_u32_e32 vcc, s46, v21
	v_mad_u32_u24 v21, v0, 19, 17
	v_cmp_gt_u32_e64 s[2:3], s46, v21
	v_mad_u32_u24 v21, v0, 19, 16
	v_cmp_gt_u32_e64 s[4:5], s46, v21
	;; [unrolled: 2-line block ×14, first 2 shown]
	v_mad_u32_u24 v21, v0, 19, 3
	v_mul_u32_u24_e32 v6, 19, v0
	v_cmp_gt_u32_e64 s[30:31], s46, v21
	v_mad_u32_u24 v21, v0, 19, 2
	v_cmp_gt_u32_e64 s[34:35], s46, v21
	v_mad_u32_u24 v21, v0, 19, 1
	v_cmp_ne_u32_e64 s[38:39], 0, v0
	v_cmp_gt_u32_e64 s[40:41], s46, v6
	v_cmp_gt_u32_e64 s[36:37], s46, v21
	s_and_b64 s[40:41], s[38:39], s[40:41]
	v_mov_b32_e32 v6, v2
	ds_write_b8 v0, v8
	s_waitcnt lgkmcnt(0)
	s_barrier
	s_and_saveexec_b64 s[38:39], s[40:41]
	s_cbranch_execz .LBB290_62
; %bb.61:
	v_add_u32_e32 v6, -1, v0
	ds_read_u8 v6, v6
	s_waitcnt lgkmcnt(0)
	v_add_u16_e32 v6, v6, v2
.LBB290_62:
	s_or_b64 exec, exec, s[38:39]
	v_cndmask_b32_e32 v29, 0, v7, vcc
	v_cndmask_b32_e64 v21, 0, v1, s[2:3]
	v_cndmask_b32_e64 v22, 0, v20, s[4:5]
	;; [unrolled: 1-line block ×17, first 2 shown]
.LBB290_63:
	v_mov_b32_e32 v39, v2
.LBB290_64:
	s_add_u32 s4, s44, s42
	v_add_u16_e32 v8, v29, v8
	v_add_u16_e32 v2, v39, v9
	;; [unrolled: 1-line block ×13, first 2 shown]
	s_addc_u32 s5, s45, s43
	v_add_u16_e32 v12, v31, v4
	v_add_u16_e32 v14, v26, v5
	;; [unrolled: 1-line block ×5, first 2 shown]
	s_and_b64 vcc, exec, s[0:1]
	v_mul_u32_u24_e32 v7, 19, v0
	v_lshlrev_b16_e32 v22, 8, v17
	v_lshlrev_b16_e32 v23, 8, v18
	;; [unrolled: 1-line block ×8, first 2 shown]
	s_barrier
	s_cbranch_vccz .LBB290_102
; %bb.65:
	v_or_b32_sdwa v1, v14, v22 dst_sel:DWORD dst_unused:UNUSED_PAD src0_sel:BYTE_0 src1_sel:DWORD
	v_or_b32_sdwa v2, v15, v23 dst_sel:WORD_1 dst_unused:UNUSED_PAD src0_sel:BYTE_0 src1_sel:DWORD
	s_add_i32 s47, s47, s46
	v_or_b32_sdwa v27, v1, v2 dst_sel:DWORD dst_unused:UNUSED_PAD src0_sel:WORD_0 src1_sel:DWORD
	v_or_b32_sdwa v1, v12, v20 dst_sel:DWORD dst_unused:UNUSED_PAD src0_sel:BYTE_0 src1_sel:DWORD
	v_or_b32_sdwa v2, v13, v21 dst_sel:WORD_1 dst_unused:UNUSED_PAD src0_sel:BYTE_0 src1_sel:DWORD
	s_add_u32 s0, s4, s33
	v_or_b32_sdwa v26, v1, v2 dst_sel:DWORD dst_unused:UNUSED_PAD src0_sel:WORD_0 src1_sel:DWORD
	v_or_b32_sdwa v1, v10, v18 dst_sel:DWORD dst_unused:UNUSED_PAD src0_sel:BYTE_0 src1_sel:DWORD
	v_or_b32_sdwa v2, v11, v19 dst_sel:WORD_1 dst_unused:UNUSED_PAD src0_sel:BYTE_0 src1_sel:DWORD
	s_addc_u32 s1, s5, 0
	v_or_b32_sdwa v25, v1, v2 dst_sel:DWORD dst_unused:UNUSED_PAD src0_sel:WORD_0 src1_sel:DWORD
	v_or_b32_sdwa v1, v6, v16 dst_sel:DWORD dst_unused:UNUSED_PAD src0_sel:BYTE_0 src1_sel:DWORD
	v_or_b32_sdwa v2, v9, v17 dst_sel:WORD_1 dst_unused:UNUSED_PAD src0_sel:BYTE_0 src1_sel:DWORD
	v_cmp_gt_u32_e32 vcc, s47, v0
	v_or_b32_sdwa v24, v1, v2 dst_sel:DWORD dst_unused:UNUSED_PAD src0_sel:WORD_0 src1_sel:DWORD
	ds_write_b128 v7, v[24:27]
	ds_write_b8 v7, v4 offset:16
	ds_write_b8 v7, v5 offset:17
	;; [unrolled: 1-line block ×3, first 2 shown]
	s_waitcnt lgkmcnt(0)
	s_barrier
	ds_read_u8 v41, v0 offset:128
	ds_read_u8 v40, v0 offset:256
	ds_read_u8 v39, v0 offset:384
	s_waitcnt vmcnt(0)
	ds_read_u8 v38, v0 offset:512
	ds_read_u8 v37, v0 offset:640
	;; [unrolled: 1-line block ×15, first 2 shown]
	v_mov_b32_e32 v1, 0
	v_lshl_add_u64 v[2:3], s[0:1], 0, v[0:1]
	s_and_saveexec_b64 s[0:1], vcc
	s_cbranch_execz .LBB290_67
; %bb.66:
	ds_read_u8 v1, v0
	s_waitcnt lgkmcnt(0)
	global_store_byte v[2:3], v1, off
.LBB290_67:
	s_or_b64 exec, exec, s[0:1]
	v_or_b32_e32 v1, 0x80, v0
	v_cmp_gt_u32_e32 vcc, s47, v1
	s_and_saveexec_b64 s[0:1], vcc
	s_cbranch_execz .LBB290_69
; %bb.68:
	s_waitcnt lgkmcnt(14)
	global_store_byte v[2:3], v41, off offset:128
.LBB290_69:
	s_or_b64 exec, exec, s[0:1]
	v_or_b32_e32 v1, 0x100, v0
	v_cmp_gt_u32_e32 vcc, s47, v1
	s_and_saveexec_b64 s[0:1], vcc
	s_cbranch_execz .LBB290_71
; %bb.70:
	s_waitcnt lgkmcnt(14)
	global_store_byte v[2:3], v40, off offset:256
.LBB290_71:
	;; [unrolled: 9-line block ×17, first 2 shown]
	s_or_b64 exec, exec, s[0:1]
	v_or_b32_e32 v1, 0x900, v0
	v_cmp_gt_u32_e64 s[0:1], s47, v1
	s_branch .LBB290_104
.LBB290_102:
	s_mov_b64 s[0:1], 0
                                        ; implicit-def: $vgpr24
                                        ; implicit-def: $vgpr2_vgpr3
	s_cbranch_execz .LBB290_104
; %bb.103:
	v_or_b32_sdwa v1, v14, v22 dst_sel:DWORD dst_unused:UNUSED_PAD src0_sel:BYTE_0 src1_sel:DWORD
	v_or_b32_sdwa v2, v15, v23 dst_sel:WORD_1 dst_unused:UNUSED_PAD src0_sel:BYTE_0 src1_sel:DWORD
	s_add_u32 s2, s4, s33
	v_or_b32_sdwa v15, v1, v2 dst_sel:DWORD dst_unused:UNUSED_PAD src0_sel:WORD_0 src1_sel:DWORD
	v_or_b32_sdwa v1, v12, v20 dst_sel:DWORD dst_unused:UNUSED_PAD src0_sel:BYTE_0 src1_sel:DWORD
	v_or_b32_sdwa v2, v13, v21 dst_sel:WORD_1 dst_unused:UNUSED_PAD src0_sel:BYTE_0 src1_sel:DWORD
	s_addc_u32 s3, s5, 0
	v_or_b32_sdwa v14, v1, v2 dst_sel:DWORD dst_unused:UNUSED_PAD src0_sel:WORD_0 src1_sel:DWORD
	v_or_b32_sdwa v1, v10, v18 dst_sel:DWORD dst_unused:UNUSED_PAD src0_sel:BYTE_0 src1_sel:DWORD
	v_or_b32_sdwa v2, v11, v19 dst_sel:WORD_1 dst_unused:UNUSED_PAD src0_sel:BYTE_0 src1_sel:DWORD
	s_or_b64 s[0:1], s[0:1], exec
	v_or_b32_sdwa v13, v1, v2 dst_sel:DWORD dst_unused:UNUSED_PAD src0_sel:WORD_0 src1_sel:DWORD
	v_or_b32_sdwa v1, v6, v16 dst_sel:DWORD dst_unused:UNUSED_PAD src0_sel:BYTE_0 src1_sel:DWORD
	v_or_b32_sdwa v2, v9, v17 dst_sel:WORD_1 dst_unused:UNUSED_PAD src0_sel:BYTE_0 src1_sel:DWORD
	s_nop 0
	v_or_b32_sdwa v12, v1, v2 dst_sel:DWORD dst_unused:UNUSED_PAD src0_sel:WORD_0 src1_sel:DWORD
	ds_write_b128 v7, v[12:15]
	ds_write_b8 v7, v4 offset:16
	ds_write_b8 v7, v5 offset:17
	ds_write_b8 v7, v8 offset:18
	s_waitcnt lgkmcnt(0)
	s_barrier
	ds_read_u8 v4, v0
	ds_read_u8 v5, v0 offset:128
	ds_read_u8 v6, v0 offset:256
	;; [unrolled: 1-line block ×18, first 2 shown]
	v_mov_b32_e32 v1, 0
	v_lshl_add_u64 v[2:3], s[2:3], 0, v[0:1]
	s_waitcnt lgkmcnt(14)
	global_store_byte v0, v4, s[2:3]
	global_store_byte v0, v5, s[2:3] offset:128
	global_store_byte v0, v6, s[2:3] offset:256
	;; [unrolled: 1-line block ×4, first 2 shown]
	s_waitcnt lgkmcnt(13)
	global_store_byte v0, v9, s[2:3] offset:640
	s_waitcnt lgkmcnt(12)
	global_store_byte v0, v10, s[2:3] offset:768
	;; [unrolled: 2-line block ×13, first 2 shown]
.LBB290_104:
	s_and_saveexec_b64 s[2:3], s[0:1]
	s_cbranch_execnz .LBB290_106
; %bb.105:
	s_endpgm
.LBB290_106:
	s_waitcnt lgkmcnt(0)
	global_store_byte v[2:3], v24, off offset:2304
	s_endpgm
	.section	.rodata,"a",@progbits
	.p2align	6, 0x0
	.amdhsa_kernel _ZN7rocprim17ROCPRIM_400000_NS6detail17trampoline_kernelINS0_14default_configENS1_35adjacent_difference_config_selectorILb0EhEEZNS1_24adjacent_difference_implIS3_Lb0ELb0EPhS7_N6thrust23THRUST_200600_302600_NS4plusIhEEEE10hipError_tPvRmT2_T3_mT4_P12ihipStream_tbEUlT_E_NS1_11comp_targetILNS1_3genE5ELNS1_11target_archE942ELNS1_3gpuE9ELNS1_3repE0EEENS1_30default_config_static_selectorELNS0_4arch9wavefront6targetE1EEEvT1_
		.amdhsa_group_segment_fixed_size 2432
		.amdhsa_private_segment_fixed_size 0
		.amdhsa_kernarg_size 56
		.amdhsa_user_sgpr_count 2
		.amdhsa_user_sgpr_dispatch_ptr 0
		.amdhsa_user_sgpr_queue_ptr 0
		.amdhsa_user_sgpr_kernarg_segment_ptr 1
		.amdhsa_user_sgpr_dispatch_id 0
		.amdhsa_user_sgpr_kernarg_preload_length 0
		.amdhsa_user_sgpr_kernarg_preload_offset 0
		.amdhsa_user_sgpr_private_segment_size 0
		.amdhsa_uses_dynamic_stack 0
		.amdhsa_enable_private_segment 0
		.amdhsa_system_sgpr_workgroup_id_x 1
		.amdhsa_system_sgpr_workgroup_id_y 0
		.amdhsa_system_sgpr_workgroup_id_z 0
		.amdhsa_system_sgpr_workgroup_info 0
		.amdhsa_system_vgpr_workitem_id 0
		.amdhsa_next_free_vgpr 42
		.amdhsa_next_free_sgpr 48
		.amdhsa_accum_offset 44
		.amdhsa_reserve_vcc 1
		.amdhsa_float_round_mode_32 0
		.amdhsa_float_round_mode_16_64 0
		.amdhsa_float_denorm_mode_32 3
		.amdhsa_float_denorm_mode_16_64 3
		.amdhsa_dx10_clamp 1
		.amdhsa_ieee_mode 1
		.amdhsa_fp16_overflow 0
		.amdhsa_tg_split 0
		.amdhsa_exception_fp_ieee_invalid_op 0
		.amdhsa_exception_fp_denorm_src 0
		.amdhsa_exception_fp_ieee_div_zero 0
		.amdhsa_exception_fp_ieee_overflow 0
		.amdhsa_exception_fp_ieee_underflow 0
		.amdhsa_exception_fp_ieee_inexact 0
		.amdhsa_exception_int_div_zero 0
	.end_amdhsa_kernel
	.section	.text._ZN7rocprim17ROCPRIM_400000_NS6detail17trampoline_kernelINS0_14default_configENS1_35adjacent_difference_config_selectorILb0EhEEZNS1_24adjacent_difference_implIS3_Lb0ELb0EPhS7_N6thrust23THRUST_200600_302600_NS4plusIhEEEE10hipError_tPvRmT2_T3_mT4_P12ihipStream_tbEUlT_E_NS1_11comp_targetILNS1_3genE5ELNS1_11target_archE942ELNS1_3gpuE9ELNS1_3repE0EEENS1_30default_config_static_selectorELNS0_4arch9wavefront6targetE1EEEvT1_,"axG",@progbits,_ZN7rocprim17ROCPRIM_400000_NS6detail17trampoline_kernelINS0_14default_configENS1_35adjacent_difference_config_selectorILb0EhEEZNS1_24adjacent_difference_implIS3_Lb0ELb0EPhS7_N6thrust23THRUST_200600_302600_NS4plusIhEEEE10hipError_tPvRmT2_T3_mT4_P12ihipStream_tbEUlT_E_NS1_11comp_targetILNS1_3genE5ELNS1_11target_archE942ELNS1_3gpuE9ELNS1_3repE0EEENS1_30default_config_static_selectorELNS0_4arch9wavefront6targetE1EEEvT1_,comdat
.Lfunc_end290:
	.size	_ZN7rocprim17ROCPRIM_400000_NS6detail17trampoline_kernelINS0_14default_configENS1_35adjacent_difference_config_selectorILb0EhEEZNS1_24adjacent_difference_implIS3_Lb0ELb0EPhS7_N6thrust23THRUST_200600_302600_NS4plusIhEEEE10hipError_tPvRmT2_T3_mT4_P12ihipStream_tbEUlT_E_NS1_11comp_targetILNS1_3genE5ELNS1_11target_archE942ELNS1_3gpuE9ELNS1_3repE0EEENS1_30default_config_static_selectorELNS0_4arch9wavefront6targetE1EEEvT1_, .Lfunc_end290-_ZN7rocprim17ROCPRIM_400000_NS6detail17trampoline_kernelINS0_14default_configENS1_35adjacent_difference_config_selectorILb0EhEEZNS1_24adjacent_difference_implIS3_Lb0ELb0EPhS7_N6thrust23THRUST_200600_302600_NS4plusIhEEEE10hipError_tPvRmT2_T3_mT4_P12ihipStream_tbEUlT_E_NS1_11comp_targetILNS1_3genE5ELNS1_11target_archE942ELNS1_3gpuE9ELNS1_3repE0EEENS1_30default_config_static_selectorELNS0_4arch9wavefront6targetE1EEEvT1_
                                        ; -- End function
	.section	.AMDGPU.csdata,"",@progbits
; Kernel info:
; codeLenInByte = 4608
; NumSgprs: 54
; NumVgprs: 42
; NumAgprs: 0
; TotalNumVgprs: 42
; ScratchSize: 0
; MemoryBound: 0
; FloatMode: 240
; IeeeMode: 1
; LDSByteSize: 2432 bytes/workgroup (compile time only)
; SGPRBlocks: 6
; VGPRBlocks: 5
; NumSGPRsForWavesPerEU: 54
; NumVGPRsForWavesPerEU: 42
; AccumOffset: 44
; Occupancy: 8
; WaveLimiterHint : 1
; COMPUTE_PGM_RSRC2:SCRATCH_EN: 0
; COMPUTE_PGM_RSRC2:USER_SGPR: 2
; COMPUTE_PGM_RSRC2:TRAP_HANDLER: 0
; COMPUTE_PGM_RSRC2:TGID_X_EN: 1
; COMPUTE_PGM_RSRC2:TGID_Y_EN: 0
; COMPUTE_PGM_RSRC2:TGID_Z_EN: 0
; COMPUTE_PGM_RSRC2:TIDIG_COMP_CNT: 0
; COMPUTE_PGM_RSRC3_GFX90A:ACCUM_OFFSET: 10
; COMPUTE_PGM_RSRC3_GFX90A:TG_SPLIT: 0
	.section	.text._ZN7rocprim17ROCPRIM_400000_NS6detail17trampoline_kernelINS0_14default_configENS1_35adjacent_difference_config_selectorILb0EhEEZNS1_24adjacent_difference_implIS3_Lb0ELb0EPhS7_N6thrust23THRUST_200600_302600_NS4plusIhEEEE10hipError_tPvRmT2_T3_mT4_P12ihipStream_tbEUlT_E_NS1_11comp_targetILNS1_3genE4ELNS1_11target_archE910ELNS1_3gpuE8ELNS1_3repE0EEENS1_30default_config_static_selectorELNS0_4arch9wavefront6targetE1EEEvT1_,"axG",@progbits,_ZN7rocprim17ROCPRIM_400000_NS6detail17trampoline_kernelINS0_14default_configENS1_35adjacent_difference_config_selectorILb0EhEEZNS1_24adjacent_difference_implIS3_Lb0ELb0EPhS7_N6thrust23THRUST_200600_302600_NS4plusIhEEEE10hipError_tPvRmT2_T3_mT4_P12ihipStream_tbEUlT_E_NS1_11comp_targetILNS1_3genE4ELNS1_11target_archE910ELNS1_3gpuE8ELNS1_3repE0EEENS1_30default_config_static_selectorELNS0_4arch9wavefront6targetE1EEEvT1_,comdat
	.protected	_ZN7rocprim17ROCPRIM_400000_NS6detail17trampoline_kernelINS0_14default_configENS1_35adjacent_difference_config_selectorILb0EhEEZNS1_24adjacent_difference_implIS3_Lb0ELb0EPhS7_N6thrust23THRUST_200600_302600_NS4plusIhEEEE10hipError_tPvRmT2_T3_mT4_P12ihipStream_tbEUlT_E_NS1_11comp_targetILNS1_3genE4ELNS1_11target_archE910ELNS1_3gpuE8ELNS1_3repE0EEENS1_30default_config_static_selectorELNS0_4arch9wavefront6targetE1EEEvT1_ ; -- Begin function _ZN7rocprim17ROCPRIM_400000_NS6detail17trampoline_kernelINS0_14default_configENS1_35adjacent_difference_config_selectorILb0EhEEZNS1_24adjacent_difference_implIS3_Lb0ELb0EPhS7_N6thrust23THRUST_200600_302600_NS4plusIhEEEE10hipError_tPvRmT2_T3_mT4_P12ihipStream_tbEUlT_E_NS1_11comp_targetILNS1_3genE4ELNS1_11target_archE910ELNS1_3gpuE8ELNS1_3repE0EEENS1_30default_config_static_selectorELNS0_4arch9wavefront6targetE1EEEvT1_
	.globl	_ZN7rocprim17ROCPRIM_400000_NS6detail17trampoline_kernelINS0_14default_configENS1_35adjacent_difference_config_selectorILb0EhEEZNS1_24adjacent_difference_implIS3_Lb0ELb0EPhS7_N6thrust23THRUST_200600_302600_NS4plusIhEEEE10hipError_tPvRmT2_T3_mT4_P12ihipStream_tbEUlT_E_NS1_11comp_targetILNS1_3genE4ELNS1_11target_archE910ELNS1_3gpuE8ELNS1_3repE0EEENS1_30default_config_static_selectorELNS0_4arch9wavefront6targetE1EEEvT1_
	.p2align	8
	.type	_ZN7rocprim17ROCPRIM_400000_NS6detail17trampoline_kernelINS0_14default_configENS1_35adjacent_difference_config_selectorILb0EhEEZNS1_24adjacent_difference_implIS3_Lb0ELb0EPhS7_N6thrust23THRUST_200600_302600_NS4plusIhEEEE10hipError_tPvRmT2_T3_mT4_P12ihipStream_tbEUlT_E_NS1_11comp_targetILNS1_3genE4ELNS1_11target_archE910ELNS1_3gpuE8ELNS1_3repE0EEENS1_30default_config_static_selectorELNS0_4arch9wavefront6targetE1EEEvT1_,@function
_ZN7rocprim17ROCPRIM_400000_NS6detail17trampoline_kernelINS0_14default_configENS1_35adjacent_difference_config_selectorILb0EhEEZNS1_24adjacent_difference_implIS3_Lb0ELb0EPhS7_N6thrust23THRUST_200600_302600_NS4plusIhEEEE10hipError_tPvRmT2_T3_mT4_P12ihipStream_tbEUlT_E_NS1_11comp_targetILNS1_3genE4ELNS1_11target_archE910ELNS1_3gpuE8ELNS1_3repE0EEENS1_30default_config_static_selectorELNS0_4arch9wavefront6targetE1EEEvT1_: ; @_ZN7rocprim17ROCPRIM_400000_NS6detail17trampoline_kernelINS0_14default_configENS1_35adjacent_difference_config_selectorILb0EhEEZNS1_24adjacent_difference_implIS3_Lb0ELb0EPhS7_N6thrust23THRUST_200600_302600_NS4plusIhEEEE10hipError_tPvRmT2_T3_mT4_P12ihipStream_tbEUlT_E_NS1_11comp_targetILNS1_3genE4ELNS1_11target_archE910ELNS1_3gpuE8ELNS1_3repE0EEENS1_30default_config_static_selectorELNS0_4arch9wavefront6targetE1EEEvT1_
; %bb.0:
	.section	.rodata,"a",@progbits
	.p2align	6, 0x0
	.amdhsa_kernel _ZN7rocprim17ROCPRIM_400000_NS6detail17trampoline_kernelINS0_14default_configENS1_35adjacent_difference_config_selectorILb0EhEEZNS1_24adjacent_difference_implIS3_Lb0ELb0EPhS7_N6thrust23THRUST_200600_302600_NS4plusIhEEEE10hipError_tPvRmT2_T3_mT4_P12ihipStream_tbEUlT_E_NS1_11comp_targetILNS1_3genE4ELNS1_11target_archE910ELNS1_3gpuE8ELNS1_3repE0EEENS1_30default_config_static_selectorELNS0_4arch9wavefront6targetE1EEEvT1_
		.amdhsa_group_segment_fixed_size 0
		.amdhsa_private_segment_fixed_size 0
		.amdhsa_kernarg_size 56
		.amdhsa_user_sgpr_count 2
		.amdhsa_user_sgpr_dispatch_ptr 0
		.amdhsa_user_sgpr_queue_ptr 0
		.amdhsa_user_sgpr_kernarg_segment_ptr 1
		.amdhsa_user_sgpr_dispatch_id 0
		.amdhsa_user_sgpr_kernarg_preload_length 0
		.amdhsa_user_sgpr_kernarg_preload_offset 0
		.amdhsa_user_sgpr_private_segment_size 0
		.amdhsa_uses_dynamic_stack 0
		.amdhsa_enable_private_segment 0
		.amdhsa_system_sgpr_workgroup_id_x 1
		.amdhsa_system_sgpr_workgroup_id_y 0
		.amdhsa_system_sgpr_workgroup_id_z 0
		.amdhsa_system_sgpr_workgroup_info 0
		.amdhsa_system_vgpr_workitem_id 0
		.amdhsa_next_free_vgpr 1
		.amdhsa_next_free_sgpr 0
		.amdhsa_accum_offset 4
		.amdhsa_reserve_vcc 0
		.amdhsa_float_round_mode_32 0
		.amdhsa_float_round_mode_16_64 0
		.amdhsa_float_denorm_mode_32 3
		.amdhsa_float_denorm_mode_16_64 3
		.amdhsa_dx10_clamp 1
		.amdhsa_ieee_mode 1
		.amdhsa_fp16_overflow 0
		.amdhsa_tg_split 0
		.amdhsa_exception_fp_ieee_invalid_op 0
		.amdhsa_exception_fp_denorm_src 0
		.amdhsa_exception_fp_ieee_div_zero 0
		.amdhsa_exception_fp_ieee_overflow 0
		.amdhsa_exception_fp_ieee_underflow 0
		.amdhsa_exception_fp_ieee_inexact 0
		.amdhsa_exception_int_div_zero 0
	.end_amdhsa_kernel
	.section	.text._ZN7rocprim17ROCPRIM_400000_NS6detail17trampoline_kernelINS0_14default_configENS1_35adjacent_difference_config_selectorILb0EhEEZNS1_24adjacent_difference_implIS3_Lb0ELb0EPhS7_N6thrust23THRUST_200600_302600_NS4plusIhEEEE10hipError_tPvRmT2_T3_mT4_P12ihipStream_tbEUlT_E_NS1_11comp_targetILNS1_3genE4ELNS1_11target_archE910ELNS1_3gpuE8ELNS1_3repE0EEENS1_30default_config_static_selectorELNS0_4arch9wavefront6targetE1EEEvT1_,"axG",@progbits,_ZN7rocprim17ROCPRIM_400000_NS6detail17trampoline_kernelINS0_14default_configENS1_35adjacent_difference_config_selectorILb0EhEEZNS1_24adjacent_difference_implIS3_Lb0ELb0EPhS7_N6thrust23THRUST_200600_302600_NS4plusIhEEEE10hipError_tPvRmT2_T3_mT4_P12ihipStream_tbEUlT_E_NS1_11comp_targetILNS1_3genE4ELNS1_11target_archE910ELNS1_3gpuE8ELNS1_3repE0EEENS1_30default_config_static_selectorELNS0_4arch9wavefront6targetE1EEEvT1_,comdat
.Lfunc_end291:
	.size	_ZN7rocprim17ROCPRIM_400000_NS6detail17trampoline_kernelINS0_14default_configENS1_35adjacent_difference_config_selectorILb0EhEEZNS1_24adjacent_difference_implIS3_Lb0ELb0EPhS7_N6thrust23THRUST_200600_302600_NS4plusIhEEEE10hipError_tPvRmT2_T3_mT4_P12ihipStream_tbEUlT_E_NS1_11comp_targetILNS1_3genE4ELNS1_11target_archE910ELNS1_3gpuE8ELNS1_3repE0EEENS1_30default_config_static_selectorELNS0_4arch9wavefront6targetE1EEEvT1_, .Lfunc_end291-_ZN7rocprim17ROCPRIM_400000_NS6detail17trampoline_kernelINS0_14default_configENS1_35adjacent_difference_config_selectorILb0EhEEZNS1_24adjacent_difference_implIS3_Lb0ELb0EPhS7_N6thrust23THRUST_200600_302600_NS4plusIhEEEE10hipError_tPvRmT2_T3_mT4_P12ihipStream_tbEUlT_E_NS1_11comp_targetILNS1_3genE4ELNS1_11target_archE910ELNS1_3gpuE8ELNS1_3repE0EEENS1_30default_config_static_selectorELNS0_4arch9wavefront6targetE1EEEvT1_
                                        ; -- End function
	.section	.AMDGPU.csdata,"",@progbits
; Kernel info:
; codeLenInByte = 0
; NumSgprs: 6
; NumVgprs: 0
; NumAgprs: 0
; TotalNumVgprs: 0
; ScratchSize: 0
; MemoryBound: 0
; FloatMode: 240
; IeeeMode: 1
; LDSByteSize: 0 bytes/workgroup (compile time only)
; SGPRBlocks: 0
; VGPRBlocks: 0
; NumSGPRsForWavesPerEU: 6
; NumVGPRsForWavesPerEU: 1
; AccumOffset: 4
; Occupancy: 8
; WaveLimiterHint : 0
; COMPUTE_PGM_RSRC2:SCRATCH_EN: 0
; COMPUTE_PGM_RSRC2:USER_SGPR: 2
; COMPUTE_PGM_RSRC2:TRAP_HANDLER: 0
; COMPUTE_PGM_RSRC2:TGID_X_EN: 1
; COMPUTE_PGM_RSRC2:TGID_Y_EN: 0
; COMPUTE_PGM_RSRC2:TGID_Z_EN: 0
; COMPUTE_PGM_RSRC2:TIDIG_COMP_CNT: 0
; COMPUTE_PGM_RSRC3_GFX90A:ACCUM_OFFSET: 0
; COMPUTE_PGM_RSRC3_GFX90A:TG_SPLIT: 0
	.section	.text._ZN7rocprim17ROCPRIM_400000_NS6detail17trampoline_kernelINS0_14default_configENS1_35adjacent_difference_config_selectorILb0EhEEZNS1_24adjacent_difference_implIS3_Lb0ELb0EPhS7_N6thrust23THRUST_200600_302600_NS4plusIhEEEE10hipError_tPvRmT2_T3_mT4_P12ihipStream_tbEUlT_E_NS1_11comp_targetILNS1_3genE3ELNS1_11target_archE908ELNS1_3gpuE7ELNS1_3repE0EEENS1_30default_config_static_selectorELNS0_4arch9wavefront6targetE1EEEvT1_,"axG",@progbits,_ZN7rocprim17ROCPRIM_400000_NS6detail17trampoline_kernelINS0_14default_configENS1_35adjacent_difference_config_selectorILb0EhEEZNS1_24adjacent_difference_implIS3_Lb0ELb0EPhS7_N6thrust23THRUST_200600_302600_NS4plusIhEEEE10hipError_tPvRmT2_T3_mT4_P12ihipStream_tbEUlT_E_NS1_11comp_targetILNS1_3genE3ELNS1_11target_archE908ELNS1_3gpuE7ELNS1_3repE0EEENS1_30default_config_static_selectorELNS0_4arch9wavefront6targetE1EEEvT1_,comdat
	.protected	_ZN7rocprim17ROCPRIM_400000_NS6detail17trampoline_kernelINS0_14default_configENS1_35adjacent_difference_config_selectorILb0EhEEZNS1_24adjacent_difference_implIS3_Lb0ELb0EPhS7_N6thrust23THRUST_200600_302600_NS4plusIhEEEE10hipError_tPvRmT2_T3_mT4_P12ihipStream_tbEUlT_E_NS1_11comp_targetILNS1_3genE3ELNS1_11target_archE908ELNS1_3gpuE7ELNS1_3repE0EEENS1_30default_config_static_selectorELNS0_4arch9wavefront6targetE1EEEvT1_ ; -- Begin function _ZN7rocprim17ROCPRIM_400000_NS6detail17trampoline_kernelINS0_14default_configENS1_35adjacent_difference_config_selectorILb0EhEEZNS1_24adjacent_difference_implIS3_Lb0ELb0EPhS7_N6thrust23THRUST_200600_302600_NS4plusIhEEEE10hipError_tPvRmT2_T3_mT4_P12ihipStream_tbEUlT_E_NS1_11comp_targetILNS1_3genE3ELNS1_11target_archE908ELNS1_3gpuE7ELNS1_3repE0EEENS1_30default_config_static_selectorELNS0_4arch9wavefront6targetE1EEEvT1_
	.globl	_ZN7rocprim17ROCPRIM_400000_NS6detail17trampoline_kernelINS0_14default_configENS1_35adjacent_difference_config_selectorILb0EhEEZNS1_24adjacent_difference_implIS3_Lb0ELb0EPhS7_N6thrust23THRUST_200600_302600_NS4plusIhEEEE10hipError_tPvRmT2_T3_mT4_P12ihipStream_tbEUlT_E_NS1_11comp_targetILNS1_3genE3ELNS1_11target_archE908ELNS1_3gpuE7ELNS1_3repE0EEENS1_30default_config_static_selectorELNS0_4arch9wavefront6targetE1EEEvT1_
	.p2align	8
	.type	_ZN7rocprim17ROCPRIM_400000_NS6detail17trampoline_kernelINS0_14default_configENS1_35adjacent_difference_config_selectorILb0EhEEZNS1_24adjacent_difference_implIS3_Lb0ELb0EPhS7_N6thrust23THRUST_200600_302600_NS4plusIhEEEE10hipError_tPvRmT2_T3_mT4_P12ihipStream_tbEUlT_E_NS1_11comp_targetILNS1_3genE3ELNS1_11target_archE908ELNS1_3gpuE7ELNS1_3repE0EEENS1_30default_config_static_selectorELNS0_4arch9wavefront6targetE1EEEvT1_,@function
_ZN7rocprim17ROCPRIM_400000_NS6detail17trampoline_kernelINS0_14default_configENS1_35adjacent_difference_config_selectorILb0EhEEZNS1_24adjacent_difference_implIS3_Lb0ELb0EPhS7_N6thrust23THRUST_200600_302600_NS4plusIhEEEE10hipError_tPvRmT2_T3_mT4_P12ihipStream_tbEUlT_E_NS1_11comp_targetILNS1_3genE3ELNS1_11target_archE908ELNS1_3gpuE7ELNS1_3repE0EEENS1_30default_config_static_selectorELNS0_4arch9wavefront6targetE1EEEvT1_: ; @_ZN7rocprim17ROCPRIM_400000_NS6detail17trampoline_kernelINS0_14default_configENS1_35adjacent_difference_config_selectorILb0EhEEZNS1_24adjacent_difference_implIS3_Lb0ELb0EPhS7_N6thrust23THRUST_200600_302600_NS4plusIhEEEE10hipError_tPvRmT2_T3_mT4_P12ihipStream_tbEUlT_E_NS1_11comp_targetILNS1_3genE3ELNS1_11target_archE908ELNS1_3gpuE7ELNS1_3repE0EEENS1_30default_config_static_selectorELNS0_4arch9wavefront6targetE1EEEvT1_
; %bb.0:
	.section	.rodata,"a",@progbits
	.p2align	6, 0x0
	.amdhsa_kernel _ZN7rocprim17ROCPRIM_400000_NS6detail17trampoline_kernelINS0_14default_configENS1_35adjacent_difference_config_selectorILb0EhEEZNS1_24adjacent_difference_implIS3_Lb0ELb0EPhS7_N6thrust23THRUST_200600_302600_NS4plusIhEEEE10hipError_tPvRmT2_T3_mT4_P12ihipStream_tbEUlT_E_NS1_11comp_targetILNS1_3genE3ELNS1_11target_archE908ELNS1_3gpuE7ELNS1_3repE0EEENS1_30default_config_static_selectorELNS0_4arch9wavefront6targetE1EEEvT1_
		.amdhsa_group_segment_fixed_size 0
		.amdhsa_private_segment_fixed_size 0
		.amdhsa_kernarg_size 56
		.amdhsa_user_sgpr_count 2
		.amdhsa_user_sgpr_dispatch_ptr 0
		.amdhsa_user_sgpr_queue_ptr 0
		.amdhsa_user_sgpr_kernarg_segment_ptr 1
		.amdhsa_user_sgpr_dispatch_id 0
		.amdhsa_user_sgpr_kernarg_preload_length 0
		.amdhsa_user_sgpr_kernarg_preload_offset 0
		.amdhsa_user_sgpr_private_segment_size 0
		.amdhsa_uses_dynamic_stack 0
		.amdhsa_enable_private_segment 0
		.amdhsa_system_sgpr_workgroup_id_x 1
		.amdhsa_system_sgpr_workgroup_id_y 0
		.amdhsa_system_sgpr_workgroup_id_z 0
		.amdhsa_system_sgpr_workgroup_info 0
		.amdhsa_system_vgpr_workitem_id 0
		.amdhsa_next_free_vgpr 1
		.amdhsa_next_free_sgpr 0
		.amdhsa_accum_offset 4
		.amdhsa_reserve_vcc 0
		.amdhsa_float_round_mode_32 0
		.amdhsa_float_round_mode_16_64 0
		.amdhsa_float_denorm_mode_32 3
		.amdhsa_float_denorm_mode_16_64 3
		.amdhsa_dx10_clamp 1
		.amdhsa_ieee_mode 1
		.amdhsa_fp16_overflow 0
		.amdhsa_tg_split 0
		.amdhsa_exception_fp_ieee_invalid_op 0
		.amdhsa_exception_fp_denorm_src 0
		.amdhsa_exception_fp_ieee_div_zero 0
		.amdhsa_exception_fp_ieee_overflow 0
		.amdhsa_exception_fp_ieee_underflow 0
		.amdhsa_exception_fp_ieee_inexact 0
		.amdhsa_exception_int_div_zero 0
	.end_amdhsa_kernel
	.section	.text._ZN7rocprim17ROCPRIM_400000_NS6detail17trampoline_kernelINS0_14default_configENS1_35adjacent_difference_config_selectorILb0EhEEZNS1_24adjacent_difference_implIS3_Lb0ELb0EPhS7_N6thrust23THRUST_200600_302600_NS4plusIhEEEE10hipError_tPvRmT2_T3_mT4_P12ihipStream_tbEUlT_E_NS1_11comp_targetILNS1_3genE3ELNS1_11target_archE908ELNS1_3gpuE7ELNS1_3repE0EEENS1_30default_config_static_selectorELNS0_4arch9wavefront6targetE1EEEvT1_,"axG",@progbits,_ZN7rocprim17ROCPRIM_400000_NS6detail17trampoline_kernelINS0_14default_configENS1_35adjacent_difference_config_selectorILb0EhEEZNS1_24adjacent_difference_implIS3_Lb0ELb0EPhS7_N6thrust23THRUST_200600_302600_NS4plusIhEEEE10hipError_tPvRmT2_T3_mT4_P12ihipStream_tbEUlT_E_NS1_11comp_targetILNS1_3genE3ELNS1_11target_archE908ELNS1_3gpuE7ELNS1_3repE0EEENS1_30default_config_static_selectorELNS0_4arch9wavefront6targetE1EEEvT1_,comdat
.Lfunc_end292:
	.size	_ZN7rocprim17ROCPRIM_400000_NS6detail17trampoline_kernelINS0_14default_configENS1_35adjacent_difference_config_selectorILb0EhEEZNS1_24adjacent_difference_implIS3_Lb0ELb0EPhS7_N6thrust23THRUST_200600_302600_NS4plusIhEEEE10hipError_tPvRmT2_T3_mT4_P12ihipStream_tbEUlT_E_NS1_11comp_targetILNS1_3genE3ELNS1_11target_archE908ELNS1_3gpuE7ELNS1_3repE0EEENS1_30default_config_static_selectorELNS0_4arch9wavefront6targetE1EEEvT1_, .Lfunc_end292-_ZN7rocprim17ROCPRIM_400000_NS6detail17trampoline_kernelINS0_14default_configENS1_35adjacent_difference_config_selectorILb0EhEEZNS1_24adjacent_difference_implIS3_Lb0ELb0EPhS7_N6thrust23THRUST_200600_302600_NS4plusIhEEEE10hipError_tPvRmT2_T3_mT4_P12ihipStream_tbEUlT_E_NS1_11comp_targetILNS1_3genE3ELNS1_11target_archE908ELNS1_3gpuE7ELNS1_3repE0EEENS1_30default_config_static_selectorELNS0_4arch9wavefront6targetE1EEEvT1_
                                        ; -- End function
	.section	.AMDGPU.csdata,"",@progbits
; Kernel info:
; codeLenInByte = 0
; NumSgprs: 6
; NumVgprs: 0
; NumAgprs: 0
; TotalNumVgprs: 0
; ScratchSize: 0
; MemoryBound: 0
; FloatMode: 240
; IeeeMode: 1
; LDSByteSize: 0 bytes/workgroup (compile time only)
; SGPRBlocks: 0
; VGPRBlocks: 0
; NumSGPRsForWavesPerEU: 6
; NumVGPRsForWavesPerEU: 1
; AccumOffset: 4
; Occupancy: 8
; WaveLimiterHint : 0
; COMPUTE_PGM_RSRC2:SCRATCH_EN: 0
; COMPUTE_PGM_RSRC2:USER_SGPR: 2
; COMPUTE_PGM_RSRC2:TRAP_HANDLER: 0
; COMPUTE_PGM_RSRC2:TGID_X_EN: 1
; COMPUTE_PGM_RSRC2:TGID_Y_EN: 0
; COMPUTE_PGM_RSRC2:TGID_Z_EN: 0
; COMPUTE_PGM_RSRC2:TIDIG_COMP_CNT: 0
; COMPUTE_PGM_RSRC3_GFX90A:ACCUM_OFFSET: 0
; COMPUTE_PGM_RSRC3_GFX90A:TG_SPLIT: 0
	.section	.text._ZN7rocprim17ROCPRIM_400000_NS6detail17trampoline_kernelINS0_14default_configENS1_35adjacent_difference_config_selectorILb0EhEEZNS1_24adjacent_difference_implIS3_Lb0ELb0EPhS7_N6thrust23THRUST_200600_302600_NS4plusIhEEEE10hipError_tPvRmT2_T3_mT4_P12ihipStream_tbEUlT_E_NS1_11comp_targetILNS1_3genE2ELNS1_11target_archE906ELNS1_3gpuE6ELNS1_3repE0EEENS1_30default_config_static_selectorELNS0_4arch9wavefront6targetE1EEEvT1_,"axG",@progbits,_ZN7rocprim17ROCPRIM_400000_NS6detail17trampoline_kernelINS0_14default_configENS1_35adjacent_difference_config_selectorILb0EhEEZNS1_24adjacent_difference_implIS3_Lb0ELb0EPhS7_N6thrust23THRUST_200600_302600_NS4plusIhEEEE10hipError_tPvRmT2_T3_mT4_P12ihipStream_tbEUlT_E_NS1_11comp_targetILNS1_3genE2ELNS1_11target_archE906ELNS1_3gpuE6ELNS1_3repE0EEENS1_30default_config_static_selectorELNS0_4arch9wavefront6targetE1EEEvT1_,comdat
	.protected	_ZN7rocprim17ROCPRIM_400000_NS6detail17trampoline_kernelINS0_14default_configENS1_35adjacent_difference_config_selectorILb0EhEEZNS1_24adjacent_difference_implIS3_Lb0ELb0EPhS7_N6thrust23THRUST_200600_302600_NS4plusIhEEEE10hipError_tPvRmT2_T3_mT4_P12ihipStream_tbEUlT_E_NS1_11comp_targetILNS1_3genE2ELNS1_11target_archE906ELNS1_3gpuE6ELNS1_3repE0EEENS1_30default_config_static_selectorELNS0_4arch9wavefront6targetE1EEEvT1_ ; -- Begin function _ZN7rocprim17ROCPRIM_400000_NS6detail17trampoline_kernelINS0_14default_configENS1_35adjacent_difference_config_selectorILb0EhEEZNS1_24adjacent_difference_implIS3_Lb0ELb0EPhS7_N6thrust23THRUST_200600_302600_NS4plusIhEEEE10hipError_tPvRmT2_T3_mT4_P12ihipStream_tbEUlT_E_NS1_11comp_targetILNS1_3genE2ELNS1_11target_archE906ELNS1_3gpuE6ELNS1_3repE0EEENS1_30default_config_static_selectorELNS0_4arch9wavefront6targetE1EEEvT1_
	.globl	_ZN7rocprim17ROCPRIM_400000_NS6detail17trampoline_kernelINS0_14default_configENS1_35adjacent_difference_config_selectorILb0EhEEZNS1_24adjacent_difference_implIS3_Lb0ELb0EPhS7_N6thrust23THRUST_200600_302600_NS4plusIhEEEE10hipError_tPvRmT2_T3_mT4_P12ihipStream_tbEUlT_E_NS1_11comp_targetILNS1_3genE2ELNS1_11target_archE906ELNS1_3gpuE6ELNS1_3repE0EEENS1_30default_config_static_selectorELNS0_4arch9wavefront6targetE1EEEvT1_
	.p2align	8
	.type	_ZN7rocprim17ROCPRIM_400000_NS6detail17trampoline_kernelINS0_14default_configENS1_35adjacent_difference_config_selectorILb0EhEEZNS1_24adjacent_difference_implIS3_Lb0ELb0EPhS7_N6thrust23THRUST_200600_302600_NS4plusIhEEEE10hipError_tPvRmT2_T3_mT4_P12ihipStream_tbEUlT_E_NS1_11comp_targetILNS1_3genE2ELNS1_11target_archE906ELNS1_3gpuE6ELNS1_3repE0EEENS1_30default_config_static_selectorELNS0_4arch9wavefront6targetE1EEEvT1_,@function
_ZN7rocprim17ROCPRIM_400000_NS6detail17trampoline_kernelINS0_14default_configENS1_35adjacent_difference_config_selectorILb0EhEEZNS1_24adjacent_difference_implIS3_Lb0ELb0EPhS7_N6thrust23THRUST_200600_302600_NS4plusIhEEEE10hipError_tPvRmT2_T3_mT4_P12ihipStream_tbEUlT_E_NS1_11comp_targetILNS1_3genE2ELNS1_11target_archE906ELNS1_3gpuE6ELNS1_3repE0EEENS1_30default_config_static_selectorELNS0_4arch9wavefront6targetE1EEEvT1_: ; @_ZN7rocprim17ROCPRIM_400000_NS6detail17trampoline_kernelINS0_14default_configENS1_35adjacent_difference_config_selectorILb0EhEEZNS1_24adjacent_difference_implIS3_Lb0ELb0EPhS7_N6thrust23THRUST_200600_302600_NS4plusIhEEEE10hipError_tPvRmT2_T3_mT4_P12ihipStream_tbEUlT_E_NS1_11comp_targetILNS1_3genE2ELNS1_11target_archE906ELNS1_3gpuE6ELNS1_3repE0EEENS1_30default_config_static_selectorELNS0_4arch9wavefront6targetE1EEEvT1_
; %bb.0:
	.section	.rodata,"a",@progbits
	.p2align	6, 0x0
	.amdhsa_kernel _ZN7rocprim17ROCPRIM_400000_NS6detail17trampoline_kernelINS0_14default_configENS1_35adjacent_difference_config_selectorILb0EhEEZNS1_24adjacent_difference_implIS3_Lb0ELb0EPhS7_N6thrust23THRUST_200600_302600_NS4plusIhEEEE10hipError_tPvRmT2_T3_mT4_P12ihipStream_tbEUlT_E_NS1_11comp_targetILNS1_3genE2ELNS1_11target_archE906ELNS1_3gpuE6ELNS1_3repE0EEENS1_30default_config_static_selectorELNS0_4arch9wavefront6targetE1EEEvT1_
		.amdhsa_group_segment_fixed_size 0
		.amdhsa_private_segment_fixed_size 0
		.amdhsa_kernarg_size 56
		.amdhsa_user_sgpr_count 2
		.amdhsa_user_sgpr_dispatch_ptr 0
		.amdhsa_user_sgpr_queue_ptr 0
		.amdhsa_user_sgpr_kernarg_segment_ptr 1
		.amdhsa_user_sgpr_dispatch_id 0
		.amdhsa_user_sgpr_kernarg_preload_length 0
		.amdhsa_user_sgpr_kernarg_preload_offset 0
		.amdhsa_user_sgpr_private_segment_size 0
		.amdhsa_uses_dynamic_stack 0
		.amdhsa_enable_private_segment 0
		.amdhsa_system_sgpr_workgroup_id_x 1
		.amdhsa_system_sgpr_workgroup_id_y 0
		.amdhsa_system_sgpr_workgroup_id_z 0
		.amdhsa_system_sgpr_workgroup_info 0
		.amdhsa_system_vgpr_workitem_id 0
		.amdhsa_next_free_vgpr 1
		.amdhsa_next_free_sgpr 0
		.amdhsa_accum_offset 4
		.amdhsa_reserve_vcc 0
		.amdhsa_float_round_mode_32 0
		.amdhsa_float_round_mode_16_64 0
		.amdhsa_float_denorm_mode_32 3
		.amdhsa_float_denorm_mode_16_64 3
		.amdhsa_dx10_clamp 1
		.amdhsa_ieee_mode 1
		.amdhsa_fp16_overflow 0
		.amdhsa_tg_split 0
		.amdhsa_exception_fp_ieee_invalid_op 0
		.amdhsa_exception_fp_denorm_src 0
		.amdhsa_exception_fp_ieee_div_zero 0
		.amdhsa_exception_fp_ieee_overflow 0
		.amdhsa_exception_fp_ieee_underflow 0
		.amdhsa_exception_fp_ieee_inexact 0
		.amdhsa_exception_int_div_zero 0
	.end_amdhsa_kernel
	.section	.text._ZN7rocprim17ROCPRIM_400000_NS6detail17trampoline_kernelINS0_14default_configENS1_35adjacent_difference_config_selectorILb0EhEEZNS1_24adjacent_difference_implIS3_Lb0ELb0EPhS7_N6thrust23THRUST_200600_302600_NS4plusIhEEEE10hipError_tPvRmT2_T3_mT4_P12ihipStream_tbEUlT_E_NS1_11comp_targetILNS1_3genE2ELNS1_11target_archE906ELNS1_3gpuE6ELNS1_3repE0EEENS1_30default_config_static_selectorELNS0_4arch9wavefront6targetE1EEEvT1_,"axG",@progbits,_ZN7rocprim17ROCPRIM_400000_NS6detail17trampoline_kernelINS0_14default_configENS1_35adjacent_difference_config_selectorILb0EhEEZNS1_24adjacent_difference_implIS3_Lb0ELb0EPhS7_N6thrust23THRUST_200600_302600_NS4plusIhEEEE10hipError_tPvRmT2_T3_mT4_P12ihipStream_tbEUlT_E_NS1_11comp_targetILNS1_3genE2ELNS1_11target_archE906ELNS1_3gpuE6ELNS1_3repE0EEENS1_30default_config_static_selectorELNS0_4arch9wavefront6targetE1EEEvT1_,comdat
.Lfunc_end293:
	.size	_ZN7rocprim17ROCPRIM_400000_NS6detail17trampoline_kernelINS0_14default_configENS1_35adjacent_difference_config_selectorILb0EhEEZNS1_24adjacent_difference_implIS3_Lb0ELb0EPhS7_N6thrust23THRUST_200600_302600_NS4plusIhEEEE10hipError_tPvRmT2_T3_mT4_P12ihipStream_tbEUlT_E_NS1_11comp_targetILNS1_3genE2ELNS1_11target_archE906ELNS1_3gpuE6ELNS1_3repE0EEENS1_30default_config_static_selectorELNS0_4arch9wavefront6targetE1EEEvT1_, .Lfunc_end293-_ZN7rocprim17ROCPRIM_400000_NS6detail17trampoline_kernelINS0_14default_configENS1_35adjacent_difference_config_selectorILb0EhEEZNS1_24adjacent_difference_implIS3_Lb0ELb0EPhS7_N6thrust23THRUST_200600_302600_NS4plusIhEEEE10hipError_tPvRmT2_T3_mT4_P12ihipStream_tbEUlT_E_NS1_11comp_targetILNS1_3genE2ELNS1_11target_archE906ELNS1_3gpuE6ELNS1_3repE0EEENS1_30default_config_static_selectorELNS0_4arch9wavefront6targetE1EEEvT1_
                                        ; -- End function
	.section	.AMDGPU.csdata,"",@progbits
; Kernel info:
; codeLenInByte = 0
; NumSgprs: 6
; NumVgprs: 0
; NumAgprs: 0
; TotalNumVgprs: 0
; ScratchSize: 0
; MemoryBound: 0
; FloatMode: 240
; IeeeMode: 1
; LDSByteSize: 0 bytes/workgroup (compile time only)
; SGPRBlocks: 0
; VGPRBlocks: 0
; NumSGPRsForWavesPerEU: 6
; NumVGPRsForWavesPerEU: 1
; AccumOffset: 4
; Occupancy: 8
; WaveLimiterHint : 0
; COMPUTE_PGM_RSRC2:SCRATCH_EN: 0
; COMPUTE_PGM_RSRC2:USER_SGPR: 2
; COMPUTE_PGM_RSRC2:TRAP_HANDLER: 0
; COMPUTE_PGM_RSRC2:TGID_X_EN: 1
; COMPUTE_PGM_RSRC2:TGID_Y_EN: 0
; COMPUTE_PGM_RSRC2:TGID_Z_EN: 0
; COMPUTE_PGM_RSRC2:TIDIG_COMP_CNT: 0
; COMPUTE_PGM_RSRC3_GFX90A:ACCUM_OFFSET: 0
; COMPUTE_PGM_RSRC3_GFX90A:TG_SPLIT: 0
	.section	.text._ZN7rocprim17ROCPRIM_400000_NS6detail17trampoline_kernelINS0_14default_configENS1_35adjacent_difference_config_selectorILb0EhEEZNS1_24adjacent_difference_implIS3_Lb0ELb0EPhS7_N6thrust23THRUST_200600_302600_NS4plusIhEEEE10hipError_tPvRmT2_T3_mT4_P12ihipStream_tbEUlT_E_NS1_11comp_targetILNS1_3genE9ELNS1_11target_archE1100ELNS1_3gpuE3ELNS1_3repE0EEENS1_30default_config_static_selectorELNS0_4arch9wavefront6targetE1EEEvT1_,"axG",@progbits,_ZN7rocprim17ROCPRIM_400000_NS6detail17trampoline_kernelINS0_14default_configENS1_35adjacent_difference_config_selectorILb0EhEEZNS1_24adjacent_difference_implIS3_Lb0ELb0EPhS7_N6thrust23THRUST_200600_302600_NS4plusIhEEEE10hipError_tPvRmT2_T3_mT4_P12ihipStream_tbEUlT_E_NS1_11comp_targetILNS1_3genE9ELNS1_11target_archE1100ELNS1_3gpuE3ELNS1_3repE0EEENS1_30default_config_static_selectorELNS0_4arch9wavefront6targetE1EEEvT1_,comdat
	.protected	_ZN7rocprim17ROCPRIM_400000_NS6detail17trampoline_kernelINS0_14default_configENS1_35adjacent_difference_config_selectorILb0EhEEZNS1_24adjacent_difference_implIS3_Lb0ELb0EPhS7_N6thrust23THRUST_200600_302600_NS4plusIhEEEE10hipError_tPvRmT2_T3_mT4_P12ihipStream_tbEUlT_E_NS1_11comp_targetILNS1_3genE9ELNS1_11target_archE1100ELNS1_3gpuE3ELNS1_3repE0EEENS1_30default_config_static_selectorELNS0_4arch9wavefront6targetE1EEEvT1_ ; -- Begin function _ZN7rocprim17ROCPRIM_400000_NS6detail17trampoline_kernelINS0_14default_configENS1_35adjacent_difference_config_selectorILb0EhEEZNS1_24adjacent_difference_implIS3_Lb0ELb0EPhS7_N6thrust23THRUST_200600_302600_NS4plusIhEEEE10hipError_tPvRmT2_T3_mT4_P12ihipStream_tbEUlT_E_NS1_11comp_targetILNS1_3genE9ELNS1_11target_archE1100ELNS1_3gpuE3ELNS1_3repE0EEENS1_30default_config_static_selectorELNS0_4arch9wavefront6targetE1EEEvT1_
	.globl	_ZN7rocprim17ROCPRIM_400000_NS6detail17trampoline_kernelINS0_14default_configENS1_35adjacent_difference_config_selectorILb0EhEEZNS1_24adjacent_difference_implIS3_Lb0ELb0EPhS7_N6thrust23THRUST_200600_302600_NS4plusIhEEEE10hipError_tPvRmT2_T3_mT4_P12ihipStream_tbEUlT_E_NS1_11comp_targetILNS1_3genE9ELNS1_11target_archE1100ELNS1_3gpuE3ELNS1_3repE0EEENS1_30default_config_static_selectorELNS0_4arch9wavefront6targetE1EEEvT1_
	.p2align	8
	.type	_ZN7rocprim17ROCPRIM_400000_NS6detail17trampoline_kernelINS0_14default_configENS1_35adjacent_difference_config_selectorILb0EhEEZNS1_24adjacent_difference_implIS3_Lb0ELb0EPhS7_N6thrust23THRUST_200600_302600_NS4plusIhEEEE10hipError_tPvRmT2_T3_mT4_P12ihipStream_tbEUlT_E_NS1_11comp_targetILNS1_3genE9ELNS1_11target_archE1100ELNS1_3gpuE3ELNS1_3repE0EEENS1_30default_config_static_selectorELNS0_4arch9wavefront6targetE1EEEvT1_,@function
_ZN7rocprim17ROCPRIM_400000_NS6detail17trampoline_kernelINS0_14default_configENS1_35adjacent_difference_config_selectorILb0EhEEZNS1_24adjacent_difference_implIS3_Lb0ELb0EPhS7_N6thrust23THRUST_200600_302600_NS4plusIhEEEE10hipError_tPvRmT2_T3_mT4_P12ihipStream_tbEUlT_E_NS1_11comp_targetILNS1_3genE9ELNS1_11target_archE1100ELNS1_3gpuE3ELNS1_3repE0EEENS1_30default_config_static_selectorELNS0_4arch9wavefront6targetE1EEEvT1_: ; @_ZN7rocprim17ROCPRIM_400000_NS6detail17trampoline_kernelINS0_14default_configENS1_35adjacent_difference_config_selectorILb0EhEEZNS1_24adjacent_difference_implIS3_Lb0ELb0EPhS7_N6thrust23THRUST_200600_302600_NS4plusIhEEEE10hipError_tPvRmT2_T3_mT4_P12ihipStream_tbEUlT_E_NS1_11comp_targetILNS1_3genE9ELNS1_11target_archE1100ELNS1_3gpuE3ELNS1_3repE0EEENS1_30default_config_static_selectorELNS0_4arch9wavefront6targetE1EEEvT1_
; %bb.0:
	.section	.rodata,"a",@progbits
	.p2align	6, 0x0
	.amdhsa_kernel _ZN7rocprim17ROCPRIM_400000_NS6detail17trampoline_kernelINS0_14default_configENS1_35adjacent_difference_config_selectorILb0EhEEZNS1_24adjacent_difference_implIS3_Lb0ELb0EPhS7_N6thrust23THRUST_200600_302600_NS4plusIhEEEE10hipError_tPvRmT2_T3_mT4_P12ihipStream_tbEUlT_E_NS1_11comp_targetILNS1_3genE9ELNS1_11target_archE1100ELNS1_3gpuE3ELNS1_3repE0EEENS1_30default_config_static_selectorELNS0_4arch9wavefront6targetE1EEEvT1_
		.amdhsa_group_segment_fixed_size 0
		.amdhsa_private_segment_fixed_size 0
		.amdhsa_kernarg_size 56
		.amdhsa_user_sgpr_count 2
		.amdhsa_user_sgpr_dispatch_ptr 0
		.amdhsa_user_sgpr_queue_ptr 0
		.amdhsa_user_sgpr_kernarg_segment_ptr 1
		.amdhsa_user_sgpr_dispatch_id 0
		.amdhsa_user_sgpr_kernarg_preload_length 0
		.amdhsa_user_sgpr_kernarg_preload_offset 0
		.amdhsa_user_sgpr_private_segment_size 0
		.amdhsa_uses_dynamic_stack 0
		.amdhsa_enable_private_segment 0
		.amdhsa_system_sgpr_workgroup_id_x 1
		.amdhsa_system_sgpr_workgroup_id_y 0
		.amdhsa_system_sgpr_workgroup_id_z 0
		.amdhsa_system_sgpr_workgroup_info 0
		.amdhsa_system_vgpr_workitem_id 0
		.amdhsa_next_free_vgpr 1
		.amdhsa_next_free_sgpr 0
		.amdhsa_accum_offset 4
		.amdhsa_reserve_vcc 0
		.amdhsa_float_round_mode_32 0
		.amdhsa_float_round_mode_16_64 0
		.amdhsa_float_denorm_mode_32 3
		.amdhsa_float_denorm_mode_16_64 3
		.amdhsa_dx10_clamp 1
		.amdhsa_ieee_mode 1
		.amdhsa_fp16_overflow 0
		.amdhsa_tg_split 0
		.amdhsa_exception_fp_ieee_invalid_op 0
		.amdhsa_exception_fp_denorm_src 0
		.amdhsa_exception_fp_ieee_div_zero 0
		.amdhsa_exception_fp_ieee_overflow 0
		.amdhsa_exception_fp_ieee_underflow 0
		.amdhsa_exception_fp_ieee_inexact 0
		.amdhsa_exception_int_div_zero 0
	.end_amdhsa_kernel
	.section	.text._ZN7rocprim17ROCPRIM_400000_NS6detail17trampoline_kernelINS0_14default_configENS1_35adjacent_difference_config_selectorILb0EhEEZNS1_24adjacent_difference_implIS3_Lb0ELb0EPhS7_N6thrust23THRUST_200600_302600_NS4plusIhEEEE10hipError_tPvRmT2_T3_mT4_P12ihipStream_tbEUlT_E_NS1_11comp_targetILNS1_3genE9ELNS1_11target_archE1100ELNS1_3gpuE3ELNS1_3repE0EEENS1_30default_config_static_selectorELNS0_4arch9wavefront6targetE1EEEvT1_,"axG",@progbits,_ZN7rocprim17ROCPRIM_400000_NS6detail17trampoline_kernelINS0_14default_configENS1_35adjacent_difference_config_selectorILb0EhEEZNS1_24adjacent_difference_implIS3_Lb0ELb0EPhS7_N6thrust23THRUST_200600_302600_NS4plusIhEEEE10hipError_tPvRmT2_T3_mT4_P12ihipStream_tbEUlT_E_NS1_11comp_targetILNS1_3genE9ELNS1_11target_archE1100ELNS1_3gpuE3ELNS1_3repE0EEENS1_30default_config_static_selectorELNS0_4arch9wavefront6targetE1EEEvT1_,comdat
.Lfunc_end294:
	.size	_ZN7rocprim17ROCPRIM_400000_NS6detail17trampoline_kernelINS0_14default_configENS1_35adjacent_difference_config_selectorILb0EhEEZNS1_24adjacent_difference_implIS3_Lb0ELb0EPhS7_N6thrust23THRUST_200600_302600_NS4plusIhEEEE10hipError_tPvRmT2_T3_mT4_P12ihipStream_tbEUlT_E_NS1_11comp_targetILNS1_3genE9ELNS1_11target_archE1100ELNS1_3gpuE3ELNS1_3repE0EEENS1_30default_config_static_selectorELNS0_4arch9wavefront6targetE1EEEvT1_, .Lfunc_end294-_ZN7rocprim17ROCPRIM_400000_NS6detail17trampoline_kernelINS0_14default_configENS1_35adjacent_difference_config_selectorILb0EhEEZNS1_24adjacent_difference_implIS3_Lb0ELb0EPhS7_N6thrust23THRUST_200600_302600_NS4plusIhEEEE10hipError_tPvRmT2_T3_mT4_P12ihipStream_tbEUlT_E_NS1_11comp_targetILNS1_3genE9ELNS1_11target_archE1100ELNS1_3gpuE3ELNS1_3repE0EEENS1_30default_config_static_selectorELNS0_4arch9wavefront6targetE1EEEvT1_
                                        ; -- End function
	.section	.AMDGPU.csdata,"",@progbits
; Kernel info:
; codeLenInByte = 0
; NumSgprs: 6
; NumVgprs: 0
; NumAgprs: 0
; TotalNumVgprs: 0
; ScratchSize: 0
; MemoryBound: 0
; FloatMode: 240
; IeeeMode: 1
; LDSByteSize: 0 bytes/workgroup (compile time only)
; SGPRBlocks: 0
; VGPRBlocks: 0
; NumSGPRsForWavesPerEU: 6
; NumVGPRsForWavesPerEU: 1
; AccumOffset: 4
; Occupancy: 8
; WaveLimiterHint : 0
; COMPUTE_PGM_RSRC2:SCRATCH_EN: 0
; COMPUTE_PGM_RSRC2:USER_SGPR: 2
; COMPUTE_PGM_RSRC2:TRAP_HANDLER: 0
; COMPUTE_PGM_RSRC2:TGID_X_EN: 1
; COMPUTE_PGM_RSRC2:TGID_Y_EN: 0
; COMPUTE_PGM_RSRC2:TGID_Z_EN: 0
; COMPUTE_PGM_RSRC2:TIDIG_COMP_CNT: 0
; COMPUTE_PGM_RSRC3_GFX90A:ACCUM_OFFSET: 0
; COMPUTE_PGM_RSRC3_GFX90A:TG_SPLIT: 0
	.section	.text._ZN7rocprim17ROCPRIM_400000_NS6detail17trampoline_kernelINS0_14default_configENS1_35adjacent_difference_config_selectorILb0EhEEZNS1_24adjacent_difference_implIS3_Lb0ELb0EPhS7_N6thrust23THRUST_200600_302600_NS4plusIhEEEE10hipError_tPvRmT2_T3_mT4_P12ihipStream_tbEUlT_E_NS1_11comp_targetILNS1_3genE8ELNS1_11target_archE1030ELNS1_3gpuE2ELNS1_3repE0EEENS1_30default_config_static_selectorELNS0_4arch9wavefront6targetE1EEEvT1_,"axG",@progbits,_ZN7rocprim17ROCPRIM_400000_NS6detail17trampoline_kernelINS0_14default_configENS1_35adjacent_difference_config_selectorILb0EhEEZNS1_24adjacent_difference_implIS3_Lb0ELb0EPhS7_N6thrust23THRUST_200600_302600_NS4plusIhEEEE10hipError_tPvRmT2_T3_mT4_P12ihipStream_tbEUlT_E_NS1_11comp_targetILNS1_3genE8ELNS1_11target_archE1030ELNS1_3gpuE2ELNS1_3repE0EEENS1_30default_config_static_selectorELNS0_4arch9wavefront6targetE1EEEvT1_,comdat
	.protected	_ZN7rocprim17ROCPRIM_400000_NS6detail17trampoline_kernelINS0_14default_configENS1_35adjacent_difference_config_selectorILb0EhEEZNS1_24adjacent_difference_implIS3_Lb0ELb0EPhS7_N6thrust23THRUST_200600_302600_NS4plusIhEEEE10hipError_tPvRmT2_T3_mT4_P12ihipStream_tbEUlT_E_NS1_11comp_targetILNS1_3genE8ELNS1_11target_archE1030ELNS1_3gpuE2ELNS1_3repE0EEENS1_30default_config_static_selectorELNS0_4arch9wavefront6targetE1EEEvT1_ ; -- Begin function _ZN7rocprim17ROCPRIM_400000_NS6detail17trampoline_kernelINS0_14default_configENS1_35adjacent_difference_config_selectorILb0EhEEZNS1_24adjacent_difference_implIS3_Lb0ELb0EPhS7_N6thrust23THRUST_200600_302600_NS4plusIhEEEE10hipError_tPvRmT2_T3_mT4_P12ihipStream_tbEUlT_E_NS1_11comp_targetILNS1_3genE8ELNS1_11target_archE1030ELNS1_3gpuE2ELNS1_3repE0EEENS1_30default_config_static_selectorELNS0_4arch9wavefront6targetE1EEEvT1_
	.globl	_ZN7rocprim17ROCPRIM_400000_NS6detail17trampoline_kernelINS0_14default_configENS1_35adjacent_difference_config_selectorILb0EhEEZNS1_24adjacent_difference_implIS3_Lb0ELb0EPhS7_N6thrust23THRUST_200600_302600_NS4plusIhEEEE10hipError_tPvRmT2_T3_mT4_P12ihipStream_tbEUlT_E_NS1_11comp_targetILNS1_3genE8ELNS1_11target_archE1030ELNS1_3gpuE2ELNS1_3repE0EEENS1_30default_config_static_selectorELNS0_4arch9wavefront6targetE1EEEvT1_
	.p2align	8
	.type	_ZN7rocprim17ROCPRIM_400000_NS6detail17trampoline_kernelINS0_14default_configENS1_35adjacent_difference_config_selectorILb0EhEEZNS1_24adjacent_difference_implIS3_Lb0ELb0EPhS7_N6thrust23THRUST_200600_302600_NS4plusIhEEEE10hipError_tPvRmT2_T3_mT4_P12ihipStream_tbEUlT_E_NS1_11comp_targetILNS1_3genE8ELNS1_11target_archE1030ELNS1_3gpuE2ELNS1_3repE0EEENS1_30default_config_static_selectorELNS0_4arch9wavefront6targetE1EEEvT1_,@function
_ZN7rocprim17ROCPRIM_400000_NS6detail17trampoline_kernelINS0_14default_configENS1_35adjacent_difference_config_selectorILb0EhEEZNS1_24adjacent_difference_implIS3_Lb0ELb0EPhS7_N6thrust23THRUST_200600_302600_NS4plusIhEEEE10hipError_tPvRmT2_T3_mT4_P12ihipStream_tbEUlT_E_NS1_11comp_targetILNS1_3genE8ELNS1_11target_archE1030ELNS1_3gpuE2ELNS1_3repE0EEENS1_30default_config_static_selectorELNS0_4arch9wavefront6targetE1EEEvT1_: ; @_ZN7rocprim17ROCPRIM_400000_NS6detail17trampoline_kernelINS0_14default_configENS1_35adjacent_difference_config_selectorILb0EhEEZNS1_24adjacent_difference_implIS3_Lb0ELb0EPhS7_N6thrust23THRUST_200600_302600_NS4plusIhEEEE10hipError_tPvRmT2_T3_mT4_P12ihipStream_tbEUlT_E_NS1_11comp_targetILNS1_3genE8ELNS1_11target_archE1030ELNS1_3gpuE2ELNS1_3repE0EEENS1_30default_config_static_selectorELNS0_4arch9wavefront6targetE1EEEvT1_
; %bb.0:
	.section	.rodata,"a",@progbits
	.p2align	6, 0x0
	.amdhsa_kernel _ZN7rocprim17ROCPRIM_400000_NS6detail17trampoline_kernelINS0_14default_configENS1_35adjacent_difference_config_selectorILb0EhEEZNS1_24adjacent_difference_implIS3_Lb0ELb0EPhS7_N6thrust23THRUST_200600_302600_NS4plusIhEEEE10hipError_tPvRmT2_T3_mT4_P12ihipStream_tbEUlT_E_NS1_11comp_targetILNS1_3genE8ELNS1_11target_archE1030ELNS1_3gpuE2ELNS1_3repE0EEENS1_30default_config_static_selectorELNS0_4arch9wavefront6targetE1EEEvT1_
		.amdhsa_group_segment_fixed_size 0
		.amdhsa_private_segment_fixed_size 0
		.amdhsa_kernarg_size 56
		.amdhsa_user_sgpr_count 2
		.amdhsa_user_sgpr_dispatch_ptr 0
		.amdhsa_user_sgpr_queue_ptr 0
		.amdhsa_user_sgpr_kernarg_segment_ptr 1
		.amdhsa_user_sgpr_dispatch_id 0
		.amdhsa_user_sgpr_kernarg_preload_length 0
		.amdhsa_user_sgpr_kernarg_preload_offset 0
		.amdhsa_user_sgpr_private_segment_size 0
		.amdhsa_uses_dynamic_stack 0
		.amdhsa_enable_private_segment 0
		.amdhsa_system_sgpr_workgroup_id_x 1
		.amdhsa_system_sgpr_workgroup_id_y 0
		.amdhsa_system_sgpr_workgroup_id_z 0
		.amdhsa_system_sgpr_workgroup_info 0
		.amdhsa_system_vgpr_workitem_id 0
		.amdhsa_next_free_vgpr 1
		.amdhsa_next_free_sgpr 0
		.amdhsa_accum_offset 4
		.amdhsa_reserve_vcc 0
		.amdhsa_float_round_mode_32 0
		.amdhsa_float_round_mode_16_64 0
		.amdhsa_float_denorm_mode_32 3
		.amdhsa_float_denorm_mode_16_64 3
		.amdhsa_dx10_clamp 1
		.amdhsa_ieee_mode 1
		.amdhsa_fp16_overflow 0
		.amdhsa_tg_split 0
		.amdhsa_exception_fp_ieee_invalid_op 0
		.amdhsa_exception_fp_denorm_src 0
		.amdhsa_exception_fp_ieee_div_zero 0
		.amdhsa_exception_fp_ieee_overflow 0
		.amdhsa_exception_fp_ieee_underflow 0
		.amdhsa_exception_fp_ieee_inexact 0
		.amdhsa_exception_int_div_zero 0
	.end_amdhsa_kernel
	.section	.text._ZN7rocprim17ROCPRIM_400000_NS6detail17trampoline_kernelINS0_14default_configENS1_35adjacent_difference_config_selectorILb0EhEEZNS1_24adjacent_difference_implIS3_Lb0ELb0EPhS7_N6thrust23THRUST_200600_302600_NS4plusIhEEEE10hipError_tPvRmT2_T3_mT4_P12ihipStream_tbEUlT_E_NS1_11comp_targetILNS1_3genE8ELNS1_11target_archE1030ELNS1_3gpuE2ELNS1_3repE0EEENS1_30default_config_static_selectorELNS0_4arch9wavefront6targetE1EEEvT1_,"axG",@progbits,_ZN7rocprim17ROCPRIM_400000_NS6detail17trampoline_kernelINS0_14default_configENS1_35adjacent_difference_config_selectorILb0EhEEZNS1_24adjacent_difference_implIS3_Lb0ELb0EPhS7_N6thrust23THRUST_200600_302600_NS4plusIhEEEE10hipError_tPvRmT2_T3_mT4_P12ihipStream_tbEUlT_E_NS1_11comp_targetILNS1_3genE8ELNS1_11target_archE1030ELNS1_3gpuE2ELNS1_3repE0EEENS1_30default_config_static_selectorELNS0_4arch9wavefront6targetE1EEEvT1_,comdat
.Lfunc_end295:
	.size	_ZN7rocprim17ROCPRIM_400000_NS6detail17trampoline_kernelINS0_14default_configENS1_35adjacent_difference_config_selectorILb0EhEEZNS1_24adjacent_difference_implIS3_Lb0ELb0EPhS7_N6thrust23THRUST_200600_302600_NS4plusIhEEEE10hipError_tPvRmT2_T3_mT4_P12ihipStream_tbEUlT_E_NS1_11comp_targetILNS1_3genE8ELNS1_11target_archE1030ELNS1_3gpuE2ELNS1_3repE0EEENS1_30default_config_static_selectorELNS0_4arch9wavefront6targetE1EEEvT1_, .Lfunc_end295-_ZN7rocprim17ROCPRIM_400000_NS6detail17trampoline_kernelINS0_14default_configENS1_35adjacent_difference_config_selectorILb0EhEEZNS1_24adjacent_difference_implIS3_Lb0ELb0EPhS7_N6thrust23THRUST_200600_302600_NS4plusIhEEEE10hipError_tPvRmT2_T3_mT4_P12ihipStream_tbEUlT_E_NS1_11comp_targetILNS1_3genE8ELNS1_11target_archE1030ELNS1_3gpuE2ELNS1_3repE0EEENS1_30default_config_static_selectorELNS0_4arch9wavefront6targetE1EEEvT1_
                                        ; -- End function
	.section	.AMDGPU.csdata,"",@progbits
; Kernel info:
; codeLenInByte = 0
; NumSgprs: 6
; NumVgprs: 0
; NumAgprs: 0
; TotalNumVgprs: 0
; ScratchSize: 0
; MemoryBound: 0
; FloatMode: 240
; IeeeMode: 1
; LDSByteSize: 0 bytes/workgroup (compile time only)
; SGPRBlocks: 0
; VGPRBlocks: 0
; NumSGPRsForWavesPerEU: 6
; NumVGPRsForWavesPerEU: 1
; AccumOffset: 4
; Occupancy: 8
; WaveLimiterHint : 0
; COMPUTE_PGM_RSRC2:SCRATCH_EN: 0
; COMPUTE_PGM_RSRC2:USER_SGPR: 2
; COMPUTE_PGM_RSRC2:TRAP_HANDLER: 0
; COMPUTE_PGM_RSRC2:TGID_X_EN: 1
; COMPUTE_PGM_RSRC2:TGID_Y_EN: 0
; COMPUTE_PGM_RSRC2:TGID_Z_EN: 0
; COMPUTE_PGM_RSRC2:TIDIG_COMP_CNT: 0
; COMPUTE_PGM_RSRC3_GFX90A:ACCUM_OFFSET: 0
; COMPUTE_PGM_RSRC3_GFX90A:TG_SPLIT: 0
	.section	.text._ZN7rocprim17ROCPRIM_400000_NS6detail17trampoline_kernelINS0_14default_configENS1_25transform_config_selectorIhLb0EEEZNS1_14transform_implILb0ES3_S5_NS0_18transform_iteratorINS0_17counting_iteratorImlEEZNS1_24adjacent_difference_implIS3_Lb1ELb0EPhSB_N6thrust23THRUST_200600_302600_NS4plusIhEEEE10hipError_tPvRmT2_T3_mT4_P12ihipStream_tbEUlmE_hEESB_NS0_8identityIvEEEESG_SJ_SK_mSL_SN_bEUlT_E_NS1_11comp_targetILNS1_3genE0ELNS1_11target_archE4294967295ELNS1_3gpuE0ELNS1_3repE0EEENS1_30default_config_static_selectorELNS0_4arch9wavefront6targetE1EEEvT1_,"axG",@progbits,_ZN7rocprim17ROCPRIM_400000_NS6detail17trampoline_kernelINS0_14default_configENS1_25transform_config_selectorIhLb0EEEZNS1_14transform_implILb0ES3_S5_NS0_18transform_iteratorINS0_17counting_iteratorImlEEZNS1_24adjacent_difference_implIS3_Lb1ELb0EPhSB_N6thrust23THRUST_200600_302600_NS4plusIhEEEE10hipError_tPvRmT2_T3_mT4_P12ihipStream_tbEUlmE_hEESB_NS0_8identityIvEEEESG_SJ_SK_mSL_SN_bEUlT_E_NS1_11comp_targetILNS1_3genE0ELNS1_11target_archE4294967295ELNS1_3gpuE0ELNS1_3repE0EEENS1_30default_config_static_selectorELNS0_4arch9wavefront6targetE1EEEvT1_,comdat
	.protected	_ZN7rocprim17ROCPRIM_400000_NS6detail17trampoline_kernelINS0_14default_configENS1_25transform_config_selectorIhLb0EEEZNS1_14transform_implILb0ES3_S5_NS0_18transform_iteratorINS0_17counting_iteratorImlEEZNS1_24adjacent_difference_implIS3_Lb1ELb0EPhSB_N6thrust23THRUST_200600_302600_NS4plusIhEEEE10hipError_tPvRmT2_T3_mT4_P12ihipStream_tbEUlmE_hEESB_NS0_8identityIvEEEESG_SJ_SK_mSL_SN_bEUlT_E_NS1_11comp_targetILNS1_3genE0ELNS1_11target_archE4294967295ELNS1_3gpuE0ELNS1_3repE0EEENS1_30default_config_static_selectorELNS0_4arch9wavefront6targetE1EEEvT1_ ; -- Begin function _ZN7rocprim17ROCPRIM_400000_NS6detail17trampoline_kernelINS0_14default_configENS1_25transform_config_selectorIhLb0EEEZNS1_14transform_implILb0ES3_S5_NS0_18transform_iteratorINS0_17counting_iteratorImlEEZNS1_24adjacent_difference_implIS3_Lb1ELb0EPhSB_N6thrust23THRUST_200600_302600_NS4plusIhEEEE10hipError_tPvRmT2_T3_mT4_P12ihipStream_tbEUlmE_hEESB_NS0_8identityIvEEEESG_SJ_SK_mSL_SN_bEUlT_E_NS1_11comp_targetILNS1_3genE0ELNS1_11target_archE4294967295ELNS1_3gpuE0ELNS1_3repE0EEENS1_30default_config_static_selectorELNS0_4arch9wavefront6targetE1EEEvT1_
	.globl	_ZN7rocprim17ROCPRIM_400000_NS6detail17trampoline_kernelINS0_14default_configENS1_25transform_config_selectorIhLb0EEEZNS1_14transform_implILb0ES3_S5_NS0_18transform_iteratorINS0_17counting_iteratorImlEEZNS1_24adjacent_difference_implIS3_Lb1ELb0EPhSB_N6thrust23THRUST_200600_302600_NS4plusIhEEEE10hipError_tPvRmT2_T3_mT4_P12ihipStream_tbEUlmE_hEESB_NS0_8identityIvEEEESG_SJ_SK_mSL_SN_bEUlT_E_NS1_11comp_targetILNS1_3genE0ELNS1_11target_archE4294967295ELNS1_3gpuE0ELNS1_3repE0EEENS1_30default_config_static_selectorELNS0_4arch9wavefront6targetE1EEEvT1_
	.p2align	8
	.type	_ZN7rocprim17ROCPRIM_400000_NS6detail17trampoline_kernelINS0_14default_configENS1_25transform_config_selectorIhLb0EEEZNS1_14transform_implILb0ES3_S5_NS0_18transform_iteratorINS0_17counting_iteratorImlEEZNS1_24adjacent_difference_implIS3_Lb1ELb0EPhSB_N6thrust23THRUST_200600_302600_NS4plusIhEEEE10hipError_tPvRmT2_T3_mT4_P12ihipStream_tbEUlmE_hEESB_NS0_8identityIvEEEESG_SJ_SK_mSL_SN_bEUlT_E_NS1_11comp_targetILNS1_3genE0ELNS1_11target_archE4294967295ELNS1_3gpuE0ELNS1_3repE0EEENS1_30default_config_static_selectorELNS0_4arch9wavefront6targetE1EEEvT1_,@function
_ZN7rocprim17ROCPRIM_400000_NS6detail17trampoline_kernelINS0_14default_configENS1_25transform_config_selectorIhLb0EEEZNS1_14transform_implILb0ES3_S5_NS0_18transform_iteratorINS0_17counting_iteratorImlEEZNS1_24adjacent_difference_implIS3_Lb1ELb0EPhSB_N6thrust23THRUST_200600_302600_NS4plusIhEEEE10hipError_tPvRmT2_T3_mT4_P12ihipStream_tbEUlmE_hEESB_NS0_8identityIvEEEESG_SJ_SK_mSL_SN_bEUlT_E_NS1_11comp_targetILNS1_3genE0ELNS1_11target_archE4294967295ELNS1_3gpuE0ELNS1_3repE0EEENS1_30default_config_static_selectorELNS0_4arch9wavefront6targetE1EEEvT1_: ; @_ZN7rocprim17ROCPRIM_400000_NS6detail17trampoline_kernelINS0_14default_configENS1_25transform_config_selectorIhLb0EEEZNS1_14transform_implILb0ES3_S5_NS0_18transform_iteratorINS0_17counting_iteratorImlEEZNS1_24adjacent_difference_implIS3_Lb1ELb0EPhSB_N6thrust23THRUST_200600_302600_NS4plusIhEEEE10hipError_tPvRmT2_T3_mT4_P12ihipStream_tbEUlmE_hEESB_NS0_8identityIvEEEESG_SJ_SK_mSL_SN_bEUlT_E_NS1_11comp_targetILNS1_3genE0ELNS1_11target_archE4294967295ELNS1_3gpuE0ELNS1_3repE0EEENS1_30default_config_static_selectorELNS0_4arch9wavefront6targetE1EEEvT1_
; %bb.0:
	.section	.rodata,"a",@progbits
	.p2align	6, 0x0
	.amdhsa_kernel _ZN7rocprim17ROCPRIM_400000_NS6detail17trampoline_kernelINS0_14default_configENS1_25transform_config_selectorIhLb0EEEZNS1_14transform_implILb0ES3_S5_NS0_18transform_iteratorINS0_17counting_iteratorImlEEZNS1_24adjacent_difference_implIS3_Lb1ELb0EPhSB_N6thrust23THRUST_200600_302600_NS4plusIhEEEE10hipError_tPvRmT2_T3_mT4_P12ihipStream_tbEUlmE_hEESB_NS0_8identityIvEEEESG_SJ_SK_mSL_SN_bEUlT_E_NS1_11comp_targetILNS1_3genE0ELNS1_11target_archE4294967295ELNS1_3gpuE0ELNS1_3repE0EEENS1_30default_config_static_selectorELNS0_4arch9wavefront6targetE1EEEvT1_
		.amdhsa_group_segment_fixed_size 0
		.amdhsa_private_segment_fixed_size 0
		.amdhsa_kernarg_size 56
		.amdhsa_user_sgpr_count 2
		.amdhsa_user_sgpr_dispatch_ptr 0
		.amdhsa_user_sgpr_queue_ptr 0
		.amdhsa_user_sgpr_kernarg_segment_ptr 1
		.amdhsa_user_sgpr_dispatch_id 0
		.amdhsa_user_sgpr_kernarg_preload_length 0
		.amdhsa_user_sgpr_kernarg_preload_offset 0
		.amdhsa_user_sgpr_private_segment_size 0
		.amdhsa_uses_dynamic_stack 0
		.amdhsa_enable_private_segment 0
		.amdhsa_system_sgpr_workgroup_id_x 1
		.amdhsa_system_sgpr_workgroup_id_y 0
		.amdhsa_system_sgpr_workgroup_id_z 0
		.amdhsa_system_sgpr_workgroup_info 0
		.amdhsa_system_vgpr_workitem_id 0
		.amdhsa_next_free_vgpr 1
		.amdhsa_next_free_sgpr 0
		.amdhsa_accum_offset 4
		.amdhsa_reserve_vcc 0
		.amdhsa_float_round_mode_32 0
		.amdhsa_float_round_mode_16_64 0
		.amdhsa_float_denorm_mode_32 3
		.amdhsa_float_denorm_mode_16_64 3
		.amdhsa_dx10_clamp 1
		.amdhsa_ieee_mode 1
		.amdhsa_fp16_overflow 0
		.amdhsa_tg_split 0
		.amdhsa_exception_fp_ieee_invalid_op 0
		.amdhsa_exception_fp_denorm_src 0
		.amdhsa_exception_fp_ieee_div_zero 0
		.amdhsa_exception_fp_ieee_overflow 0
		.amdhsa_exception_fp_ieee_underflow 0
		.amdhsa_exception_fp_ieee_inexact 0
		.amdhsa_exception_int_div_zero 0
	.end_amdhsa_kernel
	.section	.text._ZN7rocprim17ROCPRIM_400000_NS6detail17trampoline_kernelINS0_14default_configENS1_25transform_config_selectorIhLb0EEEZNS1_14transform_implILb0ES3_S5_NS0_18transform_iteratorINS0_17counting_iteratorImlEEZNS1_24adjacent_difference_implIS3_Lb1ELb0EPhSB_N6thrust23THRUST_200600_302600_NS4plusIhEEEE10hipError_tPvRmT2_T3_mT4_P12ihipStream_tbEUlmE_hEESB_NS0_8identityIvEEEESG_SJ_SK_mSL_SN_bEUlT_E_NS1_11comp_targetILNS1_3genE0ELNS1_11target_archE4294967295ELNS1_3gpuE0ELNS1_3repE0EEENS1_30default_config_static_selectorELNS0_4arch9wavefront6targetE1EEEvT1_,"axG",@progbits,_ZN7rocprim17ROCPRIM_400000_NS6detail17trampoline_kernelINS0_14default_configENS1_25transform_config_selectorIhLb0EEEZNS1_14transform_implILb0ES3_S5_NS0_18transform_iteratorINS0_17counting_iteratorImlEEZNS1_24adjacent_difference_implIS3_Lb1ELb0EPhSB_N6thrust23THRUST_200600_302600_NS4plusIhEEEE10hipError_tPvRmT2_T3_mT4_P12ihipStream_tbEUlmE_hEESB_NS0_8identityIvEEEESG_SJ_SK_mSL_SN_bEUlT_E_NS1_11comp_targetILNS1_3genE0ELNS1_11target_archE4294967295ELNS1_3gpuE0ELNS1_3repE0EEENS1_30default_config_static_selectorELNS0_4arch9wavefront6targetE1EEEvT1_,comdat
.Lfunc_end296:
	.size	_ZN7rocprim17ROCPRIM_400000_NS6detail17trampoline_kernelINS0_14default_configENS1_25transform_config_selectorIhLb0EEEZNS1_14transform_implILb0ES3_S5_NS0_18transform_iteratorINS0_17counting_iteratorImlEEZNS1_24adjacent_difference_implIS3_Lb1ELb0EPhSB_N6thrust23THRUST_200600_302600_NS4plusIhEEEE10hipError_tPvRmT2_T3_mT4_P12ihipStream_tbEUlmE_hEESB_NS0_8identityIvEEEESG_SJ_SK_mSL_SN_bEUlT_E_NS1_11comp_targetILNS1_3genE0ELNS1_11target_archE4294967295ELNS1_3gpuE0ELNS1_3repE0EEENS1_30default_config_static_selectorELNS0_4arch9wavefront6targetE1EEEvT1_, .Lfunc_end296-_ZN7rocprim17ROCPRIM_400000_NS6detail17trampoline_kernelINS0_14default_configENS1_25transform_config_selectorIhLb0EEEZNS1_14transform_implILb0ES3_S5_NS0_18transform_iteratorINS0_17counting_iteratorImlEEZNS1_24adjacent_difference_implIS3_Lb1ELb0EPhSB_N6thrust23THRUST_200600_302600_NS4plusIhEEEE10hipError_tPvRmT2_T3_mT4_P12ihipStream_tbEUlmE_hEESB_NS0_8identityIvEEEESG_SJ_SK_mSL_SN_bEUlT_E_NS1_11comp_targetILNS1_3genE0ELNS1_11target_archE4294967295ELNS1_3gpuE0ELNS1_3repE0EEENS1_30default_config_static_selectorELNS0_4arch9wavefront6targetE1EEEvT1_
                                        ; -- End function
	.section	.AMDGPU.csdata,"",@progbits
; Kernel info:
; codeLenInByte = 0
; NumSgprs: 6
; NumVgprs: 0
; NumAgprs: 0
; TotalNumVgprs: 0
; ScratchSize: 0
; MemoryBound: 0
; FloatMode: 240
; IeeeMode: 1
; LDSByteSize: 0 bytes/workgroup (compile time only)
; SGPRBlocks: 0
; VGPRBlocks: 0
; NumSGPRsForWavesPerEU: 6
; NumVGPRsForWavesPerEU: 1
; AccumOffset: 4
; Occupancy: 8
; WaveLimiterHint : 0
; COMPUTE_PGM_RSRC2:SCRATCH_EN: 0
; COMPUTE_PGM_RSRC2:USER_SGPR: 2
; COMPUTE_PGM_RSRC2:TRAP_HANDLER: 0
; COMPUTE_PGM_RSRC2:TGID_X_EN: 1
; COMPUTE_PGM_RSRC2:TGID_Y_EN: 0
; COMPUTE_PGM_RSRC2:TGID_Z_EN: 0
; COMPUTE_PGM_RSRC2:TIDIG_COMP_CNT: 0
; COMPUTE_PGM_RSRC3_GFX90A:ACCUM_OFFSET: 0
; COMPUTE_PGM_RSRC3_GFX90A:TG_SPLIT: 0
	.section	.text._ZN7rocprim17ROCPRIM_400000_NS6detail17trampoline_kernelINS0_14default_configENS1_25transform_config_selectorIhLb0EEEZNS1_14transform_implILb0ES3_S5_NS0_18transform_iteratorINS0_17counting_iteratorImlEEZNS1_24adjacent_difference_implIS3_Lb1ELb0EPhSB_N6thrust23THRUST_200600_302600_NS4plusIhEEEE10hipError_tPvRmT2_T3_mT4_P12ihipStream_tbEUlmE_hEESB_NS0_8identityIvEEEESG_SJ_SK_mSL_SN_bEUlT_E_NS1_11comp_targetILNS1_3genE5ELNS1_11target_archE942ELNS1_3gpuE9ELNS1_3repE0EEENS1_30default_config_static_selectorELNS0_4arch9wavefront6targetE1EEEvT1_,"axG",@progbits,_ZN7rocprim17ROCPRIM_400000_NS6detail17trampoline_kernelINS0_14default_configENS1_25transform_config_selectorIhLb0EEEZNS1_14transform_implILb0ES3_S5_NS0_18transform_iteratorINS0_17counting_iteratorImlEEZNS1_24adjacent_difference_implIS3_Lb1ELb0EPhSB_N6thrust23THRUST_200600_302600_NS4plusIhEEEE10hipError_tPvRmT2_T3_mT4_P12ihipStream_tbEUlmE_hEESB_NS0_8identityIvEEEESG_SJ_SK_mSL_SN_bEUlT_E_NS1_11comp_targetILNS1_3genE5ELNS1_11target_archE942ELNS1_3gpuE9ELNS1_3repE0EEENS1_30default_config_static_selectorELNS0_4arch9wavefront6targetE1EEEvT1_,comdat
	.protected	_ZN7rocprim17ROCPRIM_400000_NS6detail17trampoline_kernelINS0_14default_configENS1_25transform_config_selectorIhLb0EEEZNS1_14transform_implILb0ES3_S5_NS0_18transform_iteratorINS0_17counting_iteratorImlEEZNS1_24adjacent_difference_implIS3_Lb1ELb0EPhSB_N6thrust23THRUST_200600_302600_NS4plusIhEEEE10hipError_tPvRmT2_T3_mT4_P12ihipStream_tbEUlmE_hEESB_NS0_8identityIvEEEESG_SJ_SK_mSL_SN_bEUlT_E_NS1_11comp_targetILNS1_3genE5ELNS1_11target_archE942ELNS1_3gpuE9ELNS1_3repE0EEENS1_30default_config_static_selectorELNS0_4arch9wavefront6targetE1EEEvT1_ ; -- Begin function _ZN7rocprim17ROCPRIM_400000_NS6detail17trampoline_kernelINS0_14default_configENS1_25transform_config_selectorIhLb0EEEZNS1_14transform_implILb0ES3_S5_NS0_18transform_iteratorINS0_17counting_iteratorImlEEZNS1_24adjacent_difference_implIS3_Lb1ELb0EPhSB_N6thrust23THRUST_200600_302600_NS4plusIhEEEE10hipError_tPvRmT2_T3_mT4_P12ihipStream_tbEUlmE_hEESB_NS0_8identityIvEEEESG_SJ_SK_mSL_SN_bEUlT_E_NS1_11comp_targetILNS1_3genE5ELNS1_11target_archE942ELNS1_3gpuE9ELNS1_3repE0EEENS1_30default_config_static_selectorELNS0_4arch9wavefront6targetE1EEEvT1_
	.globl	_ZN7rocprim17ROCPRIM_400000_NS6detail17trampoline_kernelINS0_14default_configENS1_25transform_config_selectorIhLb0EEEZNS1_14transform_implILb0ES3_S5_NS0_18transform_iteratorINS0_17counting_iteratorImlEEZNS1_24adjacent_difference_implIS3_Lb1ELb0EPhSB_N6thrust23THRUST_200600_302600_NS4plusIhEEEE10hipError_tPvRmT2_T3_mT4_P12ihipStream_tbEUlmE_hEESB_NS0_8identityIvEEEESG_SJ_SK_mSL_SN_bEUlT_E_NS1_11comp_targetILNS1_3genE5ELNS1_11target_archE942ELNS1_3gpuE9ELNS1_3repE0EEENS1_30default_config_static_selectorELNS0_4arch9wavefront6targetE1EEEvT1_
	.p2align	8
	.type	_ZN7rocprim17ROCPRIM_400000_NS6detail17trampoline_kernelINS0_14default_configENS1_25transform_config_selectorIhLb0EEEZNS1_14transform_implILb0ES3_S5_NS0_18transform_iteratorINS0_17counting_iteratorImlEEZNS1_24adjacent_difference_implIS3_Lb1ELb0EPhSB_N6thrust23THRUST_200600_302600_NS4plusIhEEEE10hipError_tPvRmT2_T3_mT4_P12ihipStream_tbEUlmE_hEESB_NS0_8identityIvEEEESG_SJ_SK_mSL_SN_bEUlT_E_NS1_11comp_targetILNS1_3genE5ELNS1_11target_archE942ELNS1_3gpuE9ELNS1_3repE0EEENS1_30default_config_static_selectorELNS0_4arch9wavefront6targetE1EEEvT1_,@function
_ZN7rocprim17ROCPRIM_400000_NS6detail17trampoline_kernelINS0_14default_configENS1_25transform_config_selectorIhLb0EEEZNS1_14transform_implILb0ES3_S5_NS0_18transform_iteratorINS0_17counting_iteratorImlEEZNS1_24adjacent_difference_implIS3_Lb1ELb0EPhSB_N6thrust23THRUST_200600_302600_NS4plusIhEEEE10hipError_tPvRmT2_T3_mT4_P12ihipStream_tbEUlmE_hEESB_NS0_8identityIvEEEESG_SJ_SK_mSL_SN_bEUlT_E_NS1_11comp_targetILNS1_3genE5ELNS1_11target_archE942ELNS1_3gpuE9ELNS1_3repE0EEENS1_30default_config_static_selectorELNS0_4arch9wavefront6targetE1EEEvT1_: ; @_ZN7rocprim17ROCPRIM_400000_NS6detail17trampoline_kernelINS0_14default_configENS1_25transform_config_selectorIhLb0EEEZNS1_14transform_implILb0ES3_S5_NS0_18transform_iteratorINS0_17counting_iteratorImlEEZNS1_24adjacent_difference_implIS3_Lb1ELb0EPhSB_N6thrust23THRUST_200600_302600_NS4plusIhEEEE10hipError_tPvRmT2_T3_mT4_P12ihipStream_tbEUlmE_hEESB_NS0_8identityIvEEEESG_SJ_SK_mSL_SN_bEUlT_E_NS1_11comp_targetILNS1_3genE5ELNS1_11target_archE942ELNS1_3gpuE9ELNS1_3repE0EEENS1_30default_config_static_selectorELNS0_4arch9wavefront6targetE1EEEvT1_
; %bb.0:
	s_load_dwordx4 s[4:7], s[0:1], 0x18
	s_load_dwordx2 s[8:9], s[0:1], 0x28
	s_load_dword s3, s[0:1], 0x38
	s_load_dwordx4 s[12:15], s[0:1], 0x0
	s_load_dword s18, s[0:1], 0x10
	s_mov_b32 s19, 0
	s_waitcnt lgkmcnt(0)
	s_add_u32 s24, s8, s4
	s_addc_u32 s25, s9, s5
	s_lshl_b32 s26, s2, 13
	s_add_i32 s3, s3, -1
	s_add_u32 s0, s12, s26
	s_addc_u32 s1, s13, 0
	s_add_u32 s20, s0, s4
	s_addc_u32 s21, s1, s5
	s_cmp_lg_u32 s2, s3
	s_cbranch_scc0 .LBB297_2
; %bb.1:
	v_mov_b32_e32 v1, 0
	v_lshl_add_u64 v[2:3], s[20:21], 0, v[0:1]
	v_mov_b64_e32 v[4:5], s[14:15]
	v_mad_u64_u32 v[4:5], s[0:1], v2, s18, v[4:5]
	v_mov_b32_e32 v2, v5
	v_mad_u64_u32 v[2:3], s[0:1], v3, s18, v[2:3]
	v_mov_b32_e32 v5, v2
	s_lshl_b64 s[0:1], s[18:19], 10
	v_lshl_add_u64 v[2:3], v[4:5], 0, s[0:1]
	global_load_ubyte v10, v[4:5], off
	v_lshl_add_u64 v[4:5], v[2:3], 0, s[0:1]
	v_lshl_add_u64 v[6:7], v[4:5], 0, s[0:1]
	;; [unrolled: 1-line block ×3, first 2 shown]
	global_load_ubyte v11, v[2:3], off
	global_load_ubyte v12, v[4:5], off
	;; [unrolled: 1-line block ×4, first 2 shown]
	v_lshl_add_u64 v[2:3], v[8:9], 0, s[0:1]
	global_load_ubyte v4, v[2:3], off
	v_lshl_add_u64 v[2:3], v[2:3], 0, s[0:1]
	global_load_ubyte v8, v[2:3], off
	;; [unrolled: 2-line block ×3, first 2 shown]
	s_add_u32 s2, s24, s26
	s_addc_u32 s3, s25, 0
	v_lshl_add_u64 v[2:3], s[2:3], 0, v[0:1]
	v_add_co_u32_e32 v6, vcc, 0x1000, v2
	s_nop 1
	v_addc_co_u32_e32 v7, vcc, 0, v3, vcc
	s_mov_b64 s[16:17], -1
	s_waitcnt vmcnt(7)
	global_store_byte v0, v10, s[2:3]
	s_waitcnt vmcnt(7)
	global_store_byte v0, v11, s[2:3] offset:1024
	s_waitcnt vmcnt(7)
	global_store_byte v0, v12, s[2:3] offset:2048
	;; [unrolled: 2-line block ×3, first 2 shown]
	s_waitcnt vmcnt(7)
	global_store_byte v[6:7], v14, off
	s_waitcnt vmcnt(7)
	global_store_byte v[6:7], v4, off offset:1024
	s_waitcnt vmcnt(7)
	global_store_byte v[6:7], v8, off offset:2048
	s_cbranch_execz .LBB297_3
	s_branch .LBB297_36
.LBB297_2:
	s_mov_b64 s[16:17], 0
                                        ; implicit-def: $vgpr5
                                        ; implicit-def: $vgpr2_vgpr3
.LBB297_3:
	s_sub_i32 s19, s6, s26
	v_cmp_gt_u32_e32 vcc, s19, v0
                                        ; implicit-def: $vgpr1
	s_and_saveexec_b64 s[0:1], vcc
	s_cbranch_execz .LBB297_5
; %bb.4:
	v_mov_b32_e32 v1, 0
	v_lshl_add_u64 v[2:3], s[20:21], 0, v[0:1]
	s_waitcnt vmcnt(7)
	v_mov_b64_e32 v[4:5], s[14:15]
	v_mad_u64_u32 v[4:5], s[2:3], v2, s18, v[4:5]
	v_mov_b32_e32 v2, v5
	v_mad_u64_u32 v[2:3], s[2:3], v3, s18, v[2:3]
	v_mov_b32_e32 v5, v2
	global_load_ubyte v1, v[4:5], off
.LBB297_5:
	s_or_b64 exec, exec, s[0:1]
	v_or_b32_e32 v2, 0x400, v0
	v_cmp_gt_u32_e64 s[0:1], s19, v2
                                        ; implicit-def: $vgpr4
	s_and_saveexec_b64 s[2:3], s[0:1]
	s_cbranch_execz .LBB297_7
; %bb.6:
	v_mov_b32_e32 v3, 0
	v_lshl_add_u64 v[2:3], s[20:21], 0, v[2:3]
	s_waitcnt vmcnt(7)
	v_mov_b64_e32 v[4:5], s[14:15]
	v_mad_u64_u32 v[4:5], s[4:5], v2, s18, v[4:5]
	v_mov_b32_e32 v2, v5
	v_mad_u64_u32 v[2:3], s[4:5], v3, s18, v[2:3]
	v_mov_b32_e32 v5, v2
	global_load_ubyte v4, v[4:5], off
.LBB297_7:
	s_or_b64 exec, exec, s[2:3]
	v_or_b32_e32 v2, 0x800, v0
	v_cmp_gt_u32_e64 s[2:3], s19, v2
                                        ; implicit-def: $vgpr5
	s_and_saveexec_b64 s[4:5], s[2:3]
	s_cbranch_execz .LBB297_9
; %bb.8:
	v_mov_b32_e32 v3, 0
	v_lshl_add_u64 v[2:3], s[20:21], 0, v[2:3]
	v_mov_b64_e32 v[6:7], s[14:15]
	v_mad_u64_u32 v[6:7], s[6:7], v2, s18, v[6:7]
	v_mov_b32_e32 v2, v7
	v_mad_u64_u32 v[2:3], s[6:7], v3, s18, v[2:3]
	v_mov_b32_e32 v7, v2
	global_load_ubyte v5, v[6:7], off
.LBB297_9:
	s_or_b64 exec, exec, s[4:5]
	v_or_b32_e32 v2, 0xc00, v0
	v_cmp_gt_u32_e64 s[4:5], s19, v2
                                        ; implicit-def: $vgpr6
	s_and_saveexec_b64 s[6:7], s[4:5]
	s_cbranch_execz .LBB297_11
; %bb.10:
	v_mov_b32_e32 v3, 0
	v_lshl_add_u64 v[2:3], s[20:21], 0, v[2:3]
	v_mov_b64_e32 v[6:7], s[14:15]
	v_mad_u64_u32 v[6:7], s[8:9], v2, s18, v[6:7]
	v_mov_b32_e32 v2, v7
	v_mad_u64_u32 v[2:3], s[8:9], v3, s18, v[2:3]
	v_mov_b32_e32 v7, v2
	global_load_ubyte v6, v[6:7], off
.LBB297_11:
	s_or_b64 exec, exec, s[6:7]
	v_or_b32_e32 v2, 0x1000, v0
	v_cmp_gt_u32_e64 s[6:7], s19, v2
                                        ; implicit-def: $vgpr7
	s_and_saveexec_b64 s[8:9], s[6:7]
	s_cbranch_execz .LBB297_13
; %bb.12:
	v_mov_b32_e32 v3, 0
	v_lshl_add_u64 v[2:3], s[20:21], 0, v[2:3]
	v_mov_b64_e32 v[8:9], s[14:15]
	v_mad_u64_u32 v[8:9], s[10:11], v2, s18, v[8:9]
	v_mov_b32_e32 v2, v9
	v_mad_u64_u32 v[2:3], s[10:11], v3, s18, v[2:3]
	v_mov_b32_e32 v9, v2
	global_load_ubyte v7, v[8:9], off
.LBB297_13:
	s_or_b64 exec, exec, s[8:9]
	v_or_b32_e32 v2, 0x1400, v0
	v_cmp_gt_u32_e64 s[8:9], s19, v2
                                        ; implicit-def: $vgpr8
	s_and_saveexec_b64 s[10:11], s[8:9]
	s_cbranch_execz .LBB297_15
; %bb.14:
	v_mov_b32_e32 v3, 0
	v_lshl_add_u64 v[2:3], s[20:21], 0, v[2:3]
	v_mov_b64_e32 v[8:9], s[14:15]
	v_mad_u64_u32 v[8:9], s[12:13], v2, s18, v[8:9]
	v_mov_b32_e32 v2, v9
	v_mad_u64_u32 v[2:3], s[12:13], v3, s18, v[2:3]
	v_mov_b32_e32 v9, v2
	global_load_ubyte v8, v[8:9], off
.LBB297_15:
	s_or_b64 exec, exec, s[10:11]
	v_or_b32_e32 v2, 0x1800, v0
	v_cmp_gt_u32_e64 s[10:11], s19, v2
                                        ; implicit-def: $vgpr9
	s_and_saveexec_b64 s[12:13], s[10:11]
	s_cbranch_execz .LBB297_17
; %bb.16:
	v_mov_b32_e32 v3, 0
	v_lshl_add_u64 v[2:3], s[20:21], 0, v[2:3]
	v_mov_b64_e32 v[10:11], s[14:15]
	v_mad_u64_u32 v[10:11], s[22:23], v2, s18, v[10:11]
	v_mov_b32_e32 v2, v11
	v_mad_u64_u32 v[2:3], s[22:23], v3, s18, v[2:3]
	v_mov_b32_e32 v11, v2
	global_load_ubyte v9, v[10:11], off
.LBB297_17:
	s_or_b64 exec, exec, s[12:13]
	v_or_b32_e32 v2, 0x1c00, v0
	v_cmp_gt_u32_e64 s[12:13], s19, v2
                                        ; implicit-def: $vgpr3
	s_and_saveexec_b64 s[22:23], s[12:13]
	s_cbranch_execz .LBB297_19
; %bb.18:
	v_mov_b32_e32 v3, 0
	v_lshl_add_u64 v[2:3], s[20:21], 0, v[2:3]
	v_mov_b64_e32 v[10:11], s[14:15]
	v_mad_u64_u32 v[10:11], s[14:15], v2, s18, v[10:11]
	v_mov_b32_e32 v2, v11
	v_mad_u64_u32 v[2:3], s[14:15], v3, s18, v[2:3]
	v_mov_b32_e32 v11, v2
	global_load_ubyte v3, v[10:11], off
.LBB297_19:
	s_or_b64 exec, exec, s[22:23]
	s_waitcnt vmcnt(0)
	v_lshlrev_b16_e32 v2, 8, v4
	v_or_b32_sdwa v1, v1, v2 dst_sel:DWORD dst_unused:UNUSED_PAD src0_sel:BYTE_0 src1_sel:DWORD
	v_lshlrev_b16_e32 v2, 8, v6
	v_or_b32_sdwa v2, v5, v2 dst_sel:WORD_1 dst_unused:UNUSED_PAD src0_sel:BYTE_0 src1_sel:DWORD
	s_add_u32 s14, s24, s26
	v_or_b32_sdwa v5, v1, v2 dst_sel:DWORD dst_unused:UNUSED_PAD src0_sel:WORD_0 src1_sel:DWORD
	v_lshlrev_b16_e32 v1, 8, v8
	v_lshlrev_b16_e32 v2, 8, v3
	v_or_b32_sdwa v1, v7, v1 dst_sel:DWORD dst_unused:UNUSED_PAD src0_sel:BYTE_0 src1_sel:DWORD
	v_or_b32_sdwa v2, v9, v2 dst_sel:WORD_1 dst_unused:UNUSED_PAD src0_sel:BYTE_0 src1_sel:DWORD
	s_addc_u32 s15, s25, 0
	v_or_b32_sdwa v4, v1, v2 dst_sel:DWORD dst_unused:UNUSED_PAD src0_sel:WORD_0 src1_sel:DWORD
	v_mov_b32_e32 v1, 0
	v_lshl_add_u64 v[2:3], s[14:15], 0, v[0:1]
	s_and_saveexec_b64 s[14:15], vcc
	s_cbranch_execz .LBB297_21
; %bb.20:
	global_store_byte v[2:3], v5, off
.LBB297_21:
	s_or_b64 exec, exec, s[14:15]
	s_and_saveexec_b64 s[14:15], s[0:1]
	s_cbranch_execz .LBB297_23
; %bb.22:
	v_lshrrev_b32_e32 v0, 8, v5
	global_store_byte v[2:3], v0, off offset:1024
.LBB297_23:
	s_or_b64 exec, exec, s[14:15]
	s_mov_b32 s0, 0x7060104
	v_perm_b32 v0, v5, v5, s0
	s_movk_i32 s15, 0xff
	s_mov_b32 s14, 0xffff
	v_cndmask_b32_e64 v1, v0, v5, s[2:3]
	s_and_saveexec_b64 s[0:1], s[2:3]
	s_cbranch_execz .LBB297_25
; %bb.24:
	global_store_byte_d16_hi v[2:3], v1, off offset:2048
.LBB297_25:
	s_or_b64 exec, exec, s[0:1]
	s_movk_i32 s0, 0xff00
	v_and_b32_sdwa v6, v0, s0 dst_sel:DWORD dst_unused:UNUSED_PAD src0_sel:WORD_1 src1_sel:DWORD
	v_and_b32_sdwa v1, v1, s15 dst_sel:DWORD dst_unused:UNUSED_PAD src0_sel:WORD_1 src1_sel:DWORD
	v_or_b32_sdwa v1, v1, v6 dst_sel:WORD_1 dst_unused:UNUSED_PAD src0_sel:DWORD src1_sel:DWORD
	s_nop 0
	v_and_or_b32 v0, v0, s14, v1
	v_cndmask_b32_e64 v0, v0, v5, s[4:5]
	s_and_saveexec_b64 s[0:1], s[4:5]
	s_cbranch_execz .LBB297_27
; %bb.26:
	v_lshrrev_b32_e32 v0, 24, v0
	global_store_byte v[2:3], v0, off offset:3072
.LBB297_27:
	s_or_b64 exec, exec, s[0:1]
	s_and_saveexec_b64 s[0:1], s[6:7]
	s_cbranch_execz .LBB297_29
; %bb.28:
	v_add_co_u32_e32 v0, vcc, 0x1000, v2
	s_nop 1
	v_addc_co_u32_e32 v1, vcc, 0, v3, vcc
	global_store_byte v[0:1], v4, off
.LBB297_29:
	s_or_b64 exec, exec, s[0:1]
	s_mov_b32 s0, 0x3020104
	v_perm_b32 v1, v4, v4, s0
	v_cndmask_b32_e64 v0, v1, v4, s[8:9]
	s_and_saveexec_b64 s[0:1], s[8:9]
	s_cbranch_execz .LBB297_31
; %bb.30:
	v_add_co_u32_e32 v6, vcc, 0x1000, v2
	v_lshrrev_b32_e32 v5, 8, v0
	s_nop 0
	v_addc_co_u32_e32 v7, vcc, 0, v3, vcc
	global_store_byte v[6:7], v5, off offset:1024
.LBB297_31:
	s_or_b64 exec, exec, s[0:1]
	s_mov_b32 s0, 0x7060104
	v_perm_b32 v0, v1, v0, s0
	s_and_saveexec_b64 s[0:1], s[10:11]
	s_cbranch_execz .LBB297_33
; %bb.32:
	v_add_co_u32_e32 v6, vcc, 0x1000, v2
	v_cndmask_b32_e64 v1, v0, v4, s[10:11]
	s_nop 0
	v_addc_co_u32_e32 v7, vcc, 0, v3, vcc
	global_store_byte_d16_hi v[6:7], v1, off offset:2048
.LBB297_33:
	s_or_b64 exec, exec, s[0:1]
                                        ; implicit-def: $vgpr5
	s_and_saveexec_b64 s[0:1], s[12:13]
; %bb.34:
	v_cndmask_b32_e64 v0, v0, v4, s[12:13]
	v_lshrrev_b32_e32 v5, 24, v0
	s_or_b64 s[16:17], s[16:17], exec
; %bb.35:
	s_or_b64 exec, exec, s[0:1]
.LBB297_36:
	s_and_saveexec_b64 s[0:1], s[16:17]
	s_cbranch_execnz .LBB297_38
; %bb.37:
	s_endpgm
.LBB297_38:
	v_add_co_u32_e32 v0, vcc, 0x1000, v2
	s_nop 1
	v_addc_co_u32_e32 v1, vcc, 0, v3, vcc
	s_waitcnt vmcnt(7)
	global_store_byte v[0:1], v5, off offset:3072
	s_endpgm
	.section	.rodata,"a",@progbits
	.p2align	6, 0x0
	.amdhsa_kernel _ZN7rocprim17ROCPRIM_400000_NS6detail17trampoline_kernelINS0_14default_configENS1_25transform_config_selectorIhLb0EEEZNS1_14transform_implILb0ES3_S5_NS0_18transform_iteratorINS0_17counting_iteratorImlEEZNS1_24adjacent_difference_implIS3_Lb1ELb0EPhSB_N6thrust23THRUST_200600_302600_NS4plusIhEEEE10hipError_tPvRmT2_T3_mT4_P12ihipStream_tbEUlmE_hEESB_NS0_8identityIvEEEESG_SJ_SK_mSL_SN_bEUlT_E_NS1_11comp_targetILNS1_3genE5ELNS1_11target_archE942ELNS1_3gpuE9ELNS1_3repE0EEENS1_30default_config_static_selectorELNS0_4arch9wavefront6targetE1EEEvT1_
		.amdhsa_group_segment_fixed_size 0
		.amdhsa_private_segment_fixed_size 0
		.amdhsa_kernarg_size 312
		.amdhsa_user_sgpr_count 2
		.amdhsa_user_sgpr_dispatch_ptr 0
		.amdhsa_user_sgpr_queue_ptr 0
		.amdhsa_user_sgpr_kernarg_segment_ptr 1
		.amdhsa_user_sgpr_dispatch_id 0
		.amdhsa_user_sgpr_kernarg_preload_length 0
		.amdhsa_user_sgpr_kernarg_preload_offset 0
		.amdhsa_user_sgpr_private_segment_size 0
		.amdhsa_uses_dynamic_stack 0
		.amdhsa_enable_private_segment 0
		.amdhsa_system_sgpr_workgroup_id_x 1
		.amdhsa_system_sgpr_workgroup_id_y 0
		.amdhsa_system_sgpr_workgroup_id_z 0
		.amdhsa_system_sgpr_workgroup_info 0
		.amdhsa_system_vgpr_workitem_id 0
		.amdhsa_next_free_vgpr 15
		.amdhsa_next_free_sgpr 27
		.amdhsa_accum_offset 16
		.amdhsa_reserve_vcc 1
		.amdhsa_float_round_mode_32 0
		.amdhsa_float_round_mode_16_64 0
		.amdhsa_float_denorm_mode_32 3
		.amdhsa_float_denorm_mode_16_64 3
		.amdhsa_dx10_clamp 1
		.amdhsa_ieee_mode 1
		.amdhsa_fp16_overflow 0
		.amdhsa_tg_split 0
		.amdhsa_exception_fp_ieee_invalid_op 0
		.amdhsa_exception_fp_denorm_src 0
		.amdhsa_exception_fp_ieee_div_zero 0
		.amdhsa_exception_fp_ieee_overflow 0
		.amdhsa_exception_fp_ieee_underflow 0
		.amdhsa_exception_fp_ieee_inexact 0
		.amdhsa_exception_int_div_zero 0
	.end_amdhsa_kernel
	.section	.text._ZN7rocprim17ROCPRIM_400000_NS6detail17trampoline_kernelINS0_14default_configENS1_25transform_config_selectorIhLb0EEEZNS1_14transform_implILb0ES3_S5_NS0_18transform_iteratorINS0_17counting_iteratorImlEEZNS1_24adjacent_difference_implIS3_Lb1ELb0EPhSB_N6thrust23THRUST_200600_302600_NS4plusIhEEEE10hipError_tPvRmT2_T3_mT4_P12ihipStream_tbEUlmE_hEESB_NS0_8identityIvEEEESG_SJ_SK_mSL_SN_bEUlT_E_NS1_11comp_targetILNS1_3genE5ELNS1_11target_archE942ELNS1_3gpuE9ELNS1_3repE0EEENS1_30default_config_static_selectorELNS0_4arch9wavefront6targetE1EEEvT1_,"axG",@progbits,_ZN7rocprim17ROCPRIM_400000_NS6detail17trampoline_kernelINS0_14default_configENS1_25transform_config_selectorIhLb0EEEZNS1_14transform_implILb0ES3_S5_NS0_18transform_iteratorINS0_17counting_iteratorImlEEZNS1_24adjacent_difference_implIS3_Lb1ELb0EPhSB_N6thrust23THRUST_200600_302600_NS4plusIhEEEE10hipError_tPvRmT2_T3_mT4_P12ihipStream_tbEUlmE_hEESB_NS0_8identityIvEEEESG_SJ_SK_mSL_SN_bEUlT_E_NS1_11comp_targetILNS1_3genE5ELNS1_11target_archE942ELNS1_3gpuE9ELNS1_3repE0EEENS1_30default_config_static_selectorELNS0_4arch9wavefront6targetE1EEEvT1_,comdat
.Lfunc_end297:
	.size	_ZN7rocprim17ROCPRIM_400000_NS6detail17trampoline_kernelINS0_14default_configENS1_25transform_config_selectorIhLb0EEEZNS1_14transform_implILb0ES3_S5_NS0_18transform_iteratorINS0_17counting_iteratorImlEEZNS1_24adjacent_difference_implIS3_Lb1ELb0EPhSB_N6thrust23THRUST_200600_302600_NS4plusIhEEEE10hipError_tPvRmT2_T3_mT4_P12ihipStream_tbEUlmE_hEESB_NS0_8identityIvEEEESG_SJ_SK_mSL_SN_bEUlT_E_NS1_11comp_targetILNS1_3genE5ELNS1_11target_archE942ELNS1_3gpuE9ELNS1_3repE0EEENS1_30default_config_static_selectorELNS0_4arch9wavefront6targetE1EEEvT1_, .Lfunc_end297-_ZN7rocprim17ROCPRIM_400000_NS6detail17trampoline_kernelINS0_14default_configENS1_25transform_config_selectorIhLb0EEEZNS1_14transform_implILb0ES3_S5_NS0_18transform_iteratorINS0_17counting_iteratorImlEEZNS1_24adjacent_difference_implIS3_Lb1ELb0EPhSB_N6thrust23THRUST_200600_302600_NS4plusIhEEEE10hipError_tPvRmT2_T3_mT4_P12ihipStream_tbEUlmE_hEESB_NS0_8identityIvEEEESG_SJ_SK_mSL_SN_bEUlT_E_NS1_11comp_targetILNS1_3genE5ELNS1_11target_archE942ELNS1_3gpuE9ELNS1_3repE0EEENS1_30default_config_static_selectorELNS0_4arch9wavefront6targetE1EEEvT1_
                                        ; -- End function
	.section	.AMDGPU.csdata,"",@progbits
; Kernel info:
; codeLenInByte = 1480
; NumSgprs: 33
; NumVgprs: 15
; NumAgprs: 0
; TotalNumVgprs: 15
; ScratchSize: 0
; MemoryBound: 0
; FloatMode: 240
; IeeeMode: 1
; LDSByteSize: 0 bytes/workgroup (compile time only)
; SGPRBlocks: 4
; VGPRBlocks: 1
; NumSGPRsForWavesPerEU: 33
; NumVGPRsForWavesPerEU: 15
; AccumOffset: 16
; Occupancy: 8
; WaveLimiterHint : 1
; COMPUTE_PGM_RSRC2:SCRATCH_EN: 0
; COMPUTE_PGM_RSRC2:USER_SGPR: 2
; COMPUTE_PGM_RSRC2:TRAP_HANDLER: 0
; COMPUTE_PGM_RSRC2:TGID_X_EN: 1
; COMPUTE_PGM_RSRC2:TGID_Y_EN: 0
; COMPUTE_PGM_RSRC2:TGID_Z_EN: 0
; COMPUTE_PGM_RSRC2:TIDIG_COMP_CNT: 0
; COMPUTE_PGM_RSRC3_GFX90A:ACCUM_OFFSET: 3
; COMPUTE_PGM_RSRC3_GFX90A:TG_SPLIT: 0
	.section	.text._ZN7rocprim17ROCPRIM_400000_NS6detail17trampoline_kernelINS0_14default_configENS1_25transform_config_selectorIhLb0EEEZNS1_14transform_implILb0ES3_S5_NS0_18transform_iteratorINS0_17counting_iteratorImlEEZNS1_24adjacent_difference_implIS3_Lb1ELb0EPhSB_N6thrust23THRUST_200600_302600_NS4plusIhEEEE10hipError_tPvRmT2_T3_mT4_P12ihipStream_tbEUlmE_hEESB_NS0_8identityIvEEEESG_SJ_SK_mSL_SN_bEUlT_E_NS1_11comp_targetILNS1_3genE4ELNS1_11target_archE910ELNS1_3gpuE8ELNS1_3repE0EEENS1_30default_config_static_selectorELNS0_4arch9wavefront6targetE1EEEvT1_,"axG",@progbits,_ZN7rocprim17ROCPRIM_400000_NS6detail17trampoline_kernelINS0_14default_configENS1_25transform_config_selectorIhLb0EEEZNS1_14transform_implILb0ES3_S5_NS0_18transform_iteratorINS0_17counting_iteratorImlEEZNS1_24adjacent_difference_implIS3_Lb1ELb0EPhSB_N6thrust23THRUST_200600_302600_NS4plusIhEEEE10hipError_tPvRmT2_T3_mT4_P12ihipStream_tbEUlmE_hEESB_NS0_8identityIvEEEESG_SJ_SK_mSL_SN_bEUlT_E_NS1_11comp_targetILNS1_3genE4ELNS1_11target_archE910ELNS1_3gpuE8ELNS1_3repE0EEENS1_30default_config_static_selectorELNS0_4arch9wavefront6targetE1EEEvT1_,comdat
	.protected	_ZN7rocprim17ROCPRIM_400000_NS6detail17trampoline_kernelINS0_14default_configENS1_25transform_config_selectorIhLb0EEEZNS1_14transform_implILb0ES3_S5_NS0_18transform_iteratorINS0_17counting_iteratorImlEEZNS1_24adjacent_difference_implIS3_Lb1ELb0EPhSB_N6thrust23THRUST_200600_302600_NS4plusIhEEEE10hipError_tPvRmT2_T3_mT4_P12ihipStream_tbEUlmE_hEESB_NS0_8identityIvEEEESG_SJ_SK_mSL_SN_bEUlT_E_NS1_11comp_targetILNS1_3genE4ELNS1_11target_archE910ELNS1_3gpuE8ELNS1_3repE0EEENS1_30default_config_static_selectorELNS0_4arch9wavefront6targetE1EEEvT1_ ; -- Begin function _ZN7rocprim17ROCPRIM_400000_NS6detail17trampoline_kernelINS0_14default_configENS1_25transform_config_selectorIhLb0EEEZNS1_14transform_implILb0ES3_S5_NS0_18transform_iteratorINS0_17counting_iteratorImlEEZNS1_24adjacent_difference_implIS3_Lb1ELb0EPhSB_N6thrust23THRUST_200600_302600_NS4plusIhEEEE10hipError_tPvRmT2_T3_mT4_P12ihipStream_tbEUlmE_hEESB_NS0_8identityIvEEEESG_SJ_SK_mSL_SN_bEUlT_E_NS1_11comp_targetILNS1_3genE4ELNS1_11target_archE910ELNS1_3gpuE8ELNS1_3repE0EEENS1_30default_config_static_selectorELNS0_4arch9wavefront6targetE1EEEvT1_
	.globl	_ZN7rocprim17ROCPRIM_400000_NS6detail17trampoline_kernelINS0_14default_configENS1_25transform_config_selectorIhLb0EEEZNS1_14transform_implILb0ES3_S5_NS0_18transform_iteratorINS0_17counting_iteratorImlEEZNS1_24adjacent_difference_implIS3_Lb1ELb0EPhSB_N6thrust23THRUST_200600_302600_NS4plusIhEEEE10hipError_tPvRmT2_T3_mT4_P12ihipStream_tbEUlmE_hEESB_NS0_8identityIvEEEESG_SJ_SK_mSL_SN_bEUlT_E_NS1_11comp_targetILNS1_3genE4ELNS1_11target_archE910ELNS1_3gpuE8ELNS1_3repE0EEENS1_30default_config_static_selectorELNS0_4arch9wavefront6targetE1EEEvT1_
	.p2align	8
	.type	_ZN7rocprim17ROCPRIM_400000_NS6detail17trampoline_kernelINS0_14default_configENS1_25transform_config_selectorIhLb0EEEZNS1_14transform_implILb0ES3_S5_NS0_18transform_iteratorINS0_17counting_iteratorImlEEZNS1_24adjacent_difference_implIS3_Lb1ELb0EPhSB_N6thrust23THRUST_200600_302600_NS4plusIhEEEE10hipError_tPvRmT2_T3_mT4_P12ihipStream_tbEUlmE_hEESB_NS0_8identityIvEEEESG_SJ_SK_mSL_SN_bEUlT_E_NS1_11comp_targetILNS1_3genE4ELNS1_11target_archE910ELNS1_3gpuE8ELNS1_3repE0EEENS1_30default_config_static_selectorELNS0_4arch9wavefront6targetE1EEEvT1_,@function
_ZN7rocprim17ROCPRIM_400000_NS6detail17trampoline_kernelINS0_14default_configENS1_25transform_config_selectorIhLb0EEEZNS1_14transform_implILb0ES3_S5_NS0_18transform_iteratorINS0_17counting_iteratorImlEEZNS1_24adjacent_difference_implIS3_Lb1ELb0EPhSB_N6thrust23THRUST_200600_302600_NS4plusIhEEEE10hipError_tPvRmT2_T3_mT4_P12ihipStream_tbEUlmE_hEESB_NS0_8identityIvEEEESG_SJ_SK_mSL_SN_bEUlT_E_NS1_11comp_targetILNS1_3genE4ELNS1_11target_archE910ELNS1_3gpuE8ELNS1_3repE0EEENS1_30default_config_static_selectorELNS0_4arch9wavefront6targetE1EEEvT1_: ; @_ZN7rocprim17ROCPRIM_400000_NS6detail17trampoline_kernelINS0_14default_configENS1_25transform_config_selectorIhLb0EEEZNS1_14transform_implILb0ES3_S5_NS0_18transform_iteratorINS0_17counting_iteratorImlEEZNS1_24adjacent_difference_implIS3_Lb1ELb0EPhSB_N6thrust23THRUST_200600_302600_NS4plusIhEEEE10hipError_tPvRmT2_T3_mT4_P12ihipStream_tbEUlmE_hEESB_NS0_8identityIvEEEESG_SJ_SK_mSL_SN_bEUlT_E_NS1_11comp_targetILNS1_3genE4ELNS1_11target_archE910ELNS1_3gpuE8ELNS1_3repE0EEENS1_30default_config_static_selectorELNS0_4arch9wavefront6targetE1EEEvT1_
; %bb.0:
	.section	.rodata,"a",@progbits
	.p2align	6, 0x0
	.amdhsa_kernel _ZN7rocprim17ROCPRIM_400000_NS6detail17trampoline_kernelINS0_14default_configENS1_25transform_config_selectorIhLb0EEEZNS1_14transform_implILb0ES3_S5_NS0_18transform_iteratorINS0_17counting_iteratorImlEEZNS1_24adjacent_difference_implIS3_Lb1ELb0EPhSB_N6thrust23THRUST_200600_302600_NS4plusIhEEEE10hipError_tPvRmT2_T3_mT4_P12ihipStream_tbEUlmE_hEESB_NS0_8identityIvEEEESG_SJ_SK_mSL_SN_bEUlT_E_NS1_11comp_targetILNS1_3genE4ELNS1_11target_archE910ELNS1_3gpuE8ELNS1_3repE0EEENS1_30default_config_static_selectorELNS0_4arch9wavefront6targetE1EEEvT1_
		.amdhsa_group_segment_fixed_size 0
		.amdhsa_private_segment_fixed_size 0
		.amdhsa_kernarg_size 56
		.amdhsa_user_sgpr_count 2
		.amdhsa_user_sgpr_dispatch_ptr 0
		.amdhsa_user_sgpr_queue_ptr 0
		.amdhsa_user_sgpr_kernarg_segment_ptr 1
		.amdhsa_user_sgpr_dispatch_id 0
		.amdhsa_user_sgpr_kernarg_preload_length 0
		.amdhsa_user_sgpr_kernarg_preload_offset 0
		.amdhsa_user_sgpr_private_segment_size 0
		.amdhsa_uses_dynamic_stack 0
		.amdhsa_enable_private_segment 0
		.amdhsa_system_sgpr_workgroup_id_x 1
		.amdhsa_system_sgpr_workgroup_id_y 0
		.amdhsa_system_sgpr_workgroup_id_z 0
		.amdhsa_system_sgpr_workgroup_info 0
		.amdhsa_system_vgpr_workitem_id 0
		.amdhsa_next_free_vgpr 1
		.amdhsa_next_free_sgpr 0
		.amdhsa_accum_offset 4
		.amdhsa_reserve_vcc 0
		.amdhsa_float_round_mode_32 0
		.amdhsa_float_round_mode_16_64 0
		.amdhsa_float_denorm_mode_32 3
		.amdhsa_float_denorm_mode_16_64 3
		.amdhsa_dx10_clamp 1
		.amdhsa_ieee_mode 1
		.amdhsa_fp16_overflow 0
		.amdhsa_tg_split 0
		.amdhsa_exception_fp_ieee_invalid_op 0
		.amdhsa_exception_fp_denorm_src 0
		.amdhsa_exception_fp_ieee_div_zero 0
		.amdhsa_exception_fp_ieee_overflow 0
		.amdhsa_exception_fp_ieee_underflow 0
		.amdhsa_exception_fp_ieee_inexact 0
		.amdhsa_exception_int_div_zero 0
	.end_amdhsa_kernel
	.section	.text._ZN7rocprim17ROCPRIM_400000_NS6detail17trampoline_kernelINS0_14default_configENS1_25transform_config_selectorIhLb0EEEZNS1_14transform_implILb0ES3_S5_NS0_18transform_iteratorINS0_17counting_iteratorImlEEZNS1_24adjacent_difference_implIS3_Lb1ELb0EPhSB_N6thrust23THRUST_200600_302600_NS4plusIhEEEE10hipError_tPvRmT2_T3_mT4_P12ihipStream_tbEUlmE_hEESB_NS0_8identityIvEEEESG_SJ_SK_mSL_SN_bEUlT_E_NS1_11comp_targetILNS1_3genE4ELNS1_11target_archE910ELNS1_3gpuE8ELNS1_3repE0EEENS1_30default_config_static_selectorELNS0_4arch9wavefront6targetE1EEEvT1_,"axG",@progbits,_ZN7rocprim17ROCPRIM_400000_NS6detail17trampoline_kernelINS0_14default_configENS1_25transform_config_selectorIhLb0EEEZNS1_14transform_implILb0ES3_S5_NS0_18transform_iteratorINS0_17counting_iteratorImlEEZNS1_24adjacent_difference_implIS3_Lb1ELb0EPhSB_N6thrust23THRUST_200600_302600_NS4plusIhEEEE10hipError_tPvRmT2_T3_mT4_P12ihipStream_tbEUlmE_hEESB_NS0_8identityIvEEEESG_SJ_SK_mSL_SN_bEUlT_E_NS1_11comp_targetILNS1_3genE4ELNS1_11target_archE910ELNS1_3gpuE8ELNS1_3repE0EEENS1_30default_config_static_selectorELNS0_4arch9wavefront6targetE1EEEvT1_,comdat
.Lfunc_end298:
	.size	_ZN7rocprim17ROCPRIM_400000_NS6detail17trampoline_kernelINS0_14default_configENS1_25transform_config_selectorIhLb0EEEZNS1_14transform_implILb0ES3_S5_NS0_18transform_iteratorINS0_17counting_iteratorImlEEZNS1_24adjacent_difference_implIS3_Lb1ELb0EPhSB_N6thrust23THRUST_200600_302600_NS4plusIhEEEE10hipError_tPvRmT2_T3_mT4_P12ihipStream_tbEUlmE_hEESB_NS0_8identityIvEEEESG_SJ_SK_mSL_SN_bEUlT_E_NS1_11comp_targetILNS1_3genE4ELNS1_11target_archE910ELNS1_3gpuE8ELNS1_3repE0EEENS1_30default_config_static_selectorELNS0_4arch9wavefront6targetE1EEEvT1_, .Lfunc_end298-_ZN7rocprim17ROCPRIM_400000_NS6detail17trampoline_kernelINS0_14default_configENS1_25transform_config_selectorIhLb0EEEZNS1_14transform_implILb0ES3_S5_NS0_18transform_iteratorINS0_17counting_iteratorImlEEZNS1_24adjacent_difference_implIS3_Lb1ELb0EPhSB_N6thrust23THRUST_200600_302600_NS4plusIhEEEE10hipError_tPvRmT2_T3_mT4_P12ihipStream_tbEUlmE_hEESB_NS0_8identityIvEEEESG_SJ_SK_mSL_SN_bEUlT_E_NS1_11comp_targetILNS1_3genE4ELNS1_11target_archE910ELNS1_3gpuE8ELNS1_3repE0EEENS1_30default_config_static_selectorELNS0_4arch9wavefront6targetE1EEEvT1_
                                        ; -- End function
	.section	.AMDGPU.csdata,"",@progbits
; Kernel info:
; codeLenInByte = 0
; NumSgprs: 6
; NumVgprs: 0
; NumAgprs: 0
; TotalNumVgprs: 0
; ScratchSize: 0
; MemoryBound: 0
; FloatMode: 240
; IeeeMode: 1
; LDSByteSize: 0 bytes/workgroup (compile time only)
; SGPRBlocks: 0
; VGPRBlocks: 0
; NumSGPRsForWavesPerEU: 6
; NumVGPRsForWavesPerEU: 1
; AccumOffset: 4
; Occupancy: 8
; WaveLimiterHint : 0
; COMPUTE_PGM_RSRC2:SCRATCH_EN: 0
; COMPUTE_PGM_RSRC2:USER_SGPR: 2
; COMPUTE_PGM_RSRC2:TRAP_HANDLER: 0
; COMPUTE_PGM_RSRC2:TGID_X_EN: 1
; COMPUTE_PGM_RSRC2:TGID_Y_EN: 0
; COMPUTE_PGM_RSRC2:TGID_Z_EN: 0
; COMPUTE_PGM_RSRC2:TIDIG_COMP_CNT: 0
; COMPUTE_PGM_RSRC3_GFX90A:ACCUM_OFFSET: 0
; COMPUTE_PGM_RSRC3_GFX90A:TG_SPLIT: 0
	.section	.text._ZN7rocprim17ROCPRIM_400000_NS6detail17trampoline_kernelINS0_14default_configENS1_25transform_config_selectorIhLb0EEEZNS1_14transform_implILb0ES3_S5_NS0_18transform_iteratorINS0_17counting_iteratorImlEEZNS1_24adjacent_difference_implIS3_Lb1ELb0EPhSB_N6thrust23THRUST_200600_302600_NS4plusIhEEEE10hipError_tPvRmT2_T3_mT4_P12ihipStream_tbEUlmE_hEESB_NS0_8identityIvEEEESG_SJ_SK_mSL_SN_bEUlT_E_NS1_11comp_targetILNS1_3genE3ELNS1_11target_archE908ELNS1_3gpuE7ELNS1_3repE0EEENS1_30default_config_static_selectorELNS0_4arch9wavefront6targetE1EEEvT1_,"axG",@progbits,_ZN7rocprim17ROCPRIM_400000_NS6detail17trampoline_kernelINS0_14default_configENS1_25transform_config_selectorIhLb0EEEZNS1_14transform_implILb0ES3_S5_NS0_18transform_iteratorINS0_17counting_iteratorImlEEZNS1_24adjacent_difference_implIS3_Lb1ELb0EPhSB_N6thrust23THRUST_200600_302600_NS4plusIhEEEE10hipError_tPvRmT2_T3_mT4_P12ihipStream_tbEUlmE_hEESB_NS0_8identityIvEEEESG_SJ_SK_mSL_SN_bEUlT_E_NS1_11comp_targetILNS1_3genE3ELNS1_11target_archE908ELNS1_3gpuE7ELNS1_3repE0EEENS1_30default_config_static_selectorELNS0_4arch9wavefront6targetE1EEEvT1_,comdat
	.protected	_ZN7rocprim17ROCPRIM_400000_NS6detail17trampoline_kernelINS0_14default_configENS1_25transform_config_selectorIhLb0EEEZNS1_14transform_implILb0ES3_S5_NS0_18transform_iteratorINS0_17counting_iteratorImlEEZNS1_24adjacent_difference_implIS3_Lb1ELb0EPhSB_N6thrust23THRUST_200600_302600_NS4plusIhEEEE10hipError_tPvRmT2_T3_mT4_P12ihipStream_tbEUlmE_hEESB_NS0_8identityIvEEEESG_SJ_SK_mSL_SN_bEUlT_E_NS1_11comp_targetILNS1_3genE3ELNS1_11target_archE908ELNS1_3gpuE7ELNS1_3repE0EEENS1_30default_config_static_selectorELNS0_4arch9wavefront6targetE1EEEvT1_ ; -- Begin function _ZN7rocprim17ROCPRIM_400000_NS6detail17trampoline_kernelINS0_14default_configENS1_25transform_config_selectorIhLb0EEEZNS1_14transform_implILb0ES3_S5_NS0_18transform_iteratorINS0_17counting_iteratorImlEEZNS1_24adjacent_difference_implIS3_Lb1ELb0EPhSB_N6thrust23THRUST_200600_302600_NS4plusIhEEEE10hipError_tPvRmT2_T3_mT4_P12ihipStream_tbEUlmE_hEESB_NS0_8identityIvEEEESG_SJ_SK_mSL_SN_bEUlT_E_NS1_11comp_targetILNS1_3genE3ELNS1_11target_archE908ELNS1_3gpuE7ELNS1_3repE0EEENS1_30default_config_static_selectorELNS0_4arch9wavefront6targetE1EEEvT1_
	.globl	_ZN7rocprim17ROCPRIM_400000_NS6detail17trampoline_kernelINS0_14default_configENS1_25transform_config_selectorIhLb0EEEZNS1_14transform_implILb0ES3_S5_NS0_18transform_iteratorINS0_17counting_iteratorImlEEZNS1_24adjacent_difference_implIS3_Lb1ELb0EPhSB_N6thrust23THRUST_200600_302600_NS4plusIhEEEE10hipError_tPvRmT2_T3_mT4_P12ihipStream_tbEUlmE_hEESB_NS0_8identityIvEEEESG_SJ_SK_mSL_SN_bEUlT_E_NS1_11comp_targetILNS1_3genE3ELNS1_11target_archE908ELNS1_3gpuE7ELNS1_3repE0EEENS1_30default_config_static_selectorELNS0_4arch9wavefront6targetE1EEEvT1_
	.p2align	8
	.type	_ZN7rocprim17ROCPRIM_400000_NS6detail17trampoline_kernelINS0_14default_configENS1_25transform_config_selectorIhLb0EEEZNS1_14transform_implILb0ES3_S5_NS0_18transform_iteratorINS0_17counting_iteratorImlEEZNS1_24adjacent_difference_implIS3_Lb1ELb0EPhSB_N6thrust23THRUST_200600_302600_NS4plusIhEEEE10hipError_tPvRmT2_T3_mT4_P12ihipStream_tbEUlmE_hEESB_NS0_8identityIvEEEESG_SJ_SK_mSL_SN_bEUlT_E_NS1_11comp_targetILNS1_3genE3ELNS1_11target_archE908ELNS1_3gpuE7ELNS1_3repE0EEENS1_30default_config_static_selectorELNS0_4arch9wavefront6targetE1EEEvT1_,@function
_ZN7rocprim17ROCPRIM_400000_NS6detail17trampoline_kernelINS0_14default_configENS1_25transform_config_selectorIhLb0EEEZNS1_14transform_implILb0ES3_S5_NS0_18transform_iteratorINS0_17counting_iteratorImlEEZNS1_24adjacent_difference_implIS3_Lb1ELb0EPhSB_N6thrust23THRUST_200600_302600_NS4plusIhEEEE10hipError_tPvRmT2_T3_mT4_P12ihipStream_tbEUlmE_hEESB_NS0_8identityIvEEEESG_SJ_SK_mSL_SN_bEUlT_E_NS1_11comp_targetILNS1_3genE3ELNS1_11target_archE908ELNS1_3gpuE7ELNS1_3repE0EEENS1_30default_config_static_selectorELNS0_4arch9wavefront6targetE1EEEvT1_: ; @_ZN7rocprim17ROCPRIM_400000_NS6detail17trampoline_kernelINS0_14default_configENS1_25transform_config_selectorIhLb0EEEZNS1_14transform_implILb0ES3_S5_NS0_18transform_iteratorINS0_17counting_iteratorImlEEZNS1_24adjacent_difference_implIS3_Lb1ELb0EPhSB_N6thrust23THRUST_200600_302600_NS4plusIhEEEE10hipError_tPvRmT2_T3_mT4_P12ihipStream_tbEUlmE_hEESB_NS0_8identityIvEEEESG_SJ_SK_mSL_SN_bEUlT_E_NS1_11comp_targetILNS1_3genE3ELNS1_11target_archE908ELNS1_3gpuE7ELNS1_3repE0EEENS1_30default_config_static_selectorELNS0_4arch9wavefront6targetE1EEEvT1_
; %bb.0:
	.section	.rodata,"a",@progbits
	.p2align	6, 0x0
	.amdhsa_kernel _ZN7rocprim17ROCPRIM_400000_NS6detail17trampoline_kernelINS0_14default_configENS1_25transform_config_selectorIhLb0EEEZNS1_14transform_implILb0ES3_S5_NS0_18transform_iteratorINS0_17counting_iteratorImlEEZNS1_24adjacent_difference_implIS3_Lb1ELb0EPhSB_N6thrust23THRUST_200600_302600_NS4plusIhEEEE10hipError_tPvRmT2_T3_mT4_P12ihipStream_tbEUlmE_hEESB_NS0_8identityIvEEEESG_SJ_SK_mSL_SN_bEUlT_E_NS1_11comp_targetILNS1_3genE3ELNS1_11target_archE908ELNS1_3gpuE7ELNS1_3repE0EEENS1_30default_config_static_selectorELNS0_4arch9wavefront6targetE1EEEvT1_
		.amdhsa_group_segment_fixed_size 0
		.amdhsa_private_segment_fixed_size 0
		.amdhsa_kernarg_size 56
		.amdhsa_user_sgpr_count 2
		.amdhsa_user_sgpr_dispatch_ptr 0
		.amdhsa_user_sgpr_queue_ptr 0
		.amdhsa_user_sgpr_kernarg_segment_ptr 1
		.amdhsa_user_sgpr_dispatch_id 0
		.amdhsa_user_sgpr_kernarg_preload_length 0
		.amdhsa_user_sgpr_kernarg_preload_offset 0
		.amdhsa_user_sgpr_private_segment_size 0
		.amdhsa_uses_dynamic_stack 0
		.amdhsa_enable_private_segment 0
		.amdhsa_system_sgpr_workgroup_id_x 1
		.amdhsa_system_sgpr_workgroup_id_y 0
		.amdhsa_system_sgpr_workgroup_id_z 0
		.amdhsa_system_sgpr_workgroup_info 0
		.amdhsa_system_vgpr_workitem_id 0
		.amdhsa_next_free_vgpr 1
		.amdhsa_next_free_sgpr 0
		.amdhsa_accum_offset 4
		.amdhsa_reserve_vcc 0
		.amdhsa_float_round_mode_32 0
		.amdhsa_float_round_mode_16_64 0
		.amdhsa_float_denorm_mode_32 3
		.amdhsa_float_denorm_mode_16_64 3
		.amdhsa_dx10_clamp 1
		.amdhsa_ieee_mode 1
		.amdhsa_fp16_overflow 0
		.amdhsa_tg_split 0
		.amdhsa_exception_fp_ieee_invalid_op 0
		.amdhsa_exception_fp_denorm_src 0
		.amdhsa_exception_fp_ieee_div_zero 0
		.amdhsa_exception_fp_ieee_overflow 0
		.amdhsa_exception_fp_ieee_underflow 0
		.amdhsa_exception_fp_ieee_inexact 0
		.amdhsa_exception_int_div_zero 0
	.end_amdhsa_kernel
	.section	.text._ZN7rocprim17ROCPRIM_400000_NS6detail17trampoline_kernelINS0_14default_configENS1_25transform_config_selectorIhLb0EEEZNS1_14transform_implILb0ES3_S5_NS0_18transform_iteratorINS0_17counting_iteratorImlEEZNS1_24adjacent_difference_implIS3_Lb1ELb0EPhSB_N6thrust23THRUST_200600_302600_NS4plusIhEEEE10hipError_tPvRmT2_T3_mT4_P12ihipStream_tbEUlmE_hEESB_NS0_8identityIvEEEESG_SJ_SK_mSL_SN_bEUlT_E_NS1_11comp_targetILNS1_3genE3ELNS1_11target_archE908ELNS1_3gpuE7ELNS1_3repE0EEENS1_30default_config_static_selectorELNS0_4arch9wavefront6targetE1EEEvT1_,"axG",@progbits,_ZN7rocprim17ROCPRIM_400000_NS6detail17trampoline_kernelINS0_14default_configENS1_25transform_config_selectorIhLb0EEEZNS1_14transform_implILb0ES3_S5_NS0_18transform_iteratorINS0_17counting_iteratorImlEEZNS1_24adjacent_difference_implIS3_Lb1ELb0EPhSB_N6thrust23THRUST_200600_302600_NS4plusIhEEEE10hipError_tPvRmT2_T3_mT4_P12ihipStream_tbEUlmE_hEESB_NS0_8identityIvEEEESG_SJ_SK_mSL_SN_bEUlT_E_NS1_11comp_targetILNS1_3genE3ELNS1_11target_archE908ELNS1_3gpuE7ELNS1_3repE0EEENS1_30default_config_static_selectorELNS0_4arch9wavefront6targetE1EEEvT1_,comdat
.Lfunc_end299:
	.size	_ZN7rocprim17ROCPRIM_400000_NS6detail17trampoline_kernelINS0_14default_configENS1_25transform_config_selectorIhLb0EEEZNS1_14transform_implILb0ES3_S5_NS0_18transform_iteratorINS0_17counting_iteratorImlEEZNS1_24adjacent_difference_implIS3_Lb1ELb0EPhSB_N6thrust23THRUST_200600_302600_NS4plusIhEEEE10hipError_tPvRmT2_T3_mT4_P12ihipStream_tbEUlmE_hEESB_NS0_8identityIvEEEESG_SJ_SK_mSL_SN_bEUlT_E_NS1_11comp_targetILNS1_3genE3ELNS1_11target_archE908ELNS1_3gpuE7ELNS1_3repE0EEENS1_30default_config_static_selectorELNS0_4arch9wavefront6targetE1EEEvT1_, .Lfunc_end299-_ZN7rocprim17ROCPRIM_400000_NS6detail17trampoline_kernelINS0_14default_configENS1_25transform_config_selectorIhLb0EEEZNS1_14transform_implILb0ES3_S5_NS0_18transform_iteratorINS0_17counting_iteratorImlEEZNS1_24adjacent_difference_implIS3_Lb1ELb0EPhSB_N6thrust23THRUST_200600_302600_NS4plusIhEEEE10hipError_tPvRmT2_T3_mT4_P12ihipStream_tbEUlmE_hEESB_NS0_8identityIvEEEESG_SJ_SK_mSL_SN_bEUlT_E_NS1_11comp_targetILNS1_3genE3ELNS1_11target_archE908ELNS1_3gpuE7ELNS1_3repE0EEENS1_30default_config_static_selectorELNS0_4arch9wavefront6targetE1EEEvT1_
                                        ; -- End function
	.section	.AMDGPU.csdata,"",@progbits
; Kernel info:
; codeLenInByte = 0
; NumSgprs: 6
; NumVgprs: 0
; NumAgprs: 0
; TotalNumVgprs: 0
; ScratchSize: 0
; MemoryBound: 0
; FloatMode: 240
; IeeeMode: 1
; LDSByteSize: 0 bytes/workgroup (compile time only)
; SGPRBlocks: 0
; VGPRBlocks: 0
; NumSGPRsForWavesPerEU: 6
; NumVGPRsForWavesPerEU: 1
; AccumOffset: 4
; Occupancy: 8
; WaveLimiterHint : 0
; COMPUTE_PGM_RSRC2:SCRATCH_EN: 0
; COMPUTE_PGM_RSRC2:USER_SGPR: 2
; COMPUTE_PGM_RSRC2:TRAP_HANDLER: 0
; COMPUTE_PGM_RSRC2:TGID_X_EN: 1
; COMPUTE_PGM_RSRC2:TGID_Y_EN: 0
; COMPUTE_PGM_RSRC2:TGID_Z_EN: 0
; COMPUTE_PGM_RSRC2:TIDIG_COMP_CNT: 0
; COMPUTE_PGM_RSRC3_GFX90A:ACCUM_OFFSET: 0
; COMPUTE_PGM_RSRC3_GFX90A:TG_SPLIT: 0
	.section	.text._ZN7rocprim17ROCPRIM_400000_NS6detail17trampoline_kernelINS0_14default_configENS1_25transform_config_selectorIhLb0EEEZNS1_14transform_implILb0ES3_S5_NS0_18transform_iteratorINS0_17counting_iteratorImlEEZNS1_24adjacent_difference_implIS3_Lb1ELb0EPhSB_N6thrust23THRUST_200600_302600_NS4plusIhEEEE10hipError_tPvRmT2_T3_mT4_P12ihipStream_tbEUlmE_hEESB_NS0_8identityIvEEEESG_SJ_SK_mSL_SN_bEUlT_E_NS1_11comp_targetILNS1_3genE2ELNS1_11target_archE906ELNS1_3gpuE6ELNS1_3repE0EEENS1_30default_config_static_selectorELNS0_4arch9wavefront6targetE1EEEvT1_,"axG",@progbits,_ZN7rocprim17ROCPRIM_400000_NS6detail17trampoline_kernelINS0_14default_configENS1_25transform_config_selectorIhLb0EEEZNS1_14transform_implILb0ES3_S5_NS0_18transform_iteratorINS0_17counting_iteratorImlEEZNS1_24adjacent_difference_implIS3_Lb1ELb0EPhSB_N6thrust23THRUST_200600_302600_NS4plusIhEEEE10hipError_tPvRmT2_T3_mT4_P12ihipStream_tbEUlmE_hEESB_NS0_8identityIvEEEESG_SJ_SK_mSL_SN_bEUlT_E_NS1_11comp_targetILNS1_3genE2ELNS1_11target_archE906ELNS1_3gpuE6ELNS1_3repE0EEENS1_30default_config_static_selectorELNS0_4arch9wavefront6targetE1EEEvT1_,comdat
	.protected	_ZN7rocprim17ROCPRIM_400000_NS6detail17trampoline_kernelINS0_14default_configENS1_25transform_config_selectorIhLb0EEEZNS1_14transform_implILb0ES3_S5_NS0_18transform_iteratorINS0_17counting_iteratorImlEEZNS1_24adjacent_difference_implIS3_Lb1ELb0EPhSB_N6thrust23THRUST_200600_302600_NS4plusIhEEEE10hipError_tPvRmT2_T3_mT4_P12ihipStream_tbEUlmE_hEESB_NS0_8identityIvEEEESG_SJ_SK_mSL_SN_bEUlT_E_NS1_11comp_targetILNS1_3genE2ELNS1_11target_archE906ELNS1_3gpuE6ELNS1_3repE0EEENS1_30default_config_static_selectorELNS0_4arch9wavefront6targetE1EEEvT1_ ; -- Begin function _ZN7rocprim17ROCPRIM_400000_NS6detail17trampoline_kernelINS0_14default_configENS1_25transform_config_selectorIhLb0EEEZNS1_14transform_implILb0ES3_S5_NS0_18transform_iteratorINS0_17counting_iteratorImlEEZNS1_24adjacent_difference_implIS3_Lb1ELb0EPhSB_N6thrust23THRUST_200600_302600_NS4plusIhEEEE10hipError_tPvRmT2_T3_mT4_P12ihipStream_tbEUlmE_hEESB_NS0_8identityIvEEEESG_SJ_SK_mSL_SN_bEUlT_E_NS1_11comp_targetILNS1_3genE2ELNS1_11target_archE906ELNS1_3gpuE6ELNS1_3repE0EEENS1_30default_config_static_selectorELNS0_4arch9wavefront6targetE1EEEvT1_
	.globl	_ZN7rocprim17ROCPRIM_400000_NS6detail17trampoline_kernelINS0_14default_configENS1_25transform_config_selectorIhLb0EEEZNS1_14transform_implILb0ES3_S5_NS0_18transform_iteratorINS0_17counting_iteratorImlEEZNS1_24adjacent_difference_implIS3_Lb1ELb0EPhSB_N6thrust23THRUST_200600_302600_NS4plusIhEEEE10hipError_tPvRmT2_T3_mT4_P12ihipStream_tbEUlmE_hEESB_NS0_8identityIvEEEESG_SJ_SK_mSL_SN_bEUlT_E_NS1_11comp_targetILNS1_3genE2ELNS1_11target_archE906ELNS1_3gpuE6ELNS1_3repE0EEENS1_30default_config_static_selectorELNS0_4arch9wavefront6targetE1EEEvT1_
	.p2align	8
	.type	_ZN7rocprim17ROCPRIM_400000_NS6detail17trampoline_kernelINS0_14default_configENS1_25transform_config_selectorIhLb0EEEZNS1_14transform_implILb0ES3_S5_NS0_18transform_iteratorINS0_17counting_iteratorImlEEZNS1_24adjacent_difference_implIS3_Lb1ELb0EPhSB_N6thrust23THRUST_200600_302600_NS4plusIhEEEE10hipError_tPvRmT2_T3_mT4_P12ihipStream_tbEUlmE_hEESB_NS0_8identityIvEEEESG_SJ_SK_mSL_SN_bEUlT_E_NS1_11comp_targetILNS1_3genE2ELNS1_11target_archE906ELNS1_3gpuE6ELNS1_3repE0EEENS1_30default_config_static_selectorELNS0_4arch9wavefront6targetE1EEEvT1_,@function
_ZN7rocprim17ROCPRIM_400000_NS6detail17trampoline_kernelINS0_14default_configENS1_25transform_config_selectorIhLb0EEEZNS1_14transform_implILb0ES3_S5_NS0_18transform_iteratorINS0_17counting_iteratorImlEEZNS1_24adjacent_difference_implIS3_Lb1ELb0EPhSB_N6thrust23THRUST_200600_302600_NS4plusIhEEEE10hipError_tPvRmT2_T3_mT4_P12ihipStream_tbEUlmE_hEESB_NS0_8identityIvEEEESG_SJ_SK_mSL_SN_bEUlT_E_NS1_11comp_targetILNS1_3genE2ELNS1_11target_archE906ELNS1_3gpuE6ELNS1_3repE0EEENS1_30default_config_static_selectorELNS0_4arch9wavefront6targetE1EEEvT1_: ; @_ZN7rocprim17ROCPRIM_400000_NS6detail17trampoline_kernelINS0_14default_configENS1_25transform_config_selectorIhLb0EEEZNS1_14transform_implILb0ES3_S5_NS0_18transform_iteratorINS0_17counting_iteratorImlEEZNS1_24adjacent_difference_implIS3_Lb1ELb0EPhSB_N6thrust23THRUST_200600_302600_NS4plusIhEEEE10hipError_tPvRmT2_T3_mT4_P12ihipStream_tbEUlmE_hEESB_NS0_8identityIvEEEESG_SJ_SK_mSL_SN_bEUlT_E_NS1_11comp_targetILNS1_3genE2ELNS1_11target_archE906ELNS1_3gpuE6ELNS1_3repE0EEENS1_30default_config_static_selectorELNS0_4arch9wavefront6targetE1EEEvT1_
; %bb.0:
	.section	.rodata,"a",@progbits
	.p2align	6, 0x0
	.amdhsa_kernel _ZN7rocprim17ROCPRIM_400000_NS6detail17trampoline_kernelINS0_14default_configENS1_25transform_config_selectorIhLb0EEEZNS1_14transform_implILb0ES3_S5_NS0_18transform_iteratorINS0_17counting_iteratorImlEEZNS1_24adjacent_difference_implIS3_Lb1ELb0EPhSB_N6thrust23THRUST_200600_302600_NS4plusIhEEEE10hipError_tPvRmT2_T3_mT4_P12ihipStream_tbEUlmE_hEESB_NS0_8identityIvEEEESG_SJ_SK_mSL_SN_bEUlT_E_NS1_11comp_targetILNS1_3genE2ELNS1_11target_archE906ELNS1_3gpuE6ELNS1_3repE0EEENS1_30default_config_static_selectorELNS0_4arch9wavefront6targetE1EEEvT1_
		.amdhsa_group_segment_fixed_size 0
		.amdhsa_private_segment_fixed_size 0
		.amdhsa_kernarg_size 56
		.amdhsa_user_sgpr_count 2
		.amdhsa_user_sgpr_dispatch_ptr 0
		.amdhsa_user_sgpr_queue_ptr 0
		.amdhsa_user_sgpr_kernarg_segment_ptr 1
		.amdhsa_user_sgpr_dispatch_id 0
		.amdhsa_user_sgpr_kernarg_preload_length 0
		.amdhsa_user_sgpr_kernarg_preload_offset 0
		.amdhsa_user_sgpr_private_segment_size 0
		.amdhsa_uses_dynamic_stack 0
		.amdhsa_enable_private_segment 0
		.amdhsa_system_sgpr_workgroup_id_x 1
		.amdhsa_system_sgpr_workgroup_id_y 0
		.amdhsa_system_sgpr_workgroup_id_z 0
		.amdhsa_system_sgpr_workgroup_info 0
		.amdhsa_system_vgpr_workitem_id 0
		.amdhsa_next_free_vgpr 1
		.amdhsa_next_free_sgpr 0
		.amdhsa_accum_offset 4
		.amdhsa_reserve_vcc 0
		.amdhsa_float_round_mode_32 0
		.amdhsa_float_round_mode_16_64 0
		.amdhsa_float_denorm_mode_32 3
		.amdhsa_float_denorm_mode_16_64 3
		.amdhsa_dx10_clamp 1
		.amdhsa_ieee_mode 1
		.amdhsa_fp16_overflow 0
		.amdhsa_tg_split 0
		.amdhsa_exception_fp_ieee_invalid_op 0
		.amdhsa_exception_fp_denorm_src 0
		.amdhsa_exception_fp_ieee_div_zero 0
		.amdhsa_exception_fp_ieee_overflow 0
		.amdhsa_exception_fp_ieee_underflow 0
		.amdhsa_exception_fp_ieee_inexact 0
		.amdhsa_exception_int_div_zero 0
	.end_amdhsa_kernel
	.section	.text._ZN7rocprim17ROCPRIM_400000_NS6detail17trampoline_kernelINS0_14default_configENS1_25transform_config_selectorIhLb0EEEZNS1_14transform_implILb0ES3_S5_NS0_18transform_iteratorINS0_17counting_iteratorImlEEZNS1_24adjacent_difference_implIS3_Lb1ELb0EPhSB_N6thrust23THRUST_200600_302600_NS4plusIhEEEE10hipError_tPvRmT2_T3_mT4_P12ihipStream_tbEUlmE_hEESB_NS0_8identityIvEEEESG_SJ_SK_mSL_SN_bEUlT_E_NS1_11comp_targetILNS1_3genE2ELNS1_11target_archE906ELNS1_3gpuE6ELNS1_3repE0EEENS1_30default_config_static_selectorELNS0_4arch9wavefront6targetE1EEEvT1_,"axG",@progbits,_ZN7rocprim17ROCPRIM_400000_NS6detail17trampoline_kernelINS0_14default_configENS1_25transform_config_selectorIhLb0EEEZNS1_14transform_implILb0ES3_S5_NS0_18transform_iteratorINS0_17counting_iteratorImlEEZNS1_24adjacent_difference_implIS3_Lb1ELb0EPhSB_N6thrust23THRUST_200600_302600_NS4plusIhEEEE10hipError_tPvRmT2_T3_mT4_P12ihipStream_tbEUlmE_hEESB_NS0_8identityIvEEEESG_SJ_SK_mSL_SN_bEUlT_E_NS1_11comp_targetILNS1_3genE2ELNS1_11target_archE906ELNS1_3gpuE6ELNS1_3repE0EEENS1_30default_config_static_selectorELNS0_4arch9wavefront6targetE1EEEvT1_,comdat
.Lfunc_end300:
	.size	_ZN7rocprim17ROCPRIM_400000_NS6detail17trampoline_kernelINS0_14default_configENS1_25transform_config_selectorIhLb0EEEZNS1_14transform_implILb0ES3_S5_NS0_18transform_iteratorINS0_17counting_iteratorImlEEZNS1_24adjacent_difference_implIS3_Lb1ELb0EPhSB_N6thrust23THRUST_200600_302600_NS4plusIhEEEE10hipError_tPvRmT2_T3_mT4_P12ihipStream_tbEUlmE_hEESB_NS0_8identityIvEEEESG_SJ_SK_mSL_SN_bEUlT_E_NS1_11comp_targetILNS1_3genE2ELNS1_11target_archE906ELNS1_3gpuE6ELNS1_3repE0EEENS1_30default_config_static_selectorELNS0_4arch9wavefront6targetE1EEEvT1_, .Lfunc_end300-_ZN7rocprim17ROCPRIM_400000_NS6detail17trampoline_kernelINS0_14default_configENS1_25transform_config_selectorIhLb0EEEZNS1_14transform_implILb0ES3_S5_NS0_18transform_iteratorINS0_17counting_iteratorImlEEZNS1_24adjacent_difference_implIS3_Lb1ELb0EPhSB_N6thrust23THRUST_200600_302600_NS4plusIhEEEE10hipError_tPvRmT2_T3_mT4_P12ihipStream_tbEUlmE_hEESB_NS0_8identityIvEEEESG_SJ_SK_mSL_SN_bEUlT_E_NS1_11comp_targetILNS1_3genE2ELNS1_11target_archE906ELNS1_3gpuE6ELNS1_3repE0EEENS1_30default_config_static_selectorELNS0_4arch9wavefront6targetE1EEEvT1_
                                        ; -- End function
	.section	.AMDGPU.csdata,"",@progbits
; Kernel info:
; codeLenInByte = 0
; NumSgprs: 6
; NumVgprs: 0
; NumAgprs: 0
; TotalNumVgprs: 0
; ScratchSize: 0
; MemoryBound: 0
; FloatMode: 240
; IeeeMode: 1
; LDSByteSize: 0 bytes/workgroup (compile time only)
; SGPRBlocks: 0
; VGPRBlocks: 0
; NumSGPRsForWavesPerEU: 6
; NumVGPRsForWavesPerEU: 1
; AccumOffset: 4
; Occupancy: 8
; WaveLimiterHint : 0
; COMPUTE_PGM_RSRC2:SCRATCH_EN: 0
; COMPUTE_PGM_RSRC2:USER_SGPR: 2
; COMPUTE_PGM_RSRC2:TRAP_HANDLER: 0
; COMPUTE_PGM_RSRC2:TGID_X_EN: 1
; COMPUTE_PGM_RSRC2:TGID_Y_EN: 0
; COMPUTE_PGM_RSRC2:TGID_Z_EN: 0
; COMPUTE_PGM_RSRC2:TIDIG_COMP_CNT: 0
; COMPUTE_PGM_RSRC3_GFX90A:ACCUM_OFFSET: 0
; COMPUTE_PGM_RSRC3_GFX90A:TG_SPLIT: 0
	.section	.text._ZN7rocprim17ROCPRIM_400000_NS6detail17trampoline_kernelINS0_14default_configENS1_25transform_config_selectorIhLb0EEEZNS1_14transform_implILb0ES3_S5_NS0_18transform_iteratorINS0_17counting_iteratorImlEEZNS1_24adjacent_difference_implIS3_Lb1ELb0EPhSB_N6thrust23THRUST_200600_302600_NS4plusIhEEEE10hipError_tPvRmT2_T3_mT4_P12ihipStream_tbEUlmE_hEESB_NS0_8identityIvEEEESG_SJ_SK_mSL_SN_bEUlT_E_NS1_11comp_targetILNS1_3genE10ELNS1_11target_archE1201ELNS1_3gpuE5ELNS1_3repE0EEENS1_30default_config_static_selectorELNS0_4arch9wavefront6targetE1EEEvT1_,"axG",@progbits,_ZN7rocprim17ROCPRIM_400000_NS6detail17trampoline_kernelINS0_14default_configENS1_25transform_config_selectorIhLb0EEEZNS1_14transform_implILb0ES3_S5_NS0_18transform_iteratorINS0_17counting_iteratorImlEEZNS1_24adjacent_difference_implIS3_Lb1ELb0EPhSB_N6thrust23THRUST_200600_302600_NS4plusIhEEEE10hipError_tPvRmT2_T3_mT4_P12ihipStream_tbEUlmE_hEESB_NS0_8identityIvEEEESG_SJ_SK_mSL_SN_bEUlT_E_NS1_11comp_targetILNS1_3genE10ELNS1_11target_archE1201ELNS1_3gpuE5ELNS1_3repE0EEENS1_30default_config_static_selectorELNS0_4arch9wavefront6targetE1EEEvT1_,comdat
	.protected	_ZN7rocprim17ROCPRIM_400000_NS6detail17trampoline_kernelINS0_14default_configENS1_25transform_config_selectorIhLb0EEEZNS1_14transform_implILb0ES3_S5_NS0_18transform_iteratorINS0_17counting_iteratorImlEEZNS1_24adjacent_difference_implIS3_Lb1ELb0EPhSB_N6thrust23THRUST_200600_302600_NS4plusIhEEEE10hipError_tPvRmT2_T3_mT4_P12ihipStream_tbEUlmE_hEESB_NS0_8identityIvEEEESG_SJ_SK_mSL_SN_bEUlT_E_NS1_11comp_targetILNS1_3genE10ELNS1_11target_archE1201ELNS1_3gpuE5ELNS1_3repE0EEENS1_30default_config_static_selectorELNS0_4arch9wavefront6targetE1EEEvT1_ ; -- Begin function _ZN7rocprim17ROCPRIM_400000_NS6detail17trampoline_kernelINS0_14default_configENS1_25transform_config_selectorIhLb0EEEZNS1_14transform_implILb0ES3_S5_NS0_18transform_iteratorINS0_17counting_iteratorImlEEZNS1_24adjacent_difference_implIS3_Lb1ELb0EPhSB_N6thrust23THRUST_200600_302600_NS4plusIhEEEE10hipError_tPvRmT2_T3_mT4_P12ihipStream_tbEUlmE_hEESB_NS0_8identityIvEEEESG_SJ_SK_mSL_SN_bEUlT_E_NS1_11comp_targetILNS1_3genE10ELNS1_11target_archE1201ELNS1_3gpuE5ELNS1_3repE0EEENS1_30default_config_static_selectorELNS0_4arch9wavefront6targetE1EEEvT1_
	.globl	_ZN7rocprim17ROCPRIM_400000_NS6detail17trampoline_kernelINS0_14default_configENS1_25transform_config_selectorIhLb0EEEZNS1_14transform_implILb0ES3_S5_NS0_18transform_iteratorINS0_17counting_iteratorImlEEZNS1_24adjacent_difference_implIS3_Lb1ELb0EPhSB_N6thrust23THRUST_200600_302600_NS4plusIhEEEE10hipError_tPvRmT2_T3_mT4_P12ihipStream_tbEUlmE_hEESB_NS0_8identityIvEEEESG_SJ_SK_mSL_SN_bEUlT_E_NS1_11comp_targetILNS1_3genE10ELNS1_11target_archE1201ELNS1_3gpuE5ELNS1_3repE0EEENS1_30default_config_static_selectorELNS0_4arch9wavefront6targetE1EEEvT1_
	.p2align	8
	.type	_ZN7rocprim17ROCPRIM_400000_NS6detail17trampoline_kernelINS0_14default_configENS1_25transform_config_selectorIhLb0EEEZNS1_14transform_implILb0ES3_S5_NS0_18transform_iteratorINS0_17counting_iteratorImlEEZNS1_24adjacent_difference_implIS3_Lb1ELb0EPhSB_N6thrust23THRUST_200600_302600_NS4plusIhEEEE10hipError_tPvRmT2_T3_mT4_P12ihipStream_tbEUlmE_hEESB_NS0_8identityIvEEEESG_SJ_SK_mSL_SN_bEUlT_E_NS1_11comp_targetILNS1_3genE10ELNS1_11target_archE1201ELNS1_3gpuE5ELNS1_3repE0EEENS1_30default_config_static_selectorELNS0_4arch9wavefront6targetE1EEEvT1_,@function
_ZN7rocprim17ROCPRIM_400000_NS6detail17trampoline_kernelINS0_14default_configENS1_25transform_config_selectorIhLb0EEEZNS1_14transform_implILb0ES3_S5_NS0_18transform_iteratorINS0_17counting_iteratorImlEEZNS1_24adjacent_difference_implIS3_Lb1ELb0EPhSB_N6thrust23THRUST_200600_302600_NS4plusIhEEEE10hipError_tPvRmT2_T3_mT4_P12ihipStream_tbEUlmE_hEESB_NS0_8identityIvEEEESG_SJ_SK_mSL_SN_bEUlT_E_NS1_11comp_targetILNS1_3genE10ELNS1_11target_archE1201ELNS1_3gpuE5ELNS1_3repE0EEENS1_30default_config_static_selectorELNS0_4arch9wavefront6targetE1EEEvT1_: ; @_ZN7rocprim17ROCPRIM_400000_NS6detail17trampoline_kernelINS0_14default_configENS1_25transform_config_selectorIhLb0EEEZNS1_14transform_implILb0ES3_S5_NS0_18transform_iteratorINS0_17counting_iteratorImlEEZNS1_24adjacent_difference_implIS3_Lb1ELb0EPhSB_N6thrust23THRUST_200600_302600_NS4plusIhEEEE10hipError_tPvRmT2_T3_mT4_P12ihipStream_tbEUlmE_hEESB_NS0_8identityIvEEEESG_SJ_SK_mSL_SN_bEUlT_E_NS1_11comp_targetILNS1_3genE10ELNS1_11target_archE1201ELNS1_3gpuE5ELNS1_3repE0EEENS1_30default_config_static_selectorELNS0_4arch9wavefront6targetE1EEEvT1_
; %bb.0:
	.section	.rodata,"a",@progbits
	.p2align	6, 0x0
	.amdhsa_kernel _ZN7rocprim17ROCPRIM_400000_NS6detail17trampoline_kernelINS0_14default_configENS1_25transform_config_selectorIhLb0EEEZNS1_14transform_implILb0ES3_S5_NS0_18transform_iteratorINS0_17counting_iteratorImlEEZNS1_24adjacent_difference_implIS3_Lb1ELb0EPhSB_N6thrust23THRUST_200600_302600_NS4plusIhEEEE10hipError_tPvRmT2_T3_mT4_P12ihipStream_tbEUlmE_hEESB_NS0_8identityIvEEEESG_SJ_SK_mSL_SN_bEUlT_E_NS1_11comp_targetILNS1_3genE10ELNS1_11target_archE1201ELNS1_3gpuE5ELNS1_3repE0EEENS1_30default_config_static_selectorELNS0_4arch9wavefront6targetE1EEEvT1_
		.amdhsa_group_segment_fixed_size 0
		.amdhsa_private_segment_fixed_size 0
		.amdhsa_kernarg_size 56
		.amdhsa_user_sgpr_count 2
		.amdhsa_user_sgpr_dispatch_ptr 0
		.amdhsa_user_sgpr_queue_ptr 0
		.amdhsa_user_sgpr_kernarg_segment_ptr 1
		.amdhsa_user_sgpr_dispatch_id 0
		.amdhsa_user_sgpr_kernarg_preload_length 0
		.amdhsa_user_sgpr_kernarg_preload_offset 0
		.amdhsa_user_sgpr_private_segment_size 0
		.amdhsa_uses_dynamic_stack 0
		.amdhsa_enable_private_segment 0
		.amdhsa_system_sgpr_workgroup_id_x 1
		.amdhsa_system_sgpr_workgroup_id_y 0
		.amdhsa_system_sgpr_workgroup_id_z 0
		.amdhsa_system_sgpr_workgroup_info 0
		.amdhsa_system_vgpr_workitem_id 0
		.amdhsa_next_free_vgpr 1
		.amdhsa_next_free_sgpr 0
		.amdhsa_accum_offset 4
		.amdhsa_reserve_vcc 0
		.amdhsa_float_round_mode_32 0
		.amdhsa_float_round_mode_16_64 0
		.amdhsa_float_denorm_mode_32 3
		.amdhsa_float_denorm_mode_16_64 3
		.amdhsa_dx10_clamp 1
		.amdhsa_ieee_mode 1
		.amdhsa_fp16_overflow 0
		.amdhsa_tg_split 0
		.amdhsa_exception_fp_ieee_invalid_op 0
		.amdhsa_exception_fp_denorm_src 0
		.amdhsa_exception_fp_ieee_div_zero 0
		.amdhsa_exception_fp_ieee_overflow 0
		.amdhsa_exception_fp_ieee_underflow 0
		.amdhsa_exception_fp_ieee_inexact 0
		.amdhsa_exception_int_div_zero 0
	.end_amdhsa_kernel
	.section	.text._ZN7rocprim17ROCPRIM_400000_NS6detail17trampoline_kernelINS0_14default_configENS1_25transform_config_selectorIhLb0EEEZNS1_14transform_implILb0ES3_S5_NS0_18transform_iteratorINS0_17counting_iteratorImlEEZNS1_24adjacent_difference_implIS3_Lb1ELb0EPhSB_N6thrust23THRUST_200600_302600_NS4plusIhEEEE10hipError_tPvRmT2_T3_mT4_P12ihipStream_tbEUlmE_hEESB_NS0_8identityIvEEEESG_SJ_SK_mSL_SN_bEUlT_E_NS1_11comp_targetILNS1_3genE10ELNS1_11target_archE1201ELNS1_3gpuE5ELNS1_3repE0EEENS1_30default_config_static_selectorELNS0_4arch9wavefront6targetE1EEEvT1_,"axG",@progbits,_ZN7rocprim17ROCPRIM_400000_NS6detail17trampoline_kernelINS0_14default_configENS1_25transform_config_selectorIhLb0EEEZNS1_14transform_implILb0ES3_S5_NS0_18transform_iteratorINS0_17counting_iteratorImlEEZNS1_24adjacent_difference_implIS3_Lb1ELb0EPhSB_N6thrust23THRUST_200600_302600_NS4plusIhEEEE10hipError_tPvRmT2_T3_mT4_P12ihipStream_tbEUlmE_hEESB_NS0_8identityIvEEEESG_SJ_SK_mSL_SN_bEUlT_E_NS1_11comp_targetILNS1_3genE10ELNS1_11target_archE1201ELNS1_3gpuE5ELNS1_3repE0EEENS1_30default_config_static_selectorELNS0_4arch9wavefront6targetE1EEEvT1_,comdat
.Lfunc_end301:
	.size	_ZN7rocprim17ROCPRIM_400000_NS6detail17trampoline_kernelINS0_14default_configENS1_25transform_config_selectorIhLb0EEEZNS1_14transform_implILb0ES3_S5_NS0_18transform_iteratorINS0_17counting_iteratorImlEEZNS1_24adjacent_difference_implIS3_Lb1ELb0EPhSB_N6thrust23THRUST_200600_302600_NS4plusIhEEEE10hipError_tPvRmT2_T3_mT4_P12ihipStream_tbEUlmE_hEESB_NS0_8identityIvEEEESG_SJ_SK_mSL_SN_bEUlT_E_NS1_11comp_targetILNS1_3genE10ELNS1_11target_archE1201ELNS1_3gpuE5ELNS1_3repE0EEENS1_30default_config_static_selectorELNS0_4arch9wavefront6targetE1EEEvT1_, .Lfunc_end301-_ZN7rocprim17ROCPRIM_400000_NS6detail17trampoline_kernelINS0_14default_configENS1_25transform_config_selectorIhLb0EEEZNS1_14transform_implILb0ES3_S5_NS0_18transform_iteratorINS0_17counting_iteratorImlEEZNS1_24adjacent_difference_implIS3_Lb1ELb0EPhSB_N6thrust23THRUST_200600_302600_NS4plusIhEEEE10hipError_tPvRmT2_T3_mT4_P12ihipStream_tbEUlmE_hEESB_NS0_8identityIvEEEESG_SJ_SK_mSL_SN_bEUlT_E_NS1_11comp_targetILNS1_3genE10ELNS1_11target_archE1201ELNS1_3gpuE5ELNS1_3repE0EEENS1_30default_config_static_selectorELNS0_4arch9wavefront6targetE1EEEvT1_
                                        ; -- End function
	.section	.AMDGPU.csdata,"",@progbits
; Kernel info:
; codeLenInByte = 0
; NumSgprs: 6
; NumVgprs: 0
; NumAgprs: 0
; TotalNumVgprs: 0
; ScratchSize: 0
; MemoryBound: 0
; FloatMode: 240
; IeeeMode: 1
; LDSByteSize: 0 bytes/workgroup (compile time only)
; SGPRBlocks: 0
; VGPRBlocks: 0
; NumSGPRsForWavesPerEU: 6
; NumVGPRsForWavesPerEU: 1
; AccumOffset: 4
; Occupancy: 8
; WaveLimiterHint : 0
; COMPUTE_PGM_RSRC2:SCRATCH_EN: 0
; COMPUTE_PGM_RSRC2:USER_SGPR: 2
; COMPUTE_PGM_RSRC2:TRAP_HANDLER: 0
; COMPUTE_PGM_RSRC2:TGID_X_EN: 1
; COMPUTE_PGM_RSRC2:TGID_Y_EN: 0
; COMPUTE_PGM_RSRC2:TGID_Z_EN: 0
; COMPUTE_PGM_RSRC2:TIDIG_COMP_CNT: 0
; COMPUTE_PGM_RSRC3_GFX90A:ACCUM_OFFSET: 0
; COMPUTE_PGM_RSRC3_GFX90A:TG_SPLIT: 0
	.section	.text._ZN7rocprim17ROCPRIM_400000_NS6detail17trampoline_kernelINS0_14default_configENS1_25transform_config_selectorIhLb0EEEZNS1_14transform_implILb0ES3_S5_NS0_18transform_iteratorINS0_17counting_iteratorImlEEZNS1_24adjacent_difference_implIS3_Lb1ELb0EPhSB_N6thrust23THRUST_200600_302600_NS4plusIhEEEE10hipError_tPvRmT2_T3_mT4_P12ihipStream_tbEUlmE_hEESB_NS0_8identityIvEEEESG_SJ_SK_mSL_SN_bEUlT_E_NS1_11comp_targetILNS1_3genE10ELNS1_11target_archE1200ELNS1_3gpuE4ELNS1_3repE0EEENS1_30default_config_static_selectorELNS0_4arch9wavefront6targetE1EEEvT1_,"axG",@progbits,_ZN7rocprim17ROCPRIM_400000_NS6detail17trampoline_kernelINS0_14default_configENS1_25transform_config_selectorIhLb0EEEZNS1_14transform_implILb0ES3_S5_NS0_18transform_iteratorINS0_17counting_iteratorImlEEZNS1_24adjacent_difference_implIS3_Lb1ELb0EPhSB_N6thrust23THRUST_200600_302600_NS4plusIhEEEE10hipError_tPvRmT2_T3_mT4_P12ihipStream_tbEUlmE_hEESB_NS0_8identityIvEEEESG_SJ_SK_mSL_SN_bEUlT_E_NS1_11comp_targetILNS1_3genE10ELNS1_11target_archE1200ELNS1_3gpuE4ELNS1_3repE0EEENS1_30default_config_static_selectorELNS0_4arch9wavefront6targetE1EEEvT1_,comdat
	.protected	_ZN7rocprim17ROCPRIM_400000_NS6detail17trampoline_kernelINS0_14default_configENS1_25transform_config_selectorIhLb0EEEZNS1_14transform_implILb0ES3_S5_NS0_18transform_iteratorINS0_17counting_iteratorImlEEZNS1_24adjacent_difference_implIS3_Lb1ELb0EPhSB_N6thrust23THRUST_200600_302600_NS4plusIhEEEE10hipError_tPvRmT2_T3_mT4_P12ihipStream_tbEUlmE_hEESB_NS0_8identityIvEEEESG_SJ_SK_mSL_SN_bEUlT_E_NS1_11comp_targetILNS1_3genE10ELNS1_11target_archE1200ELNS1_3gpuE4ELNS1_3repE0EEENS1_30default_config_static_selectorELNS0_4arch9wavefront6targetE1EEEvT1_ ; -- Begin function _ZN7rocprim17ROCPRIM_400000_NS6detail17trampoline_kernelINS0_14default_configENS1_25transform_config_selectorIhLb0EEEZNS1_14transform_implILb0ES3_S5_NS0_18transform_iteratorINS0_17counting_iteratorImlEEZNS1_24adjacent_difference_implIS3_Lb1ELb0EPhSB_N6thrust23THRUST_200600_302600_NS4plusIhEEEE10hipError_tPvRmT2_T3_mT4_P12ihipStream_tbEUlmE_hEESB_NS0_8identityIvEEEESG_SJ_SK_mSL_SN_bEUlT_E_NS1_11comp_targetILNS1_3genE10ELNS1_11target_archE1200ELNS1_3gpuE4ELNS1_3repE0EEENS1_30default_config_static_selectorELNS0_4arch9wavefront6targetE1EEEvT1_
	.globl	_ZN7rocprim17ROCPRIM_400000_NS6detail17trampoline_kernelINS0_14default_configENS1_25transform_config_selectorIhLb0EEEZNS1_14transform_implILb0ES3_S5_NS0_18transform_iteratorINS0_17counting_iteratorImlEEZNS1_24adjacent_difference_implIS3_Lb1ELb0EPhSB_N6thrust23THRUST_200600_302600_NS4plusIhEEEE10hipError_tPvRmT2_T3_mT4_P12ihipStream_tbEUlmE_hEESB_NS0_8identityIvEEEESG_SJ_SK_mSL_SN_bEUlT_E_NS1_11comp_targetILNS1_3genE10ELNS1_11target_archE1200ELNS1_3gpuE4ELNS1_3repE0EEENS1_30default_config_static_selectorELNS0_4arch9wavefront6targetE1EEEvT1_
	.p2align	8
	.type	_ZN7rocprim17ROCPRIM_400000_NS6detail17trampoline_kernelINS0_14default_configENS1_25transform_config_selectorIhLb0EEEZNS1_14transform_implILb0ES3_S5_NS0_18transform_iteratorINS0_17counting_iteratorImlEEZNS1_24adjacent_difference_implIS3_Lb1ELb0EPhSB_N6thrust23THRUST_200600_302600_NS4plusIhEEEE10hipError_tPvRmT2_T3_mT4_P12ihipStream_tbEUlmE_hEESB_NS0_8identityIvEEEESG_SJ_SK_mSL_SN_bEUlT_E_NS1_11comp_targetILNS1_3genE10ELNS1_11target_archE1200ELNS1_3gpuE4ELNS1_3repE0EEENS1_30default_config_static_selectorELNS0_4arch9wavefront6targetE1EEEvT1_,@function
_ZN7rocprim17ROCPRIM_400000_NS6detail17trampoline_kernelINS0_14default_configENS1_25transform_config_selectorIhLb0EEEZNS1_14transform_implILb0ES3_S5_NS0_18transform_iteratorINS0_17counting_iteratorImlEEZNS1_24adjacent_difference_implIS3_Lb1ELb0EPhSB_N6thrust23THRUST_200600_302600_NS4plusIhEEEE10hipError_tPvRmT2_T3_mT4_P12ihipStream_tbEUlmE_hEESB_NS0_8identityIvEEEESG_SJ_SK_mSL_SN_bEUlT_E_NS1_11comp_targetILNS1_3genE10ELNS1_11target_archE1200ELNS1_3gpuE4ELNS1_3repE0EEENS1_30default_config_static_selectorELNS0_4arch9wavefront6targetE1EEEvT1_: ; @_ZN7rocprim17ROCPRIM_400000_NS6detail17trampoline_kernelINS0_14default_configENS1_25transform_config_selectorIhLb0EEEZNS1_14transform_implILb0ES3_S5_NS0_18transform_iteratorINS0_17counting_iteratorImlEEZNS1_24adjacent_difference_implIS3_Lb1ELb0EPhSB_N6thrust23THRUST_200600_302600_NS4plusIhEEEE10hipError_tPvRmT2_T3_mT4_P12ihipStream_tbEUlmE_hEESB_NS0_8identityIvEEEESG_SJ_SK_mSL_SN_bEUlT_E_NS1_11comp_targetILNS1_3genE10ELNS1_11target_archE1200ELNS1_3gpuE4ELNS1_3repE0EEENS1_30default_config_static_selectorELNS0_4arch9wavefront6targetE1EEEvT1_
; %bb.0:
	.section	.rodata,"a",@progbits
	.p2align	6, 0x0
	.amdhsa_kernel _ZN7rocprim17ROCPRIM_400000_NS6detail17trampoline_kernelINS0_14default_configENS1_25transform_config_selectorIhLb0EEEZNS1_14transform_implILb0ES3_S5_NS0_18transform_iteratorINS0_17counting_iteratorImlEEZNS1_24adjacent_difference_implIS3_Lb1ELb0EPhSB_N6thrust23THRUST_200600_302600_NS4plusIhEEEE10hipError_tPvRmT2_T3_mT4_P12ihipStream_tbEUlmE_hEESB_NS0_8identityIvEEEESG_SJ_SK_mSL_SN_bEUlT_E_NS1_11comp_targetILNS1_3genE10ELNS1_11target_archE1200ELNS1_3gpuE4ELNS1_3repE0EEENS1_30default_config_static_selectorELNS0_4arch9wavefront6targetE1EEEvT1_
		.amdhsa_group_segment_fixed_size 0
		.amdhsa_private_segment_fixed_size 0
		.amdhsa_kernarg_size 56
		.amdhsa_user_sgpr_count 2
		.amdhsa_user_sgpr_dispatch_ptr 0
		.amdhsa_user_sgpr_queue_ptr 0
		.amdhsa_user_sgpr_kernarg_segment_ptr 1
		.amdhsa_user_sgpr_dispatch_id 0
		.amdhsa_user_sgpr_kernarg_preload_length 0
		.amdhsa_user_sgpr_kernarg_preload_offset 0
		.amdhsa_user_sgpr_private_segment_size 0
		.amdhsa_uses_dynamic_stack 0
		.amdhsa_enable_private_segment 0
		.amdhsa_system_sgpr_workgroup_id_x 1
		.amdhsa_system_sgpr_workgroup_id_y 0
		.amdhsa_system_sgpr_workgroup_id_z 0
		.amdhsa_system_sgpr_workgroup_info 0
		.amdhsa_system_vgpr_workitem_id 0
		.amdhsa_next_free_vgpr 1
		.amdhsa_next_free_sgpr 0
		.amdhsa_accum_offset 4
		.amdhsa_reserve_vcc 0
		.amdhsa_float_round_mode_32 0
		.amdhsa_float_round_mode_16_64 0
		.amdhsa_float_denorm_mode_32 3
		.amdhsa_float_denorm_mode_16_64 3
		.amdhsa_dx10_clamp 1
		.amdhsa_ieee_mode 1
		.amdhsa_fp16_overflow 0
		.amdhsa_tg_split 0
		.amdhsa_exception_fp_ieee_invalid_op 0
		.amdhsa_exception_fp_denorm_src 0
		.amdhsa_exception_fp_ieee_div_zero 0
		.amdhsa_exception_fp_ieee_overflow 0
		.amdhsa_exception_fp_ieee_underflow 0
		.amdhsa_exception_fp_ieee_inexact 0
		.amdhsa_exception_int_div_zero 0
	.end_amdhsa_kernel
	.section	.text._ZN7rocprim17ROCPRIM_400000_NS6detail17trampoline_kernelINS0_14default_configENS1_25transform_config_selectorIhLb0EEEZNS1_14transform_implILb0ES3_S5_NS0_18transform_iteratorINS0_17counting_iteratorImlEEZNS1_24adjacent_difference_implIS3_Lb1ELb0EPhSB_N6thrust23THRUST_200600_302600_NS4plusIhEEEE10hipError_tPvRmT2_T3_mT4_P12ihipStream_tbEUlmE_hEESB_NS0_8identityIvEEEESG_SJ_SK_mSL_SN_bEUlT_E_NS1_11comp_targetILNS1_3genE10ELNS1_11target_archE1200ELNS1_3gpuE4ELNS1_3repE0EEENS1_30default_config_static_selectorELNS0_4arch9wavefront6targetE1EEEvT1_,"axG",@progbits,_ZN7rocprim17ROCPRIM_400000_NS6detail17trampoline_kernelINS0_14default_configENS1_25transform_config_selectorIhLb0EEEZNS1_14transform_implILb0ES3_S5_NS0_18transform_iteratorINS0_17counting_iteratorImlEEZNS1_24adjacent_difference_implIS3_Lb1ELb0EPhSB_N6thrust23THRUST_200600_302600_NS4plusIhEEEE10hipError_tPvRmT2_T3_mT4_P12ihipStream_tbEUlmE_hEESB_NS0_8identityIvEEEESG_SJ_SK_mSL_SN_bEUlT_E_NS1_11comp_targetILNS1_3genE10ELNS1_11target_archE1200ELNS1_3gpuE4ELNS1_3repE0EEENS1_30default_config_static_selectorELNS0_4arch9wavefront6targetE1EEEvT1_,comdat
.Lfunc_end302:
	.size	_ZN7rocprim17ROCPRIM_400000_NS6detail17trampoline_kernelINS0_14default_configENS1_25transform_config_selectorIhLb0EEEZNS1_14transform_implILb0ES3_S5_NS0_18transform_iteratorINS0_17counting_iteratorImlEEZNS1_24adjacent_difference_implIS3_Lb1ELb0EPhSB_N6thrust23THRUST_200600_302600_NS4plusIhEEEE10hipError_tPvRmT2_T3_mT4_P12ihipStream_tbEUlmE_hEESB_NS0_8identityIvEEEESG_SJ_SK_mSL_SN_bEUlT_E_NS1_11comp_targetILNS1_3genE10ELNS1_11target_archE1200ELNS1_3gpuE4ELNS1_3repE0EEENS1_30default_config_static_selectorELNS0_4arch9wavefront6targetE1EEEvT1_, .Lfunc_end302-_ZN7rocprim17ROCPRIM_400000_NS6detail17trampoline_kernelINS0_14default_configENS1_25transform_config_selectorIhLb0EEEZNS1_14transform_implILb0ES3_S5_NS0_18transform_iteratorINS0_17counting_iteratorImlEEZNS1_24adjacent_difference_implIS3_Lb1ELb0EPhSB_N6thrust23THRUST_200600_302600_NS4plusIhEEEE10hipError_tPvRmT2_T3_mT4_P12ihipStream_tbEUlmE_hEESB_NS0_8identityIvEEEESG_SJ_SK_mSL_SN_bEUlT_E_NS1_11comp_targetILNS1_3genE10ELNS1_11target_archE1200ELNS1_3gpuE4ELNS1_3repE0EEENS1_30default_config_static_selectorELNS0_4arch9wavefront6targetE1EEEvT1_
                                        ; -- End function
	.section	.AMDGPU.csdata,"",@progbits
; Kernel info:
; codeLenInByte = 0
; NumSgprs: 6
; NumVgprs: 0
; NumAgprs: 0
; TotalNumVgprs: 0
; ScratchSize: 0
; MemoryBound: 0
; FloatMode: 240
; IeeeMode: 1
; LDSByteSize: 0 bytes/workgroup (compile time only)
; SGPRBlocks: 0
; VGPRBlocks: 0
; NumSGPRsForWavesPerEU: 6
; NumVGPRsForWavesPerEU: 1
; AccumOffset: 4
; Occupancy: 8
; WaveLimiterHint : 0
; COMPUTE_PGM_RSRC2:SCRATCH_EN: 0
; COMPUTE_PGM_RSRC2:USER_SGPR: 2
; COMPUTE_PGM_RSRC2:TRAP_HANDLER: 0
; COMPUTE_PGM_RSRC2:TGID_X_EN: 1
; COMPUTE_PGM_RSRC2:TGID_Y_EN: 0
; COMPUTE_PGM_RSRC2:TGID_Z_EN: 0
; COMPUTE_PGM_RSRC2:TIDIG_COMP_CNT: 0
; COMPUTE_PGM_RSRC3_GFX90A:ACCUM_OFFSET: 0
; COMPUTE_PGM_RSRC3_GFX90A:TG_SPLIT: 0
	.section	.text._ZN7rocprim17ROCPRIM_400000_NS6detail17trampoline_kernelINS0_14default_configENS1_25transform_config_selectorIhLb0EEEZNS1_14transform_implILb0ES3_S5_NS0_18transform_iteratorINS0_17counting_iteratorImlEEZNS1_24adjacent_difference_implIS3_Lb1ELb0EPhSB_N6thrust23THRUST_200600_302600_NS4plusIhEEEE10hipError_tPvRmT2_T3_mT4_P12ihipStream_tbEUlmE_hEESB_NS0_8identityIvEEEESG_SJ_SK_mSL_SN_bEUlT_E_NS1_11comp_targetILNS1_3genE9ELNS1_11target_archE1100ELNS1_3gpuE3ELNS1_3repE0EEENS1_30default_config_static_selectorELNS0_4arch9wavefront6targetE1EEEvT1_,"axG",@progbits,_ZN7rocprim17ROCPRIM_400000_NS6detail17trampoline_kernelINS0_14default_configENS1_25transform_config_selectorIhLb0EEEZNS1_14transform_implILb0ES3_S5_NS0_18transform_iteratorINS0_17counting_iteratorImlEEZNS1_24adjacent_difference_implIS3_Lb1ELb0EPhSB_N6thrust23THRUST_200600_302600_NS4plusIhEEEE10hipError_tPvRmT2_T3_mT4_P12ihipStream_tbEUlmE_hEESB_NS0_8identityIvEEEESG_SJ_SK_mSL_SN_bEUlT_E_NS1_11comp_targetILNS1_3genE9ELNS1_11target_archE1100ELNS1_3gpuE3ELNS1_3repE0EEENS1_30default_config_static_selectorELNS0_4arch9wavefront6targetE1EEEvT1_,comdat
	.protected	_ZN7rocprim17ROCPRIM_400000_NS6detail17trampoline_kernelINS0_14default_configENS1_25transform_config_selectorIhLb0EEEZNS1_14transform_implILb0ES3_S5_NS0_18transform_iteratorINS0_17counting_iteratorImlEEZNS1_24adjacent_difference_implIS3_Lb1ELb0EPhSB_N6thrust23THRUST_200600_302600_NS4plusIhEEEE10hipError_tPvRmT2_T3_mT4_P12ihipStream_tbEUlmE_hEESB_NS0_8identityIvEEEESG_SJ_SK_mSL_SN_bEUlT_E_NS1_11comp_targetILNS1_3genE9ELNS1_11target_archE1100ELNS1_3gpuE3ELNS1_3repE0EEENS1_30default_config_static_selectorELNS0_4arch9wavefront6targetE1EEEvT1_ ; -- Begin function _ZN7rocprim17ROCPRIM_400000_NS6detail17trampoline_kernelINS0_14default_configENS1_25transform_config_selectorIhLb0EEEZNS1_14transform_implILb0ES3_S5_NS0_18transform_iteratorINS0_17counting_iteratorImlEEZNS1_24adjacent_difference_implIS3_Lb1ELb0EPhSB_N6thrust23THRUST_200600_302600_NS4plusIhEEEE10hipError_tPvRmT2_T3_mT4_P12ihipStream_tbEUlmE_hEESB_NS0_8identityIvEEEESG_SJ_SK_mSL_SN_bEUlT_E_NS1_11comp_targetILNS1_3genE9ELNS1_11target_archE1100ELNS1_3gpuE3ELNS1_3repE0EEENS1_30default_config_static_selectorELNS0_4arch9wavefront6targetE1EEEvT1_
	.globl	_ZN7rocprim17ROCPRIM_400000_NS6detail17trampoline_kernelINS0_14default_configENS1_25transform_config_selectorIhLb0EEEZNS1_14transform_implILb0ES3_S5_NS0_18transform_iteratorINS0_17counting_iteratorImlEEZNS1_24adjacent_difference_implIS3_Lb1ELb0EPhSB_N6thrust23THRUST_200600_302600_NS4plusIhEEEE10hipError_tPvRmT2_T3_mT4_P12ihipStream_tbEUlmE_hEESB_NS0_8identityIvEEEESG_SJ_SK_mSL_SN_bEUlT_E_NS1_11comp_targetILNS1_3genE9ELNS1_11target_archE1100ELNS1_3gpuE3ELNS1_3repE0EEENS1_30default_config_static_selectorELNS0_4arch9wavefront6targetE1EEEvT1_
	.p2align	8
	.type	_ZN7rocprim17ROCPRIM_400000_NS6detail17trampoline_kernelINS0_14default_configENS1_25transform_config_selectorIhLb0EEEZNS1_14transform_implILb0ES3_S5_NS0_18transform_iteratorINS0_17counting_iteratorImlEEZNS1_24adjacent_difference_implIS3_Lb1ELb0EPhSB_N6thrust23THRUST_200600_302600_NS4plusIhEEEE10hipError_tPvRmT2_T3_mT4_P12ihipStream_tbEUlmE_hEESB_NS0_8identityIvEEEESG_SJ_SK_mSL_SN_bEUlT_E_NS1_11comp_targetILNS1_3genE9ELNS1_11target_archE1100ELNS1_3gpuE3ELNS1_3repE0EEENS1_30default_config_static_selectorELNS0_4arch9wavefront6targetE1EEEvT1_,@function
_ZN7rocprim17ROCPRIM_400000_NS6detail17trampoline_kernelINS0_14default_configENS1_25transform_config_selectorIhLb0EEEZNS1_14transform_implILb0ES3_S5_NS0_18transform_iteratorINS0_17counting_iteratorImlEEZNS1_24adjacent_difference_implIS3_Lb1ELb0EPhSB_N6thrust23THRUST_200600_302600_NS4plusIhEEEE10hipError_tPvRmT2_T3_mT4_P12ihipStream_tbEUlmE_hEESB_NS0_8identityIvEEEESG_SJ_SK_mSL_SN_bEUlT_E_NS1_11comp_targetILNS1_3genE9ELNS1_11target_archE1100ELNS1_3gpuE3ELNS1_3repE0EEENS1_30default_config_static_selectorELNS0_4arch9wavefront6targetE1EEEvT1_: ; @_ZN7rocprim17ROCPRIM_400000_NS6detail17trampoline_kernelINS0_14default_configENS1_25transform_config_selectorIhLb0EEEZNS1_14transform_implILb0ES3_S5_NS0_18transform_iteratorINS0_17counting_iteratorImlEEZNS1_24adjacent_difference_implIS3_Lb1ELb0EPhSB_N6thrust23THRUST_200600_302600_NS4plusIhEEEE10hipError_tPvRmT2_T3_mT4_P12ihipStream_tbEUlmE_hEESB_NS0_8identityIvEEEESG_SJ_SK_mSL_SN_bEUlT_E_NS1_11comp_targetILNS1_3genE9ELNS1_11target_archE1100ELNS1_3gpuE3ELNS1_3repE0EEENS1_30default_config_static_selectorELNS0_4arch9wavefront6targetE1EEEvT1_
; %bb.0:
	.section	.rodata,"a",@progbits
	.p2align	6, 0x0
	.amdhsa_kernel _ZN7rocprim17ROCPRIM_400000_NS6detail17trampoline_kernelINS0_14default_configENS1_25transform_config_selectorIhLb0EEEZNS1_14transform_implILb0ES3_S5_NS0_18transform_iteratorINS0_17counting_iteratorImlEEZNS1_24adjacent_difference_implIS3_Lb1ELb0EPhSB_N6thrust23THRUST_200600_302600_NS4plusIhEEEE10hipError_tPvRmT2_T3_mT4_P12ihipStream_tbEUlmE_hEESB_NS0_8identityIvEEEESG_SJ_SK_mSL_SN_bEUlT_E_NS1_11comp_targetILNS1_3genE9ELNS1_11target_archE1100ELNS1_3gpuE3ELNS1_3repE0EEENS1_30default_config_static_selectorELNS0_4arch9wavefront6targetE1EEEvT1_
		.amdhsa_group_segment_fixed_size 0
		.amdhsa_private_segment_fixed_size 0
		.amdhsa_kernarg_size 56
		.amdhsa_user_sgpr_count 2
		.amdhsa_user_sgpr_dispatch_ptr 0
		.amdhsa_user_sgpr_queue_ptr 0
		.amdhsa_user_sgpr_kernarg_segment_ptr 1
		.amdhsa_user_sgpr_dispatch_id 0
		.amdhsa_user_sgpr_kernarg_preload_length 0
		.amdhsa_user_sgpr_kernarg_preload_offset 0
		.amdhsa_user_sgpr_private_segment_size 0
		.amdhsa_uses_dynamic_stack 0
		.amdhsa_enable_private_segment 0
		.amdhsa_system_sgpr_workgroup_id_x 1
		.amdhsa_system_sgpr_workgroup_id_y 0
		.amdhsa_system_sgpr_workgroup_id_z 0
		.amdhsa_system_sgpr_workgroup_info 0
		.amdhsa_system_vgpr_workitem_id 0
		.amdhsa_next_free_vgpr 1
		.amdhsa_next_free_sgpr 0
		.amdhsa_accum_offset 4
		.amdhsa_reserve_vcc 0
		.amdhsa_float_round_mode_32 0
		.amdhsa_float_round_mode_16_64 0
		.amdhsa_float_denorm_mode_32 3
		.amdhsa_float_denorm_mode_16_64 3
		.amdhsa_dx10_clamp 1
		.amdhsa_ieee_mode 1
		.amdhsa_fp16_overflow 0
		.amdhsa_tg_split 0
		.amdhsa_exception_fp_ieee_invalid_op 0
		.amdhsa_exception_fp_denorm_src 0
		.amdhsa_exception_fp_ieee_div_zero 0
		.amdhsa_exception_fp_ieee_overflow 0
		.amdhsa_exception_fp_ieee_underflow 0
		.amdhsa_exception_fp_ieee_inexact 0
		.amdhsa_exception_int_div_zero 0
	.end_amdhsa_kernel
	.section	.text._ZN7rocprim17ROCPRIM_400000_NS6detail17trampoline_kernelINS0_14default_configENS1_25transform_config_selectorIhLb0EEEZNS1_14transform_implILb0ES3_S5_NS0_18transform_iteratorINS0_17counting_iteratorImlEEZNS1_24adjacent_difference_implIS3_Lb1ELb0EPhSB_N6thrust23THRUST_200600_302600_NS4plusIhEEEE10hipError_tPvRmT2_T3_mT4_P12ihipStream_tbEUlmE_hEESB_NS0_8identityIvEEEESG_SJ_SK_mSL_SN_bEUlT_E_NS1_11comp_targetILNS1_3genE9ELNS1_11target_archE1100ELNS1_3gpuE3ELNS1_3repE0EEENS1_30default_config_static_selectorELNS0_4arch9wavefront6targetE1EEEvT1_,"axG",@progbits,_ZN7rocprim17ROCPRIM_400000_NS6detail17trampoline_kernelINS0_14default_configENS1_25transform_config_selectorIhLb0EEEZNS1_14transform_implILb0ES3_S5_NS0_18transform_iteratorINS0_17counting_iteratorImlEEZNS1_24adjacent_difference_implIS3_Lb1ELb0EPhSB_N6thrust23THRUST_200600_302600_NS4plusIhEEEE10hipError_tPvRmT2_T3_mT4_P12ihipStream_tbEUlmE_hEESB_NS0_8identityIvEEEESG_SJ_SK_mSL_SN_bEUlT_E_NS1_11comp_targetILNS1_3genE9ELNS1_11target_archE1100ELNS1_3gpuE3ELNS1_3repE0EEENS1_30default_config_static_selectorELNS0_4arch9wavefront6targetE1EEEvT1_,comdat
.Lfunc_end303:
	.size	_ZN7rocprim17ROCPRIM_400000_NS6detail17trampoline_kernelINS0_14default_configENS1_25transform_config_selectorIhLb0EEEZNS1_14transform_implILb0ES3_S5_NS0_18transform_iteratorINS0_17counting_iteratorImlEEZNS1_24adjacent_difference_implIS3_Lb1ELb0EPhSB_N6thrust23THRUST_200600_302600_NS4plusIhEEEE10hipError_tPvRmT2_T3_mT4_P12ihipStream_tbEUlmE_hEESB_NS0_8identityIvEEEESG_SJ_SK_mSL_SN_bEUlT_E_NS1_11comp_targetILNS1_3genE9ELNS1_11target_archE1100ELNS1_3gpuE3ELNS1_3repE0EEENS1_30default_config_static_selectorELNS0_4arch9wavefront6targetE1EEEvT1_, .Lfunc_end303-_ZN7rocprim17ROCPRIM_400000_NS6detail17trampoline_kernelINS0_14default_configENS1_25transform_config_selectorIhLb0EEEZNS1_14transform_implILb0ES3_S5_NS0_18transform_iteratorINS0_17counting_iteratorImlEEZNS1_24adjacent_difference_implIS3_Lb1ELb0EPhSB_N6thrust23THRUST_200600_302600_NS4plusIhEEEE10hipError_tPvRmT2_T3_mT4_P12ihipStream_tbEUlmE_hEESB_NS0_8identityIvEEEESG_SJ_SK_mSL_SN_bEUlT_E_NS1_11comp_targetILNS1_3genE9ELNS1_11target_archE1100ELNS1_3gpuE3ELNS1_3repE0EEENS1_30default_config_static_selectorELNS0_4arch9wavefront6targetE1EEEvT1_
                                        ; -- End function
	.section	.AMDGPU.csdata,"",@progbits
; Kernel info:
; codeLenInByte = 0
; NumSgprs: 6
; NumVgprs: 0
; NumAgprs: 0
; TotalNumVgprs: 0
; ScratchSize: 0
; MemoryBound: 0
; FloatMode: 240
; IeeeMode: 1
; LDSByteSize: 0 bytes/workgroup (compile time only)
; SGPRBlocks: 0
; VGPRBlocks: 0
; NumSGPRsForWavesPerEU: 6
; NumVGPRsForWavesPerEU: 1
; AccumOffset: 4
; Occupancy: 8
; WaveLimiterHint : 0
; COMPUTE_PGM_RSRC2:SCRATCH_EN: 0
; COMPUTE_PGM_RSRC2:USER_SGPR: 2
; COMPUTE_PGM_RSRC2:TRAP_HANDLER: 0
; COMPUTE_PGM_RSRC2:TGID_X_EN: 1
; COMPUTE_PGM_RSRC2:TGID_Y_EN: 0
; COMPUTE_PGM_RSRC2:TGID_Z_EN: 0
; COMPUTE_PGM_RSRC2:TIDIG_COMP_CNT: 0
; COMPUTE_PGM_RSRC3_GFX90A:ACCUM_OFFSET: 0
; COMPUTE_PGM_RSRC3_GFX90A:TG_SPLIT: 0
	.section	.text._ZN7rocprim17ROCPRIM_400000_NS6detail17trampoline_kernelINS0_14default_configENS1_25transform_config_selectorIhLb0EEEZNS1_14transform_implILb0ES3_S5_NS0_18transform_iteratorINS0_17counting_iteratorImlEEZNS1_24adjacent_difference_implIS3_Lb1ELb0EPhSB_N6thrust23THRUST_200600_302600_NS4plusIhEEEE10hipError_tPvRmT2_T3_mT4_P12ihipStream_tbEUlmE_hEESB_NS0_8identityIvEEEESG_SJ_SK_mSL_SN_bEUlT_E_NS1_11comp_targetILNS1_3genE8ELNS1_11target_archE1030ELNS1_3gpuE2ELNS1_3repE0EEENS1_30default_config_static_selectorELNS0_4arch9wavefront6targetE1EEEvT1_,"axG",@progbits,_ZN7rocprim17ROCPRIM_400000_NS6detail17trampoline_kernelINS0_14default_configENS1_25transform_config_selectorIhLb0EEEZNS1_14transform_implILb0ES3_S5_NS0_18transform_iteratorINS0_17counting_iteratorImlEEZNS1_24adjacent_difference_implIS3_Lb1ELb0EPhSB_N6thrust23THRUST_200600_302600_NS4plusIhEEEE10hipError_tPvRmT2_T3_mT4_P12ihipStream_tbEUlmE_hEESB_NS0_8identityIvEEEESG_SJ_SK_mSL_SN_bEUlT_E_NS1_11comp_targetILNS1_3genE8ELNS1_11target_archE1030ELNS1_3gpuE2ELNS1_3repE0EEENS1_30default_config_static_selectorELNS0_4arch9wavefront6targetE1EEEvT1_,comdat
	.protected	_ZN7rocprim17ROCPRIM_400000_NS6detail17trampoline_kernelINS0_14default_configENS1_25transform_config_selectorIhLb0EEEZNS1_14transform_implILb0ES3_S5_NS0_18transform_iteratorINS0_17counting_iteratorImlEEZNS1_24adjacent_difference_implIS3_Lb1ELb0EPhSB_N6thrust23THRUST_200600_302600_NS4plusIhEEEE10hipError_tPvRmT2_T3_mT4_P12ihipStream_tbEUlmE_hEESB_NS0_8identityIvEEEESG_SJ_SK_mSL_SN_bEUlT_E_NS1_11comp_targetILNS1_3genE8ELNS1_11target_archE1030ELNS1_3gpuE2ELNS1_3repE0EEENS1_30default_config_static_selectorELNS0_4arch9wavefront6targetE1EEEvT1_ ; -- Begin function _ZN7rocprim17ROCPRIM_400000_NS6detail17trampoline_kernelINS0_14default_configENS1_25transform_config_selectorIhLb0EEEZNS1_14transform_implILb0ES3_S5_NS0_18transform_iteratorINS0_17counting_iteratorImlEEZNS1_24adjacent_difference_implIS3_Lb1ELb0EPhSB_N6thrust23THRUST_200600_302600_NS4plusIhEEEE10hipError_tPvRmT2_T3_mT4_P12ihipStream_tbEUlmE_hEESB_NS0_8identityIvEEEESG_SJ_SK_mSL_SN_bEUlT_E_NS1_11comp_targetILNS1_3genE8ELNS1_11target_archE1030ELNS1_3gpuE2ELNS1_3repE0EEENS1_30default_config_static_selectorELNS0_4arch9wavefront6targetE1EEEvT1_
	.globl	_ZN7rocprim17ROCPRIM_400000_NS6detail17trampoline_kernelINS0_14default_configENS1_25transform_config_selectorIhLb0EEEZNS1_14transform_implILb0ES3_S5_NS0_18transform_iteratorINS0_17counting_iteratorImlEEZNS1_24adjacent_difference_implIS3_Lb1ELb0EPhSB_N6thrust23THRUST_200600_302600_NS4plusIhEEEE10hipError_tPvRmT2_T3_mT4_P12ihipStream_tbEUlmE_hEESB_NS0_8identityIvEEEESG_SJ_SK_mSL_SN_bEUlT_E_NS1_11comp_targetILNS1_3genE8ELNS1_11target_archE1030ELNS1_3gpuE2ELNS1_3repE0EEENS1_30default_config_static_selectorELNS0_4arch9wavefront6targetE1EEEvT1_
	.p2align	8
	.type	_ZN7rocprim17ROCPRIM_400000_NS6detail17trampoline_kernelINS0_14default_configENS1_25transform_config_selectorIhLb0EEEZNS1_14transform_implILb0ES3_S5_NS0_18transform_iteratorINS0_17counting_iteratorImlEEZNS1_24adjacent_difference_implIS3_Lb1ELb0EPhSB_N6thrust23THRUST_200600_302600_NS4plusIhEEEE10hipError_tPvRmT2_T3_mT4_P12ihipStream_tbEUlmE_hEESB_NS0_8identityIvEEEESG_SJ_SK_mSL_SN_bEUlT_E_NS1_11comp_targetILNS1_3genE8ELNS1_11target_archE1030ELNS1_3gpuE2ELNS1_3repE0EEENS1_30default_config_static_selectorELNS0_4arch9wavefront6targetE1EEEvT1_,@function
_ZN7rocprim17ROCPRIM_400000_NS6detail17trampoline_kernelINS0_14default_configENS1_25transform_config_selectorIhLb0EEEZNS1_14transform_implILb0ES3_S5_NS0_18transform_iteratorINS0_17counting_iteratorImlEEZNS1_24adjacent_difference_implIS3_Lb1ELb0EPhSB_N6thrust23THRUST_200600_302600_NS4plusIhEEEE10hipError_tPvRmT2_T3_mT4_P12ihipStream_tbEUlmE_hEESB_NS0_8identityIvEEEESG_SJ_SK_mSL_SN_bEUlT_E_NS1_11comp_targetILNS1_3genE8ELNS1_11target_archE1030ELNS1_3gpuE2ELNS1_3repE0EEENS1_30default_config_static_selectorELNS0_4arch9wavefront6targetE1EEEvT1_: ; @_ZN7rocprim17ROCPRIM_400000_NS6detail17trampoline_kernelINS0_14default_configENS1_25transform_config_selectorIhLb0EEEZNS1_14transform_implILb0ES3_S5_NS0_18transform_iteratorINS0_17counting_iteratorImlEEZNS1_24adjacent_difference_implIS3_Lb1ELb0EPhSB_N6thrust23THRUST_200600_302600_NS4plusIhEEEE10hipError_tPvRmT2_T3_mT4_P12ihipStream_tbEUlmE_hEESB_NS0_8identityIvEEEESG_SJ_SK_mSL_SN_bEUlT_E_NS1_11comp_targetILNS1_3genE8ELNS1_11target_archE1030ELNS1_3gpuE2ELNS1_3repE0EEENS1_30default_config_static_selectorELNS0_4arch9wavefront6targetE1EEEvT1_
; %bb.0:
	.section	.rodata,"a",@progbits
	.p2align	6, 0x0
	.amdhsa_kernel _ZN7rocprim17ROCPRIM_400000_NS6detail17trampoline_kernelINS0_14default_configENS1_25transform_config_selectorIhLb0EEEZNS1_14transform_implILb0ES3_S5_NS0_18transform_iteratorINS0_17counting_iteratorImlEEZNS1_24adjacent_difference_implIS3_Lb1ELb0EPhSB_N6thrust23THRUST_200600_302600_NS4plusIhEEEE10hipError_tPvRmT2_T3_mT4_P12ihipStream_tbEUlmE_hEESB_NS0_8identityIvEEEESG_SJ_SK_mSL_SN_bEUlT_E_NS1_11comp_targetILNS1_3genE8ELNS1_11target_archE1030ELNS1_3gpuE2ELNS1_3repE0EEENS1_30default_config_static_selectorELNS0_4arch9wavefront6targetE1EEEvT1_
		.amdhsa_group_segment_fixed_size 0
		.amdhsa_private_segment_fixed_size 0
		.amdhsa_kernarg_size 56
		.amdhsa_user_sgpr_count 2
		.amdhsa_user_sgpr_dispatch_ptr 0
		.amdhsa_user_sgpr_queue_ptr 0
		.amdhsa_user_sgpr_kernarg_segment_ptr 1
		.amdhsa_user_sgpr_dispatch_id 0
		.amdhsa_user_sgpr_kernarg_preload_length 0
		.amdhsa_user_sgpr_kernarg_preload_offset 0
		.amdhsa_user_sgpr_private_segment_size 0
		.amdhsa_uses_dynamic_stack 0
		.amdhsa_enable_private_segment 0
		.amdhsa_system_sgpr_workgroup_id_x 1
		.amdhsa_system_sgpr_workgroup_id_y 0
		.amdhsa_system_sgpr_workgroup_id_z 0
		.amdhsa_system_sgpr_workgroup_info 0
		.amdhsa_system_vgpr_workitem_id 0
		.amdhsa_next_free_vgpr 1
		.amdhsa_next_free_sgpr 0
		.amdhsa_accum_offset 4
		.amdhsa_reserve_vcc 0
		.amdhsa_float_round_mode_32 0
		.amdhsa_float_round_mode_16_64 0
		.amdhsa_float_denorm_mode_32 3
		.amdhsa_float_denorm_mode_16_64 3
		.amdhsa_dx10_clamp 1
		.amdhsa_ieee_mode 1
		.amdhsa_fp16_overflow 0
		.amdhsa_tg_split 0
		.amdhsa_exception_fp_ieee_invalid_op 0
		.amdhsa_exception_fp_denorm_src 0
		.amdhsa_exception_fp_ieee_div_zero 0
		.amdhsa_exception_fp_ieee_overflow 0
		.amdhsa_exception_fp_ieee_underflow 0
		.amdhsa_exception_fp_ieee_inexact 0
		.amdhsa_exception_int_div_zero 0
	.end_amdhsa_kernel
	.section	.text._ZN7rocprim17ROCPRIM_400000_NS6detail17trampoline_kernelINS0_14default_configENS1_25transform_config_selectorIhLb0EEEZNS1_14transform_implILb0ES3_S5_NS0_18transform_iteratorINS0_17counting_iteratorImlEEZNS1_24adjacent_difference_implIS3_Lb1ELb0EPhSB_N6thrust23THRUST_200600_302600_NS4plusIhEEEE10hipError_tPvRmT2_T3_mT4_P12ihipStream_tbEUlmE_hEESB_NS0_8identityIvEEEESG_SJ_SK_mSL_SN_bEUlT_E_NS1_11comp_targetILNS1_3genE8ELNS1_11target_archE1030ELNS1_3gpuE2ELNS1_3repE0EEENS1_30default_config_static_selectorELNS0_4arch9wavefront6targetE1EEEvT1_,"axG",@progbits,_ZN7rocprim17ROCPRIM_400000_NS6detail17trampoline_kernelINS0_14default_configENS1_25transform_config_selectorIhLb0EEEZNS1_14transform_implILb0ES3_S5_NS0_18transform_iteratorINS0_17counting_iteratorImlEEZNS1_24adjacent_difference_implIS3_Lb1ELb0EPhSB_N6thrust23THRUST_200600_302600_NS4plusIhEEEE10hipError_tPvRmT2_T3_mT4_P12ihipStream_tbEUlmE_hEESB_NS0_8identityIvEEEESG_SJ_SK_mSL_SN_bEUlT_E_NS1_11comp_targetILNS1_3genE8ELNS1_11target_archE1030ELNS1_3gpuE2ELNS1_3repE0EEENS1_30default_config_static_selectorELNS0_4arch9wavefront6targetE1EEEvT1_,comdat
.Lfunc_end304:
	.size	_ZN7rocprim17ROCPRIM_400000_NS6detail17trampoline_kernelINS0_14default_configENS1_25transform_config_selectorIhLb0EEEZNS1_14transform_implILb0ES3_S5_NS0_18transform_iteratorINS0_17counting_iteratorImlEEZNS1_24adjacent_difference_implIS3_Lb1ELb0EPhSB_N6thrust23THRUST_200600_302600_NS4plusIhEEEE10hipError_tPvRmT2_T3_mT4_P12ihipStream_tbEUlmE_hEESB_NS0_8identityIvEEEESG_SJ_SK_mSL_SN_bEUlT_E_NS1_11comp_targetILNS1_3genE8ELNS1_11target_archE1030ELNS1_3gpuE2ELNS1_3repE0EEENS1_30default_config_static_selectorELNS0_4arch9wavefront6targetE1EEEvT1_, .Lfunc_end304-_ZN7rocprim17ROCPRIM_400000_NS6detail17trampoline_kernelINS0_14default_configENS1_25transform_config_selectorIhLb0EEEZNS1_14transform_implILb0ES3_S5_NS0_18transform_iteratorINS0_17counting_iteratorImlEEZNS1_24adjacent_difference_implIS3_Lb1ELb0EPhSB_N6thrust23THRUST_200600_302600_NS4plusIhEEEE10hipError_tPvRmT2_T3_mT4_P12ihipStream_tbEUlmE_hEESB_NS0_8identityIvEEEESG_SJ_SK_mSL_SN_bEUlT_E_NS1_11comp_targetILNS1_3genE8ELNS1_11target_archE1030ELNS1_3gpuE2ELNS1_3repE0EEENS1_30default_config_static_selectorELNS0_4arch9wavefront6targetE1EEEvT1_
                                        ; -- End function
	.section	.AMDGPU.csdata,"",@progbits
; Kernel info:
; codeLenInByte = 0
; NumSgprs: 6
; NumVgprs: 0
; NumAgprs: 0
; TotalNumVgprs: 0
; ScratchSize: 0
; MemoryBound: 0
; FloatMode: 240
; IeeeMode: 1
; LDSByteSize: 0 bytes/workgroup (compile time only)
; SGPRBlocks: 0
; VGPRBlocks: 0
; NumSGPRsForWavesPerEU: 6
; NumVGPRsForWavesPerEU: 1
; AccumOffset: 4
; Occupancy: 8
; WaveLimiterHint : 0
; COMPUTE_PGM_RSRC2:SCRATCH_EN: 0
; COMPUTE_PGM_RSRC2:USER_SGPR: 2
; COMPUTE_PGM_RSRC2:TRAP_HANDLER: 0
; COMPUTE_PGM_RSRC2:TGID_X_EN: 1
; COMPUTE_PGM_RSRC2:TGID_Y_EN: 0
; COMPUTE_PGM_RSRC2:TGID_Z_EN: 0
; COMPUTE_PGM_RSRC2:TIDIG_COMP_CNT: 0
; COMPUTE_PGM_RSRC3_GFX90A:ACCUM_OFFSET: 0
; COMPUTE_PGM_RSRC3_GFX90A:TG_SPLIT: 0
	.section	.text._ZN7rocprim17ROCPRIM_400000_NS6detail17trampoline_kernelINS0_14default_configENS1_35adjacent_difference_config_selectorILb1EhEEZNS1_24adjacent_difference_implIS3_Lb1ELb0EPhS7_N6thrust23THRUST_200600_302600_NS4plusIhEEEE10hipError_tPvRmT2_T3_mT4_P12ihipStream_tbEUlT_E_NS1_11comp_targetILNS1_3genE0ELNS1_11target_archE4294967295ELNS1_3gpuE0ELNS1_3repE0EEENS1_30default_config_static_selectorELNS0_4arch9wavefront6targetE1EEEvT1_,"axG",@progbits,_ZN7rocprim17ROCPRIM_400000_NS6detail17trampoline_kernelINS0_14default_configENS1_35adjacent_difference_config_selectorILb1EhEEZNS1_24adjacent_difference_implIS3_Lb1ELb0EPhS7_N6thrust23THRUST_200600_302600_NS4plusIhEEEE10hipError_tPvRmT2_T3_mT4_P12ihipStream_tbEUlT_E_NS1_11comp_targetILNS1_3genE0ELNS1_11target_archE4294967295ELNS1_3gpuE0ELNS1_3repE0EEENS1_30default_config_static_selectorELNS0_4arch9wavefront6targetE1EEEvT1_,comdat
	.protected	_ZN7rocprim17ROCPRIM_400000_NS6detail17trampoline_kernelINS0_14default_configENS1_35adjacent_difference_config_selectorILb1EhEEZNS1_24adjacent_difference_implIS3_Lb1ELb0EPhS7_N6thrust23THRUST_200600_302600_NS4plusIhEEEE10hipError_tPvRmT2_T3_mT4_P12ihipStream_tbEUlT_E_NS1_11comp_targetILNS1_3genE0ELNS1_11target_archE4294967295ELNS1_3gpuE0ELNS1_3repE0EEENS1_30default_config_static_selectorELNS0_4arch9wavefront6targetE1EEEvT1_ ; -- Begin function _ZN7rocprim17ROCPRIM_400000_NS6detail17trampoline_kernelINS0_14default_configENS1_35adjacent_difference_config_selectorILb1EhEEZNS1_24adjacent_difference_implIS3_Lb1ELb0EPhS7_N6thrust23THRUST_200600_302600_NS4plusIhEEEE10hipError_tPvRmT2_T3_mT4_P12ihipStream_tbEUlT_E_NS1_11comp_targetILNS1_3genE0ELNS1_11target_archE4294967295ELNS1_3gpuE0ELNS1_3repE0EEENS1_30default_config_static_selectorELNS0_4arch9wavefront6targetE1EEEvT1_
	.globl	_ZN7rocprim17ROCPRIM_400000_NS6detail17trampoline_kernelINS0_14default_configENS1_35adjacent_difference_config_selectorILb1EhEEZNS1_24adjacent_difference_implIS3_Lb1ELb0EPhS7_N6thrust23THRUST_200600_302600_NS4plusIhEEEE10hipError_tPvRmT2_T3_mT4_P12ihipStream_tbEUlT_E_NS1_11comp_targetILNS1_3genE0ELNS1_11target_archE4294967295ELNS1_3gpuE0ELNS1_3repE0EEENS1_30default_config_static_selectorELNS0_4arch9wavefront6targetE1EEEvT1_
	.p2align	8
	.type	_ZN7rocprim17ROCPRIM_400000_NS6detail17trampoline_kernelINS0_14default_configENS1_35adjacent_difference_config_selectorILb1EhEEZNS1_24adjacent_difference_implIS3_Lb1ELb0EPhS7_N6thrust23THRUST_200600_302600_NS4plusIhEEEE10hipError_tPvRmT2_T3_mT4_P12ihipStream_tbEUlT_E_NS1_11comp_targetILNS1_3genE0ELNS1_11target_archE4294967295ELNS1_3gpuE0ELNS1_3repE0EEENS1_30default_config_static_selectorELNS0_4arch9wavefront6targetE1EEEvT1_,@function
_ZN7rocprim17ROCPRIM_400000_NS6detail17trampoline_kernelINS0_14default_configENS1_35adjacent_difference_config_selectorILb1EhEEZNS1_24adjacent_difference_implIS3_Lb1ELb0EPhS7_N6thrust23THRUST_200600_302600_NS4plusIhEEEE10hipError_tPvRmT2_T3_mT4_P12ihipStream_tbEUlT_E_NS1_11comp_targetILNS1_3genE0ELNS1_11target_archE4294967295ELNS1_3gpuE0ELNS1_3repE0EEENS1_30default_config_static_selectorELNS0_4arch9wavefront6targetE1EEEvT1_: ; @_ZN7rocprim17ROCPRIM_400000_NS6detail17trampoline_kernelINS0_14default_configENS1_35adjacent_difference_config_selectorILb1EhEEZNS1_24adjacent_difference_implIS3_Lb1ELb0EPhS7_N6thrust23THRUST_200600_302600_NS4plusIhEEEE10hipError_tPvRmT2_T3_mT4_P12ihipStream_tbEUlT_E_NS1_11comp_targetILNS1_3genE0ELNS1_11target_archE4294967295ELNS1_3gpuE0ELNS1_3repE0EEENS1_30default_config_static_selectorELNS0_4arch9wavefront6targetE1EEEvT1_
; %bb.0:
	.section	.rodata,"a",@progbits
	.p2align	6, 0x0
	.amdhsa_kernel _ZN7rocprim17ROCPRIM_400000_NS6detail17trampoline_kernelINS0_14default_configENS1_35adjacent_difference_config_selectorILb1EhEEZNS1_24adjacent_difference_implIS3_Lb1ELb0EPhS7_N6thrust23THRUST_200600_302600_NS4plusIhEEEE10hipError_tPvRmT2_T3_mT4_P12ihipStream_tbEUlT_E_NS1_11comp_targetILNS1_3genE0ELNS1_11target_archE4294967295ELNS1_3gpuE0ELNS1_3repE0EEENS1_30default_config_static_selectorELNS0_4arch9wavefront6targetE1EEEvT1_
		.amdhsa_group_segment_fixed_size 0
		.amdhsa_private_segment_fixed_size 0
		.amdhsa_kernarg_size 56
		.amdhsa_user_sgpr_count 2
		.amdhsa_user_sgpr_dispatch_ptr 0
		.amdhsa_user_sgpr_queue_ptr 0
		.amdhsa_user_sgpr_kernarg_segment_ptr 1
		.amdhsa_user_sgpr_dispatch_id 0
		.amdhsa_user_sgpr_kernarg_preload_length 0
		.amdhsa_user_sgpr_kernarg_preload_offset 0
		.amdhsa_user_sgpr_private_segment_size 0
		.amdhsa_uses_dynamic_stack 0
		.amdhsa_enable_private_segment 0
		.amdhsa_system_sgpr_workgroup_id_x 1
		.amdhsa_system_sgpr_workgroup_id_y 0
		.amdhsa_system_sgpr_workgroup_id_z 0
		.amdhsa_system_sgpr_workgroup_info 0
		.amdhsa_system_vgpr_workitem_id 0
		.amdhsa_next_free_vgpr 1
		.amdhsa_next_free_sgpr 0
		.amdhsa_accum_offset 4
		.amdhsa_reserve_vcc 0
		.amdhsa_float_round_mode_32 0
		.amdhsa_float_round_mode_16_64 0
		.amdhsa_float_denorm_mode_32 3
		.amdhsa_float_denorm_mode_16_64 3
		.amdhsa_dx10_clamp 1
		.amdhsa_ieee_mode 1
		.amdhsa_fp16_overflow 0
		.amdhsa_tg_split 0
		.amdhsa_exception_fp_ieee_invalid_op 0
		.amdhsa_exception_fp_denorm_src 0
		.amdhsa_exception_fp_ieee_div_zero 0
		.amdhsa_exception_fp_ieee_overflow 0
		.amdhsa_exception_fp_ieee_underflow 0
		.amdhsa_exception_fp_ieee_inexact 0
		.amdhsa_exception_int_div_zero 0
	.end_amdhsa_kernel
	.section	.text._ZN7rocprim17ROCPRIM_400000_NS6detail17trampoline_kernelINS0_14default_configENS1_35adjacent_difference_config_selectorILb1EhEEZNS1_24adjacent_difference_implIS3_Lb1ELb0EPhS7_N6thrust23THRUST_200600_302600_NS4plusIhEEEE10hipError_tPvRmT2_T3_mT4_P12ihipStream_tbEUlT_E_NS1_11comp_targetILNS1_3genE0ELNS1_11target_archE4294967295ELNS1_3gpuE0ELNS1_3repE0EEENS1_30default_config_static_selectorELNS0_4arch9wavefront6targetE1EEEvT1_,"axG",@progbits,_ZN7rocprim17ROCPRIM_400000_NS6detail17trampoline_kernelINS0_14default_configENS1_35adjacent_difference_config_selectorILb1EhEEZNS1_24adjacent_difference_implIS3_Lb1ELb0EPhS7_N6thrust23THRUST_200600_302600_NS4plusIhEEEE10hipError_tPvRmT2_T3_mT4_P12ihipStream_tbEUlT_E_NS1_11comp_targetILNS1_3genE0ELNS1_11target_archE4294967295ELNS1_3gpuE0ELNS1_3repE0EEENS1_30default_config_static_selectorELNS0_4arch9wavefront6targetE1EEEvT1_,comdat
.Lfunc_end305:
	.size	_ZN7rocprim17ROCPRIM_400000_NS6detail17trampoline_kernelINS0_14default_configENS1_35adjacent_difference_config_selectorILb1EhEEZNS1_24adjacent_difference_implIS3_Lb1ELb0EPhS7_N6thrust23THRUST_200600_302600_NS4plusIhEEEE10hipError_tPvRmT2_T3_mT4_P12ihipStream_tbEUlT_E_NS1_11comp_targetILNS1_3genE0ELNS1_11target_archE4294967295ELNS1_3gpuE0ELNS1_3repE0EEENS1_30default_config_static_selectorELNS0_4arch9wavefront6targetE1EEEvT1_, .Lfunc_end305-_ZN7rocprim17ROCPRIM_400000_NS6detail17trampoline_kernelINS0_14default_configENS1_35adjacent_difference_config_selectorILb1EhEEZNS1_24adjacent_difference_implIS3_Lb1ELb0EPhS7_N6thrust23THRUST_200600_302600_NS4plusIhEEEE10hipError_tPvRmT2_T3_mT4_P12ihipStream_tbEUlT_E_NS1_11comp_targetILNS1_3genE0ELNS1_11target_archE4294967295ELNS1_3gpuE0ELNS1_3repE0EEENS1_30default_config_static_selectorELNS0_4arch9wavefront6targetE1EEEvT1_
                                        ; -- End function
	.section	.AMDGPU.csdata,"",@progbits
; Kernel info:
; codeLenInByte = 0
; NumSgprs: 6
; NumVgprs: 0
; NumAgprs: 0
; TotalNumVgprs: 0
; ScratchSize: 0
; MemoryBound: 0
; FloatMode: 240
; IeeeMode: 1
; LDSByteSize: 0 bytes/workgroup (compile time only)
; SGPRBlocks: 0
; VGPRBlocks: 0
; NumSGPRsForWavesPerEU: 6
; NumVGPRsForWavesPerEU: 1
; AccumOffset: 4
; Occupancy: 8
; WaveLimiterHint : 0
; COMPUTE_PGM_RSRC2:SCRATCH_EN: 0
; COMPUTE_PGM_RSRC2:USER_SGPR: 2
; COMPUTE_PGM_RSRC2:TRAP_HANDLER: 0
; COMPUTE_PGM_RSRC2:TGID_X_EN: 1
; COMPUTE_PGM_RSRC2:TGID_Y_EN: 0
; COMPUTE_PGM_RSRC2:TGID_Z_EN: 0
; COMPUTE_PGM_RSRC2:TIDIG_COMP_CNT: 0
; COMPUTE_PGM_RSRC3_GFX90A:ACCUM_OFFSET: 0
; COMPUTE_PGM_RSRC3_GFX90A:TG_SPLIT: 0
	.section	.text._ZN7rocprim17ROCPRIM_400000_NS6detail17trampoline_kernelINS0_14default_configENS1_35adjacent_difference_config_selectorILb1EhEEZNS1_24adjacent_difference_implIS3_Lb1ELb0EPhS7_N6thrust23THRUST_200600_302600_NS4plusIhEEEE10hipError_tPvRmT2_T3_mT4_P12ihipStream_tbEUlT_E_NS1_11comp_targetILNS1_3genE10ELNS1_11target_archE1201ELNS1_3gpuE5ELNS1_3repE0EEENS1_30default_config_static_selectorELNS0_4arch9wavefront6targetE1EEEvT1_,"axG",@progbits,_ZN7rocprim17ROCPRIM_400000_NS6detail17trampoline_kernelINS0_14default_configENS1_35adjacent_difference_config_selectorILb1EhEEZNS1_24adjacent_difference_implIS3_Lb1ELb0EPhS7_N6thrust23THRUST_200600_302600_NS4plusIhEEEE10hipError_tPvRmT2_T3_mT4_P12ihipStream_tbEUlT_E_NS1_11comp_targetILNS1_3genE10ELNS1_11target_archE1201ELNS1_3gpuE5ELNS1_3repE0EEENS1_30default_config_static_selectorELNS0_4arch9wavefront6targetE1EEEvT1_,comdat
	.protected	_ZN7rocprim17ROCPRIM_400000_NS6detail17trampoline_kernelINS0_14default_configENS1_35adjacent_difference_config_selectorILb1EhEEZNS1_24adjacent_difference_implIS3_Lb1ELb0EPhS7_N6thrust23THRUST_200600_302600_NS4plusIhEEEE10hipError_tPvRmT2_T3_mT4_P12ihipStream_tbEUlT_E_NS1_11comp_targetILNS1_3genE10ELNS1_11target_archE1201ELNS1_3gpuE5ELNS1_3repE0EEENS1_30default_config_static_selectorELNS0_4arch9wavefront6targetE1EEEvT1_ ; -- Begin function _ZN7rocprim17ROCPRIM_400000_NS6detail17trampoline_kernelINS0_14default_configENS1_35adjacent_difference_config_selectorILb1EhEEZNS1_24adjacent_difference_implIS3_Lb1ELb0EPhS7_N6thrust23THRUST_200600_302600_NS4plusIhEEEE10hipError_tPvRmT2_T3_mT4_P12ihipStream_tbEUlT_E_NS1_11comp_targetILNS1_3genE10ELNS1_11target_archE1201ELNS1_3gpuE5ELNS1_3repE0EEENS1_30default_config_static_selectorELNS0_4arch9wavefront6targetE1EEEvT1_
	.globl	_ZN7rocprim17ROCPRIM_400000_NS6detail17trampoline_kernelINS0_14default_configENS1_35adjacent_difference_config_selectorILb1EhEEZNS1_24adjacent_difference_implIS3_Lb1ELb0EPhS7_N6thrust23THRUST_200600_302600_NS4plusIhEEEE10hipError_tPvRmT2_T3_mT4_P12ihipStream_tbEUlT_E_NS1_11comp_targetILNS1_3genE10ELNS1_11target_archE1201ELNS1_3gpuE5ELNS1_3repE0EEENS1_30default_config_static_selectorELNS0_4arch9wavefront6targetE1EEEvT1_
	.p2align	8
	.type	_ZN7rocprim17ROCPRIM_400000_NS6detail17trampoline_kernelINS0_14default_configENS1_35adjacent_difference_config_selectorILb1EhEEZNS1_24adjacent_difference_implIS3_Lb1ELb0EPhS7_N6thrust23THRUST_200600_302600_NS4plusIhEEEE10hipError_tPvRmT2_T3_mT4_P12ihipStream_tbEUlT_E_NS1_11comp_targetILNS1_3genE10ELNS1_11target_archE1201ELNS1_3gpuE5ELNS1_3repE0EEENS1_30default_config_static_selectorELNS0_4arch9wavefront6targetE1EEEvT1_,@function
_ZN7rocprim17ROCPRIM_400000_NS6detail17trampoline_kernelINS0_14default_configENS1_35adjacent_difference_config_selectorILb1EhEEZNS1_24adjacent_difference_implIS3_Lb1ELb0EPhS7_N6thrust23THRUST_200600_302600_NS4plusIhEEEE10hipError_tPvRmT2_T3_mT4_P12ihipStream_tbEUlT_E_NS1_11comp_targetILNS1_3genE10ELNS1_11target_archE1201ELNS1_3gpuE5ELNS1_3repE0EEENS1_30default_config_static_selectorELNS0_4arch9wavefront6targetE1EEEvT1_: ; @_ZN7rocprim17ROCPRIM_400000_NS6detail17trampoline_kernelINS0_14default_configENS1_35adjacent_difference_config_selectorILb1EhEEZNS1_24adjacent_difference_implIS3_Lb1ELb0EPhS7_N6thrust23THRUST_200600_302600_NS4plusIhEEEE10hipError_tPvRmT2_T3_mT4_P12ihipStream_tbEUlT_E_NS1_11comp_targetILNS1_3genE10ELNS1_11target_archE1201ELNS1_3gpuE5ELNS1_3repE0EEENS1_30default_config_static_selectorELNS0_4arch9wavefront6targetE1EEEvT1_
; %bb.0:
	.section	.rodata,"a",@progbits
	.p2align	6, 0x0
	.amdhsa_kernel _ZN7rocprim17ROCPRIM_400000_NS6detail17trampoline_kernelINS0_14default_configENS1_35adjacent_difference_config_selectorILb1EhEEZNS1_24adjacent_difference_implIS3_Lb1ELb0EPhS7_N6thrust23THRUST_200600_302600_NS4plusIhEEEE10hipError_tPvRmT2_T3_mT4_P12ihipStream_tbEUlT_E_NS1_11comp_targetILNS1_3genE10ELNS1_11target_archE1201ELNS1_3gpuE5ELNS1_3repE0EEENS1_30default_config_static_selectorELNS0_4arch9wavefront6targetE1EEEvT1_
		.amdhsa_group_segment_fixed_size 0
		.amdhsa_private_segment_fixed_size 0
		.amdhsa_kernarg_size 56
		.amdhsa_user_sgpr_count 2
		.amdhsa_user_sgpr_dispatch_ptr 0
		.amdhsa_user_sgpr_queue_ptr 0
		.amdhsa_user_sgpr_kernarg_segment_ptr 1
		.amdhsa_user_sgpr_dispatch_id 0
		.amdhsa_user_sgpr_kernarg_preload_length 0
		.amdhsa_user_sgpr_kernarg_preload_offset 0
		.amdhsa_user_sgpr_private_segment_size 0
		.amdhsa_uses_dynamic_stack 0
		.amdhsa_enable_private_segment 0
		.amdhsa_system_sgpr_workgroup_id_x 1
		.amdhsa_system_sgpr_workgroup_id_y 0
		.amdhsa_system_sgpr_workgroup_id_z 0
		.amdhsa_system_sgpr_workgroup_info 0
		.amdhsa_system_vgpr_workitem_id 0
		.amdhsa_next_free_vgpr 1
		.amdhsa_next_free_sgpr 0
		.amdhsa_accum_offset 4
		.amdhsa_reserve_vcc 0
		.amdhsa_float_round_mode_32 0
		.amdhsa_float_round_mode_16_64 0
		.amdhsa_float_denorm_mode_32 3
		.amdhsa_float_denorm_mode_16_64 3
		.amdhsa_dx10_clamp 1
		.amdhsa_ieee_mode 1
		.amdhsa_fp16_overflow 0
		.amdhsa_tg_split 0
		.amdhsa_exception_fp_ieee_invalid_op 0
		.amdhsa_exception_fp_denorm_src 0
		.amdhsa_exception_fp_ieee_div_zero 0
		.amdhsa_exception_fp_ieee_overflow 0
		.amdhsa_exception_fp_ieee_underflow 0
		.amdhsa_exception_fp_ieee_inexact 0
		.amdhsa_exception_int_div_zero 0
	.end_amdhsa_kernel
	.section	.text._ZN7rocprim17ROCPRIM_400000_NS6detail17trampoline_kernelINS0_14default_configENS1_35adjacent_difference_config_selectorILb1EhEEZNS1_24adjacent_difference_implIS3_Lb1ELb0EPhS7_N6thrust23THRUST_200600_302600_NS4plusIhEEEE10hipError_tPvRmT2_T3_mT4_P12ihipStream_tbEUlT_E_NS1_11comp_targetILNS1_3genE10ELNS1_11target_archE1201ELNS1_3gpuE5ELNS1_3repE0EEENS1_30default_config_static_selectorELNS0_4arch9wavefront6targetE1EEEvT1_,"axG",@progbits,_ZN7rocprim17ROCPRIM_400000_NS6detail17trampoline_kernelINS0_14default_configENS1_35adjacent_difference_config_selectorILb1EhEEZNS1_24adjacent_difference_implIS3_Lb1ELb0EPhS7_N6thrust23THRUST_200600_302600_NS4plusIhEEEE10hipError_tPvRmT2_T3_mT4_P12ihipStream_tbEUlT_E_NS1_11comp_targetILNS1_3genE10ELNS1_11target_archE1201ELNS1_3gpuE5ELNS1_3repE0EEENS1_30default_config_static_selectorELNS0_4arch9wavefront6targetE1EEEvT1_,comdat
.Lfunc_end306:
	.size	_ZN7rocprim17ROCPRIM_400000_NS6detail17trampoline_kernelINS0_14default_configENS1_35adjacent_difference_config_selectorILb1EhEEZNS1_24adjacent_difference_implIS3_Lb1ELb0EPhS7_N6thrust23THRUST_200600_302600_NS4plusIhEEEE10hipError_tPvRmT2_T3_mT4_P12ihipStream_tbEUlT_E_NS1_11comp_targetILNS1_3genE10ELNS1_11target_archE1201ELNS1_3gpuE5ELNS1_3repE0EEENS1_30default_config_static_selectorELNS0_4arch9wavefront6targetE1EEEvT1_, .Lfunc_end306-_ZN7rocprim17ROCPRIM_400000_NS6detail17trampoline_kernelINS0_14default_configENS1_35adjacent_difference_config_selectorILb1EhEEZNS1_24adjacent_difference_implIS3_Lb1ELb0EPhS7_N6thrust23THRUST_200600_302600_NS4plusIhEEEE10hipError_tPvRmT2_T3_mT4_P12ihipStream_tbEUlT_E_NS1_11comp_targetILNS1_3genE10ELNS1_11target_archE1201ELNS1_3gpuE5ELNS1_3repE0EEENS1_30default_config_static_selectorELNS0_4arch9wavefront6targetE1EEEvT1_
                                        ; -- End function
	.section	.AMDGPU.csdata,"",@progbits
; Kernel info:
; codeLenInByte = 0
; NumSgprs: 6
; NumVgprs: 0
; NumAgprs: 0
; TotalNumVgprs: 0
; ScratchSize: 0
; MemoryBound: 0
; FloatMode: 240
; IeeeMode: 1
; LDSByteSize: 0 bytes/workgroup (compile time only)
; SGPRBlocks: 0
; VGPRBlocks: 0
; NumSGPRsForWavesPerEU: 6
; NumVGPRsForWavesPerEU: 1
; AccumOffset: 4
; Occupancy: 8
; WaveLimiterHint : 0
; COMPUTE_PGM_RSRC2:SCRATCH_EN: 0
; COMPUTE_PGM_RSRC2:USER_SGPR: 2
; COMPUTE_PGM_RSRC2:TRAP_HANDLER: 0
; COMPUTE_PGM_RSRC2:TGID_X_EN: 1
; COMPUTE_PGM_RSRC2:TGID_Y_EN: 0
; COMPUTE_PGM_RSRC2:TGID_Z_EN: 0
; COMPUTE_PGM_RSRC2:TIDIG_COMP_CNT: 0
; COMPUTE_PGM_RSRC3_GFX90A:ACCUM_OFFSET: 0
; COMPUTE_PGM_RSRC3_GFX90A:TG_SPLIT: 0
	.section	.text._ZN7rocprim17ROCPRIM_400000_NS6detail17trampoline_kernelINS0_14default_configENS1_35adjacent_difference_config_selectorILb1EhEEZNS1_24adjacent_difference_implIS3_Lb1ELb0EPhS7_N6thrust23THRUST_200600_302600_NS4plusIhEEEE10hipError_tPvRmT2_T3_mT4_P12ihipStream_tbEUlT_E_NS1_11comp_targetILNS1_3genE5ELNS1_11target_archE942ELNS1_3gpuE9ELNS1_3repE0EEENS1_30default_config_static_selectorELNS0_4arch9wavefront6targetE1EEEvT1_,"axG",@progbits,_ZN7rocprim17ROCPRIM_400000_NS6detail17trampoline_kernelINS0_14default_configENS1_35adjacent_difference_config_selectorILb1EhEEZNS1_24adjacent_difference_implIS3_Lb1ELb0EPhS7_N6thrust23THRUST_200600_302600_NS4plusIhEEEE10hipError_tPvRmT2_T3_mT4_P12ihipStream_tbEUlT_E_NS1_11comp_targetILNS1_3genE5ELNS1_11target_archE942ELNS1_3gpuE9ELNS1_3repE0EEENS1_30default_config_static_selectorELNS0_4arch9wavefront6targetE1EEEvT1_,comdat
	.protected	_ZN7rocprim17ROCPRIM_400000_NS6detail17trampoline_kernelINS0_14default_configENS1_35adjacent_difference_config_selectorILb1EhEEZNS1_24adjacent_difference_implIS3_Lb1ELb0EPhS7_N6thrust23THRUST_200600_302600_NS4plusIhEEEE10hipError_tPvRmT2_T3_mT4_P12ihipStream_tbEUlT_E_NS1_11comp_targetILNS1_3genE5ELNS1_11target_archE942ELNS1_3gpuE9ELNS1_3repE0EEENS1_30default_config_static_selectorELNS0_4arch9wavefront6targetE1EEEvT1_ ; -- Begin function _ZN7rocprim17ROCPRIM_400000_NS6detail17trampoline_kernelINS0_14default_configENS1_35adjacent_difference_config_selectorILb1EhEEZNS1_24adjacent_difference_implIS3_Lb1ELb0EPhS7_N6thrust23THRUST_200600_302600_NS4plusIhEEEE10hipError_tPvRmT2_T3_mT4_P12ihipStream_tbEUlT_E_NS1_11comp_targetILNS1_3genE5ELNS1_11target_archE942ELNS1_3gpuE9ELNS1_3repE0EEENS1_30default_config_static_selectorELNS0_4arch9wavefront6targetE1EEEvT1_
	.globl	_ZN7rocprim17ROCPRIM_400000_NS6detail17trampoline_kernelINS0_14default_configENS1_35adjacent_difference_config_selectorILb1EhEEZNS1_24adjacent_difference_implIS3_Lb1ELb0EPhS7_N6thrust23THRUST_200600_302600_NS4plusIhEEEE10hipError_tPvRmT2_T3_mT4_P12ihipStream_tbEUlT_E_NS1_11comp_targetILNS1_3genE5ELNS1_11target_archE942ELNS1_3gpuE9ELNS1_3repE0EEENS1_30default_config_static_selectorELNS0_4arch9wavefront6targetE1EEEvT1_
	.p2align	8
	.type	_ZN7rocprim17ROCPRIM_400000_NS6detail17trampoline_kernelINS0_14default_configENS1_35adjacent_difference_config_selectorILb1EhEEZNS1_24adjacent_difference_implIS3_Lb1ELb0EPhS7_N6thrust23THRUST_200600_302600_NS4plusIhEEEE10hipError_tPvRmT2_T3_mT4_P12ihipStream_tbEUlT_E_NS1_11comp_targetILNS1_3genE5ELNS1_11target_archE942ELNS1_3gpuE9ELNS1_3repE0EEENS1_30default_config_static_selectorELNS0_4arch9wavefront6targetE1EEEvT1_,@function
_ZN7rocprim17ROCPRIM_400000_NS6detail17trampoline_kernelINS0_14default_configENS1_35adjacent_difference_config_selectorILb1EhEEZNS1_24adjacent_difference_implIS3_Lb1ELb0EPhS7_N6thrust23THRUST_200600_302600_NS4plusIhEEEE10hipError_tPvRmT2_T3_mT4_P12ihipStream_tbEUlT_E_NS1_11comp_targetILNS1_3genE5ELNS1_11target_archE942ELNS1_3gpuE9ELNS1_3repE0EEENS1_30default_config_static_selectorELNS0_4arch9wavefront6targetE1EEEvT1_: ; @_ZN7rocprim17ROCPRIM_400000_NS6detail17trampoline_kernelINS0_14default_configENS1_35adjacent_difference_config_selectorILb1EhEEZNS1_24adjacent_difference_implIS3_Lb1ELb0EPhS7_N6thrust23THRUST_200600_302600_NS4plusIhEEEE10hipError_tPvRmT2_T3_mT4_P12ihipStream_tbEUlT_E_NS1_11comp_targetILNS1_3genE5ELNS1_11target_archE942ELNS1_3gpuE9ELNS1_3repE0EEENS1_30default_config_static_selectorELNS0_4arch9wavefront6targetE1EEEvT1_
; %bb.0:
	s_load_dwordx8 s[48:55], s[0:1], 0x0
	s_load_dwordx4 s[4:7], s[0:1], 0x28
	s_movk_i32 s8, 0xb80
	s_mul_i32 s33, s2, 0xb80
	s_waitcnt lgkmcnt(0)
	s_add_u32 s3, s48, s50
	s_addc_u32 s18, s49, s51
	s_add_u32 s0, 0, 0x590b2000
	s_addc_u32 s1, 0, 0
	s_add_i32 s1, s1, 0x1642c8
	s_mul_hi_u32 s12, s0, 0xfffff480
	s_sub_i32 s12, s12, s0
	s_mul_i32 s13, s1, 0xfffff480
	s_mul_i32 s9, s0, 0xfffff480
	s_add_i32 s12, s12, s13
	s_mul_hi_u32 s10, s1, s9
	s_mul_i32 s11, s1, s9
	s_mul_i32 s14, s0, s12
	s_mul_hi_u32 s9, s0, s9
	s_mul_hi_u32 s13, s0, s12
	s_add_u32 s9, s9, s14
	s_addc_u32 s13, 0, s13
	s_add_u32 s9, s9, s11
	s_mul_hi_u32 s14, s1, s12
	s_addc_u32 s9, s13, s10
	s_addc_u32 s10, s14, 0
	s_mul_i32 s11, s1, s12
	s_add_u32 s9, s9, s11
	v_mov_b32_e32 v1, s9
	s_addc_u32 s10, 0, s10
	v_add_co_u32_e32 v1, vcc, s0, v1
	s_cmp_lg_u64 vcc, 0
	s_addc_u32 s0, s1, s10
	v_readfirstlane_b32 s10, v1
	s_mul_i32 s9, s54, s0
	s_mul_hi_u32 s11, s54, s10
	s_mul_hi_u32 s1, s54, s0
	s_add_u32 s9, s11, s9
	s_addc_u32 s1, 0, s1
	s_mul_hi_u32 s12, s55, s10
	s_mul_i32 s10, s55, s10
	s_add_u32 s9, s9, s10
	s_mul_hi_u32 s11, s55, s0
	s_addc_u32 s1, s1, s12
	s_addc_u32 s9, s11, 0
	s_mul_i32 s0, s55, s0
	s_add_u32 s0, s1, s0
	s_addc_u32 s1, 0, s9
	s_add_u32 s9, s0, 1
	s_addc_u32 s10, s1, 0
	s_add_u32 s11, s0, 2
	s_mul_i32 s13, s1, 0xb80
	s_mul_hi_u32 s14, s0, 0xb80
	s_addc_u32 s12, s1, 0
	s_add_i32 s14, s14, s13
	s_mul_i32 s13, s0, 0xb80
	v_mov_b32_e32 v1, s13
	v_sub_co_u32_e32 v1, vcc, s54, v1
	s_cmp_lg_u64 vcc, 0
	s_subb_u32 s13, s55, s14
	v_subrev_co_u32_e32 v2, vcc, s8, v1
	s_cmp_lg_u64 vcc, 0
	s_subb_u32 s8, s13, 0
	v_readfirstlane_b32 s14, v2
	s_cmpk_gt_u32 s14, 0xb7f
	s_cselect_b32 s14, -1, 0
	s_cmp_eq_u32 s8, 0
	s_cselect_b32 s8, s14, -1
	s_cmp_lg_u32 s8, 0
	s_cselect_b32 s8, s11, s9
	s_cselect_b32 s9, s12, s10
	v_readfirstlane_b32 s10, v1
	s_cmpk_gt_u32 s10, 0xb7f
	s_cselect_b32 s10, -1, 0
	s_cmp_eq_u32 s13, 0
	s_cselect_b32 s10, s10, -1
	s_cmp_lg_u32 s10, 0
	s_cselect_b32 s9, s9, s1
	s_cselect_b32 s8, s8, s0
	s_mul_i32 s0, s9, 0xb80
	s_mul_hi_u32 s1, s8, 0xb80
	s_add_i32 s1, s1, s0
	s_mul_i32 s0, s8, 0xb80
	s_sub_u32 s0, s54, s0
	s_subb_u32 s1, s55, s1
	s_cmp_lg_u64 s[0:1], 0
	s_cselect_b64 s[0:1], -1, 0
	v_cndmask_b32_e64 v1, 0, 1, s[0:1]
	s_mov_b64 s[14:15], -1
	v_readfirstlane_b32 s0, v1
	s_add_u32 s8, s8, s0
	s_addc_u32 s9, s9, 0
	s_add_u32 s10, s6, s2
	s_addc_u32 s11, s7, 0
	s_add_u32 s12, s8, -1
	s_addc_u32 s13, s9, -1
	v_mov_b64_e32 v[2:3], s[12:13]
	v_cmp_ge_u64_e64 s[0:1], s[10:11], v[2:3]
	s_and_b64 vcc, exec, s[0:1]
	s_mul_i32 s55, s12, 0xfffff480
	s_cbranch_vccz .LBB307_48
; %bb.1:
	s_add_i32 s19, s55, s54
	s_add_u32 s14, s3, s33
	s_addc_u32 s15, s18, 0
	v_cmp_gt_u32_e32 vcc, s19, v0
                                        ; implicit-def: $vgpr1
	s_and_saveexec_b64 s[16:17], vcc
	s_cbranch_execz .LBB307_3
; %bb.2:
	global_load_ubyte v1, v0, s[14:15]
.LBB307_3:
	s_or_b64 exec, exec, s[16:17]
	v_or_b32_e32 v2, 0x80, v0
	v_cmp_gt_u32_e32 vcc, s19, v2
                                        ; implicit-def: $vgpr2
	s_and_saveexec_b64 s[16:17], vcc
	s_cbranch_execz .LBB307_5
; %bb.4:
	global_load_ubyte v2, v0, s[14:15] offset:128
.LBB307_5:
	s_or_b64 exec, exec, s[16:17]
	v_or_b32_e32 v3, 0x100, v0
	v_cmp_gt_u32_e32 vcc, s19, v3
                                        ; implicit-def: $vgpr3
	s_and_saveexec_b64 s[16:17], vcc
	s_cbranch_execz .LBB307_7
; %bb.6:
	global_load_ubyte v3, v0, s[14:15] offset:256
.LBB307_7:
	s_or_b64 exec, exec, s[16:17]
	v_or_b32_e32 v4, 0x180, v0
	v_cmp_gt_u32_e32 vcc, s19, v4
                                        ; implicit-def: $vgpr4
	s_and_saveexec_b64 s[16:17], vcc
	s_cbranch_execz .LBB307_9
; %bb.8:
	global_load_ubyte v4, v0, s[14:15] offset:384
.LBB307_9:
	s_or_b64 exec, exec, s[16:17]
	v_or_b32_e32 v5, 0x200, v0
	v_cmp_gt_u32_e32 vcc, s19, v5
                                        ; implicit-def: $vgpr5
	s_and_saveexec_b64 s[16:17], vcc
	s_cbranch_execz .LBB307_11
; %bb.10:
	global_load_ubyte v5, v0, s[14:15] offset:512
.LBB307_11:
	s_or_b64 exec, exec, s[16:17]
	v_or_b32_e32 v6, 0x280, v0
	v_cmp_gt_u32_e32 vcc, s19, v6
                                        ; implicit-def: $vgpr6
	s_and_saveexec_b64 s[16:17], vcc
	s_cbranch_execz .LBB307_13
; %bb.12:
	global_load_ubyte v6, v0, s[14:15] offset:640
.LBB307_13:
	s_or_b64 exec, exec, s[16:17]
	v_or_b32_e32 v7, 0x300, v0
	v_cmp_gt_u32_e32 vcc, s19, v7
                                        ; implicit-def: $vgpr7
	s_and_saveexec_b64 s[16:17], vcc
	s_cbranch_execz .LBB307_15
; %bb.14:
	global_load_ubyte v7, v0, s[14:15] offset:768
.LBB307_15:
	s_or_b64 exec, exec, s[16:17]
	v_or_b32_e32 v8, 0x380, v0
	v_cmp_gt_u32_e32 vcc, s19, v8
                                        ; implicit-def: $vgpr8
	s_and_saveexec_b64 s[16:17], vcc
	s_cbranch_execz .LBB307_17
; %bb.16:
	global_load_ubyte v8, v0, s[14:15] offset:896
.LBB307_17:
	s_or_b64 exec, exec, s[16:17]
	v_or_b32_e32 v9, 0x400, v0
	v_cmp_gt_u32_e32 vcc, s19, v9
                                        ; implicit-def: $vgpr9
	s_and_saveexec_b64 s[16:17], vcc
	s_cbranch_execz .LBB307_19
; %bb.18:
	global_load_ubyte v9, v0, s[14:15] offset:1024
.LBB307_19:
	s_or_b64 exec, exec, s[16:17]
	v_or_b32_e32 v10, 0x480, v0
	v_cmp_gt_u32_e32 vcc, s19, v10
                                        ; implicit-def: $vgpr10
	s_and_saveexec_b64 s[16:17], vcc
	s_cbranch_execz .LBB307_21
; %bb.20:
	global_load_ubyte v10, v0, s[14:15] offset:1152
.LBB307_21:
	s_or_b64 exec, exec, s[16:17]
	v_or_b32_e32 v11, 0x500, v0
	v_cmp_gt_u32_e32 vcc, s19, v11
                                        ; implicit-def: $vgpr11
	s_and_saveexec_b64 s[16:17], vcc
	s_cbranch_execz .LBB307_23
; %bb.22:
	global_load_ubyte v11, v0, s[14:15] offset:1280
.LBB307_23:
	s_or_b64 exec, exec, s[16:17]
	v_or_b32_e32 v12, 0x580, v0
	v_cmp_gt_u32_e32 vcc, s19, v12
                                        ; implicit-def: $vgpr12
	s_and_saveexec_b64 s[16:17], vcc
	s_cbranch_execz .LBB307_25
; %bb.24:
	global_load_ubyte v12, v0, s[14:15] offset:1408
.LBB307_25:
	s_or_b64 exec, exec, s[16:17]
	v_or_b32_e32 v13, 0x600, v0
	v_cmp_gt_u32_e32 vcc, s19, v13
                                        ; implicit-def: $vgpr13
	s_and_saveexec_b64 s[16:17], vcc
	s_cbranch_execz .LBB307_27
; %bb.26:
	global_load_ubyte v13, v0, s[14:15] offset:1536
.LBB307_27:
	s_or_b64 exec, exec, s[16:17]
	v_or_b32_e32 v14, 0x680, v0
	v_cmp_gt_u32_e32 vcc, s19, v14
                                        ; implicit-def: $vgpr14
	s_and_saveexec_b64 s[16:17], vcc
	s_cbranch_execz .LBB307_29
; %bb.28:
	global_load_ubyte v14, v0, s[14:15] offset:1664
.LBB307_29:
	s_or_b64 exec, exec, s[16:17]
	v_or_b32_e32 v15, 0x700, v0
	v_cmp_gt_u32_e32 vcc, s19, v15
                                        ; implicit-def: $vgpr15
	s_and_saveexec_b64 s[16:17], vcc
	s_cbranch_execz .LBB307_31
; %bb.30:
	global_load_ubyte v15, v0, s[14:15] offset:1792
.LBB307_31:
	s_or_b64 exec, exec, s[16:17]
	v_or_b32_e32 v16, 0x780, v0
	v_cmp_gt_u32_e32 vcc, s19, v16
                                        ; implicit-def: $vgpr16
	s_and_saveexec_b64 s[16:17], vcc
	s_cbranch_execz .LBB307_33
; %bb.32:
	global_load_ubyte v16, v0, s[14:15] offset:1920
.LBB307_33:
	s_or_b64 exec, exec, s[16:17]
	v_or_b32_e32 v17, 0x800, v0
	v_cmp_gt_u32_e32 vcc, s19, v17
                                        ; implicit-def: $vgpr17
	s_and_saveexec_b64 s[16:17], vcc
	s_cbranch_execz .LBB307_35
; %bb.34:
	global_load_ubyte v17, v0, s[14:15] offset:2048
.LBB307_35:
	s_or_b64 exec, exec, s[16:17]
	v_or_b32_e32 v18, 0x880, v0
	v_cmp_gt_u32_e32 vcc, s19, v18
                                        ; implicit-def: $vgpr18
	s_and_saveexec_b64 s[16:17], vcc
	s_cbranch_execz .LBB307_37
; %bb.36:
	global_load_ubyte v18, v0, s[14:15] offset:2176
.LBB307_37:
	s_or_b64 exec, exec, s[16:17]
	v_or_b32_e32 v19, 0x900, v0
	v_cmp_gt_u32_e32 vcc, s19, v19
                                        ; implicit-def: $vgpr19
	s_and_saveexec_b64 s[16:17], vcc
	s_cbranch_execz .LBB307_39
; %bb.38:
	global_load_ubyte v19, v0, s[14:15] offset:2304
.LBB307_39:
	s_or_b64 exec, exec, s[16:17]
	v_or_b32_e32 v20, 0x980, v0
	v_cmp_gt_u32_e32 vcc, s19, v20
                                        ; implicit-def: $vgpr20
	s_and_saveexec_b64 s[16:17], vcc
	s_cbranch_execz .LBB307_41
; %bb.40:
	global_load_ubyte v20, v0, s[14:15] offset:2432
.LBB307_41:
	s_or_b64 exec, exec, s[16:17]
	v_or_b32_e32 v21, 0xa00, v0
	v_cmp_gt_u32_e32 vcc, s19, v21
                                        ; implicit-def: $vgpr21
	s_and_saveexec_b64 s[16:17], vcc
	s_cbranch_execz .LBB307_43
; %bb.42:
	global_load_ubyte v21, v0, s[14:15] offset:2560
.LBB307_43:
	s_or_b64 exec, exec, s[16:17]
	v_or_b32_e32 v22, 0xa80, v0
	v_cmp_gt_u32_e32 vcc, s19, v22
                                        ; implicit-def: $vgpr22
	s_and_saveexec_b64 s[16:17], vcc
	s_cbranch_execz .LBB307_45
; %bb.44:
	global_load_ubyte v22, v0, s[14:15] offset:2688
.LBB307_45:
	s_or_b64 exec, exec, s[16:17]
	v_or_b32_e32 v23, 0xb00, v0
	v_cmp_gt_u32_e32 vcc, s19, v23
                                        ; implicit-def: $vgpr23
	s_and_saveexec_b64 s[16:17], vcc
	s_cbranch_execz .LBB307_47
; %bb.46:
	global_load_ubyte v23, v0, s[14:15] offset:2816
.LBB307_47:
	s_or_b64 exec, exec, s[16:17]
	s_mov_b64 s[14:15], 0
	s_waitcnt vmcnt(0)
	ds_write_b8 v0, v1
	ds_write_b8 v0, v2 offset:128
	ds_write_b8 v0, v3 offset:256
	;; [unrolled: 1-line block ×22, first 2 shown]
	s_waitcnt lgkmcnt(0)
	s_barrier
.LBB307_48:
	s_and_b64 vcc, exec, s[14:15]
	s_cbranch_vccz .LBB307_50
; %bb.49:
	s_add_u32 s14, s3, s33
	s_addc_u32 s15, s18, 0
	global_load_ubyte v1, v0, s[14:15]
	global_load_ubyte v2, v0, s[14:15] offset:128
	global_load_ubyte v3, v0, s[14:15] offset:256
	;; [unrolled: 1-line block ×22, first 2 shown]
	s_waitcnt vmcnt(22)
	ds_write_b8 v0, v1
	s_waitcnt vmcnt(21)
	ds_write_b8 v0, v2 offset:128
	s_waitcnt vmcnt(20)
	ds_write_b8 v0, v3 offset:256
	;; [unrolled: 2-line block ×22, first 2 shown]
	s_waitcnt lgkmcnt(0)
	s_barrier
.LBB307_50:
	v_mul_u32_u24_e32 v6, 23, v0
	ds_read_b128 v[2:5], v6
	ds_read_u8 v1, v6 offset:16
	ds_read_u8 v7, v6 offset:17
	ds_read_u8 v8, v6 offset:18
	ds_read_u8 v9, v6 offset:19
	ds_read_u8 v10, v6 offset:20
	ds_read_u8 v11, v6 offset:21
	ds_read_u8 v12, v6 offset:22
	s_waitcnt lgkmcnt(7)
	v_lshrrev_b32_e32 v13, 8, v2
	v_lshrrev_b32_e32 v14, 16, v2
	;; [unrolled: 1-line block ×12, first 2 shown]
	s_cmp_eq_u64 s[10:11], 0
	s_waitcnt lgkmcnt(0)
	s_barrier
	s_cbranch_scc1 .LBB307_55
; %bb.51:
	s_add_u32 s3, s4, s6
	s_addc_u32 s4, s5, s7
	s_add_u32 s2, s3, s2
	s_addc_u32 s3, s4, 0
	v_mov_b32_e32 v6, 0
	global_load_ubyte v46, v6, s[2:3] offset:-1
	s_cmp_eq_u64 s[10:11], s[12:13]
	s_cbranch_scc1 .LBB307_56
; %bb.52:
	v_cmp_ne_u32_e32 vcc, 0, v0
	s_waitcnt vmcnt(0)
	v_mov_b32_e32 v6, v46
	ds_write_b8 v0, v12
	s_waitcnt lgkmcnt(0)
	s_barrier
	s_and_saveexec_b64 s[2:3], vcc
	s_cbranch_execz .LBB307_54
; %bb.53:
	v_add_u32_e32 v6, -1, v0
	ds_read_u8 v6, v6
.LBB307_54:
	s_or_b64 exec, exec, s[2:3]
	s_waitcnt lgkmcnt(0)
	v_add_u16_e32 v6, v6, v2
	s_mov_b64 s[2:3], 0
	s_branch .LBB307_57
.LBB307_55:
                                        ; implicit-def: $vgpr6
                                        ; implicit-def: $vgpr47
                                        ; implicit-def: $vgpr45
                                        ; implicit-def: $vgpr44
                                        ; implicit-def: $vgpr43
                                        ; implicit-def: $vgpr42
                                        ; implicit-def: $vgpr41
                                        ; implicit-def: $vgpr40
                                        ; implicit-def: $vgpr39
                                        ; implicit-def: $vgpr38
                                        ; implicit-def: $vgpr37
                                        ; implicit-def: $vgpr36
                                        ; implicit-def: $vgpr34
                                        ; implicit-def: $vgpr33
                                        ; implicit-def: $vgpr32
                                        ; implicit-def: $vgpr31
                                        ; implicit-def: $vgpr30
                                        ; implicit-def: $vgpr29
                                        ; implicit-def: $vgpr28
                                        ; implicit-def: $vgpr27
                                        ; implicit-def: $vgpr26
                                        ; implicit-def: $vgpr25
                                        ; implicit-def: $vgpr35
	s_branch .LBB307_62
.LBB307_56:
	s_mov_b64 s[2:3], -1
                                        ; implicit-def: $vgpr6
.LBB307_57:
	s_and_b64 vcc, exec, s[2:3]
	v_mov_b32_e32 v47, v2
	v_mov_b32_e32 v45, v13
	;; [unrolled: 1-line block ×22, first 2 shown]
	s_cbranch_vccz .LBB307_61
; %bb.58:
	v_mul_u32_u24_e32 v6, 23, v0
	v_cmp_ne_u32_e32 vcc, 0, v0
	ds_write_b8 v0, v12
	s_waitcnt lgkmcnt(0)
	s_barrier
	s_and_saveexec_b64 s[2:3], vcc
	s_cbranch_execz .LBB307_60
; %bb.59:
	v_add_u32_e32 v25, -1, v0
	s_waitcnt vmcnt(0)
	ds_read_u8 v46, v25
.LBB307_60:
	s_or_b64 exec, exec, s[2:3]
	s_mul_i32 s2, s10, 0xfffff480
	s_add_i32 s2, s2, s54
	v_add_u32_e32 v25, 22, v6
	v_cmp_gt_u32_e32 vcc, s2, v25
	v_add_u32_e32 v25, 21, v6
	v_add_u32_e32 v26, 20, v6
	v_cndmask_b32_e32 v35, 0, v11, vcc
	v_cmp_gt_u32_e32 vcc, s2, v25
	v_add_u32_e32 v27, 19, v6
	v_add_u32_e32 v28, 18, v6
	v_cndmask_b32_e32 v25, 0, v10, vcc
	;; [unrolled: 4-line block ×10, first 2 shown]
	v_cmp_gt_u32_e32 vcc, s2, v34
	v_add_u32_e32 v47, 1, v6
	s_nop 0
	v_cndmask_b32_e32 v34, 0, v21, vcc
	v_cmp_gt_u32_e32 vcc, s2, v36
	s_nop 1
	v_cndmask_b32_e32 v36, 0, v20, vcc
	v_cmp_gt_u32_e32 vcc, s2, v37
	s_nop 1
	v_cndmask_b32_e32 v37, 0, v19, vcc
	v_cmp_gt_u32_e32 vcc, s2, v38
	s_nop 1
	v_cndmask_b32_e32 v38, 0, v4, vcc
	v_cmp_gt_u32_e32 vcc, s2, v39
	s_nop 1
	v_cndmask_b32_e32 v39, 0, v18, vcc
	v_cmp_gt_u32_e32 vcc, s2, v40
	s_nop 1
	v_cndmask_b32_e32 v40, 0, v17, vcc
	v_cmp_gt_u32_e32 vcc, s2, v41
	s_nop 1
	v_cndmask_b32_e32 v41, 0, v16, vcc
	v_cmp_gt_u32_e32 vcc, s2, v42
	s_nop 1
	v_cndmask_b32_e32 v42, 0, v3, vcc
	v_cmp_gt_u32_e32 vcc, s2, v43
	s_nop 1
	v_cndmask_b32_e32 v43, 0, v15, vcc
	v_cmp_gt_u32_e32 vcc, s2, v44
	s_nop 1
	v_cndmask_b32_e32 v44, 0, v14, vcc
	v_cmp_gt_u32_e32 vcc, s2, v45
	s_nop 1
	v_cndmask_b32_e32 v45, 0, v13, vcc
	v_cmp_gt_u32_e32 vcc, s2, v47
	s_nop 1
	v_cndmask_b32_e32 v47, 0, v2, vcc
	v_cmp_gt_u32_e32 vcc, s2, v6
	s_waitcnt vmcnt(0) lgkmcnt(0)
	s_nop 0
	v_cndmask_b32_e32 v6, 0, v46, vcc
	v_add_u16_e32 v6, v6, v2
.LBB307_61:
	s_cbranch_execnz .LBB307_72
.LBB307_62:
	s_cmp_eq_u64 s[8:9], 1
	v_cmp_ne_u32_e32 vcc, 0, v0
	s_cbranch_scc1 .LBB307_66
; %bb.63:
	v_mov_b32_e32 v6, v2
	ds_write_b8 v0, v12
	s_waitcnt lgkmcnt(0)
	s_barrier
	s_and_saveexec_b64 s[2:3], vcc
	s_cbranch_execz .LBB307_65
; %bb.64:
	v_add_u32_e32 v6, -1, v0
	ds_read_u8 v6, v6
	s_waitcnt lgkmcnt(0)
	v_add_u16_e32 v6, v6, v2
.LBB307_65:
	s_or_b64 exec, exec, s[2:3]
	s_mov_b64 s[2:3], 0
	s_branch .LBB307_67
.LBB307_66:
	s_mov_b64 s[2:3], -1
                                        ; implicit-def: $vgpr6
.LBB307_67:
	s_andn2_b64 vcc, exec, s[2:3]
	v_mov_b32_e32 v45, v13
	v_mov_b32_e32 v44, v14
	v_mov_b32_e32 v43, v15
	v_mov_b32_e32 v42, v3
	v_mov_b32_e32 v41, v16
	v_mov_b32_e32 v40, v17
	v_mov_b32_e32 v39, v18
	v_mov_b32_e32 v38, v4
	v_mov_b32_e32 v37, v19
	v_mov_b32_e32 v36, v20
	v_mov_b32_e32 v34, v21
	v_mov_b32_e32 v33, v5
	v_mov_b32_e32 v32, v22
	v_mov_b32_e32 v31, v23
	v_mov_b32_e32 v30, v24
	v_mov_b32_e32 v29, v1
	v_mov_b32_e32 v28, v7
	v_mov_b32_e32 v27, v8
	v_mov_b32_e32 v26, v9
	v_mov_b32_e32 v25, v10
	v_mov_b32_e32 v35, v11
	s_cbranch_vccnz .LBB307_71
; %bb.68:
	v_mad_u32_u24 v25, v0, 23, 22
	v_cmp_gt_u32_e32 vcc, s54, v25
	v_mad_u32_u24 v25, v0, 23, 21
	v_cmp_gt_u32_e64 s[2:3], s54, v25
	v_mad_u32_u24 v25, v0, 23, 20
	v_cmp_gt_u32_e64 s[4:5], s54, v25
	;; [unrolled: 2-line block ×18, first 2 shown]
	v_mad_u32_u24 v25, v0, 23, 3
	v_mul_u32_u24_e32 v6, 23, v0
	v_cmp_gt_u32_e64 s[40:41], s54, v25
	v_mad_u32_u24 v25, v0, 23, 2
	v_cmp_gt_u32_e64 s[42:43], s54, v25
	v_mad_u32_u24 v25, v0, 23, 1
	v_cmp_ne_u32_e64 s[46:47], 0, v0
	v_cmp_gt_u32_e64 s[48:49], s54, v6
	v_cmp_gt_u32_e64 s[44:45], s54, v25
	s_and_b64 s[48:49], s[46:47], s[48:49]
	v_mov_b32_e32 v6, v2
	ds_write_b8 v0, v12
	s_waitcnt lgkmcnt(0)
	s_barrier
	s_and_saveexec_b64 s[46:47], s[48:49]
	s_cbranch_execz .LBB307_70
; %bb.69:
	v_add_u32_e32 v6, -1, v0
	ds_read_u8 v6, v6
	s_waitcnt lgkmcnt(0)
	v_add_u16_e32 v6, v6, v2
.LBB307_70:
	s_or_b64 exec, exec, s[46:47]
	v_cndmask_b32_e32 v35, 0, v11, vcc
	v_cndmask_b32_e64 v25, 0, v10, s[2:3]
	v_cndmask_b32_e64 v26, 0, v9, s[4:5]
	;; [unrolled: 1-line block ×21, first 2 shown]
.LBB307_71:
	v_mov_b32_e32 v47, v2
.LBB307_72:
	s_add_u32 s4, s52, s50
	v_add_u16_e32 v12, v35, v12
	v_add_u16_e32 v2, v47, v13
	v_add_u16_e32 v13, v45, v14
	v_add_u16_e32 v35, v44, v15
	v_add_u16_e32 v14, v43, v3
	v_add_u16_e32 v3, v42, v16
	v_add_u16_e32 v15, v41, v17
	v_add_u16_e32 v40, v40, v18
	v_add_u16_e32 v38, v38, v19
	v_add_u16_e32 v17, v37, v20
	v_add_u16_e32 v20, v36, v21
	v_add_u16_e32 v21, v33, v22
	v_add_u16_e32 v22, v31, v24
	s_addc_u32 s5, s53, s51
	v_add_u16_e32 v16, v39, v4
	v_add_u16_e32 v18, v34, v5
	v_add_u16_e32 v19, v32, v23
	v_add_u16_e32 v4, v30, v1
	v_add_u16_e32 v5, v29, v7
	v_add_u16_e32 v7, v28, v8
	v_add_u16_e32 v8, v27, v9
	v_add_u16_e32 v9, v26, v10
	v_add_u16_e32 v10, v25, v11
	s_and_b64 vcc, exec, s[0:1]
	v_mul_u32_u24_e32 v11, 23, v0
	v_lshlrev_b16_e32 v26, 8, v21
	v_lshlrev_b16_e32 v27, 8, v22
	;; [unrolled: 1-line block ×8, first 2 shown]
	s_barrier
	s_cbranch_vccz .LBB307_118
; %bb.73:
	v_or_b32_sdwa v1, v18, v26 dst_sel:DWORD dst_unused:UNUSED_PAD src0_sel:BYTE_0 src1_sel:DWORD
	v_or_b32_sdwa v2, v19, v27 dst_sel:WORD_1 dst_unused:UNUSED_PAD src0_sel:BYTE_0 src1_sel:DWORD
	s_add_i32 s55, s55, s54
	v_or_b32_sdwa v31, v1, v2 dst_sel:DWORD dst_unused:UNUSED_PAD src0_sel:WORD_0 src1_sel:DWORD
	v_or_b32_sdwa v1, v16, v24 dst_sel:DWORD dst_unused:UNUSED_PAD src0_sel:BYTE_0 src1_sel:DWORD
	v_or_b32_sdwa v2, v17, v25 dst_sel:WORD_1 dst_unused:UNUSED_PAD src0_sel:BYTE_0 src1_sel:DWORD
	s_add_u32 s0, s4, s33
	v_or_b32_sdwa v30, v1, v2 dst_sel:DWORD dst_unused:UNUSED_PAD src0_sel:WORD_0 src1_sel:DWORD
	v_or_b32_sdwa v1, v14, v22 dst_sel:DWORD dst_unused:UNUSED_PAD src0_sel:BYTE_0 src1_sel:DWORD
	v_or_b32_sdwa v2, v15, v23 dst_sel:WORD_1 dst_unused:UNUSED_PAD src0_sel:BYTE_0 src1_sel:DWORD
	s_addc_u32 s1, s5, 0
	v_or_b32_sdwa v29, v1, v2 dst_sel:DWORD dst_unused:UNUSED_PAD src0_sel:WORD_0 src1_sel:DWORD
	v_or_b32_sdwa v1, v6, v20 dst_sel:DWORD dst_unused:UNUSED_PAD src0_sel:BYTE_0 src1_sel:DWORD
	v_or_b32_sdwa v2, v13, v21 dst_sel:WORD_1 dst_unused:UNUSED_PAD src0_sel:BYTE_0 src1_sel:DWORD
	v_cmp_gt_u32_e32 vcc, s55, v0
	v_or_b32_sdwa v28, v1, v2 dst_sel:DWORD dst_unused:UNUSED_PAD src0_sel:WORD_0 src1_sel:DWORD
	ds_write_b128 v11, v[28:31]
	ds_write_b8 v11, v4 offset:16
	ds_write_b8 v11, v5 offset:17
	;; [unrolled: 1-line block ×7, first 2 shown]
	s_waitcnt lgkmcnt(0)
	s_barrier
	ds_read_u8 v49, v0 offset:128
	ds_read_u8 v48, v0 offset:256
	;; [unrolled: 1-line block ×3, first 2 shown]
	s_waitcnt vmcnt(0)
	ds_read_u8 v46, v0 offset:512
	ds_read_u8 v45, v0 offset:640
	;; [unrolled: 1-line block ×19, first 2 shown]
	v_mov_b32_e32 v1, 0
	v_lshl_add_u64 v[2:3], s[0:1], 0, v[0:1]
	s_and_saveexec_b64 s[0:1], vcc
	s_cbranch_execz .LBB307_75
; %bb.74:
	ds_read_u8 v1, v0
	s_waitcnt lgkmcnt(0)
	global_store_byte v[2:3], v1, off
.LBB307_75:
	s_or_b64 exec, exec, s[0:1]
	v_or_b32_e32 v1, 0x80, v0
	v_cmp_gt_u32_e32 vcc, s55, v1
	s_and_saveexec_b64 s[0:1], vcc
	s_cbranch_execz .LBB307_77
; %bb.76:
	s_waitcnt lgkmcnt(14)
	global_store_byte v[2:3], v49, off offset:128
.LBB307_77:
	s_or_b64 exec, exec, s[0:1]
	v_or_b32_e32 v1, 0x100, v0
	v_cmp_gt_u32_e32 vcc, s55, v1
	s_and_saveexec_b64 s[0:1], vcc
	s_cbranch_execz .LBB307_79
; %bb.78:
	s_waitcnt lgkmcnt(14)
	global_store_byte v[2:3], v48, off offset:256
.LBB307_79:
	;; [unrolled: 9-line block ×21, first 2 shown]
	s_or_b64 exec, exec, s[0:1]
	v_or_b32_e32 v1, 0xb00, v0
	v_cmp_gt_u32_e64 s[0:1], s55, v1
	s_branch .LBB307_120
.LBB307_118:
	s_mov_b64 s[0:1], 0
                                        ; implicit-def: $vgpr28
                                        ; implicit-def: $vgpr2_vgpr3
	s_cbranch_execz .LBB307_120
; %bb.119:
	v_or_b32_sdwa v1, v18, v26 dst_sel:DWORD dst_unused:UNUSED_PAD src0_sel:BYTE_0 src1_sel:DWORD
	v_or_b32_sdwa v2, v19, v27 dst_sel:WORD_1 dst_unused:UNUSED_PAD src0_sel:BYTE_0 src1_sel:DWORD
	s_add_u32 s2, s4, s33
	v_or_b32_sdwa v19, v1, v2 dst_sel:DWORD dst_unused:UNUSED_PAD src0_sel:WORD_0 src1_sel:DWORD
	v_or_b32_sdwa v1, v16, v24 dst_sel:DWORD dst_unused:UNUSED_PAD src0_sel:BYTE_0 src1_sel:DWORD
	v_or_b32_sdwa v2, v17, v25 dst_sel:WORD_1 dst_unused:UNUSED_PAD src0_sel:BYTE_0 src1_sel:DWORD
	s_addc_u32 s3, s5, 0
	v_or_b32_sdwa v18, v1, v2 dst_sel:DWORD dst_unused:UNUSED_PAD src0_sel:WORD_0 src1_sel:DWORD
	v_or_b32_sdwa v1, v14, v22 dst_sel:DWORD dst_unused:UNUSED_PAD src0_sel:BYTE_0 src1_sel:DWORD
	v_or_b32_sdwa v2, v15, v23 dst_sel:WORD_1 dst_unused:UNUSED_PAD src0_sel:BYTE_0 src1_sel:DWORD
	s_or_b64 s[0:1], s[0:1], exec
	v_or_b32_sdwa v17, v1, v2 dst_sel:DWORD dst_unused:UNUSED_PAD src0_sel:WORD_0 src1_sel:DWORD
	v_or_b32_sdwa v1, v6, v20 dst_sel:DWORD dst_unused:UNUSED_PAD src0_sel:BYTE_0 src1_sel:DWORD
	v_or_b32_sdwa v2, v13, v21 dst_sel:WORD_1 dst_unused:UNUSED_PAD src0_sel:BYTE_0 src1_sel:DWORD
	s_nop 0
	v_or_b32_sdwa v16, v1, v2 dst_sel:DWORD dst_unused:UNUSED_PAD src0_sel:WORD_0 src1_sel:DWORD
	ds_write_b128 v11, v[16:19]
	ds_write_b8 v11, v4 offset:16
	ds_write_b8 v11, v5 offset:17
	;; [unrolled: 1-line block ×7, first 2 shown]
	s_waitcnt lgkmcnt(0)
	s_barrier
	ds_read_u8 v4, v0
	ds_read_u8 v5, v0 offset:128
	ds_read_u8 v6, v0 offset:256
	;; [unrolled: 1-line block ×22, first 2 shown]
	v_mov_b32_e32 v1, 0
	v_lshl_add_u64 v[2:3], s[2:3], 0, v[0:1]
	s_waitcnt lgkmcnt(14)
	global_store_byte v0, v4, s[2:3]
	global_store_byte v0, v5, s[2:3] offset:128
	global_store_byte v0, v6, s[2:3] offset:256
	;; [unrolled: 1-line block ×8, first 2 shown]
	s_waitcnt lgkmcnt(13)
	global_store_byte v0, v13, s[2:3] offset:1152
	s_waitcnt lgkmcnt(12)
	global_store_byte v0, v14, s[2:3] offset:1280
	;; [unrolled: 2-line block ×13, first 2 shown]
.LBB307_120:
	s_and_saveexec_b64 s[2:3], s[0:1]
	s_cbranch_execnz .LBB307_122
; %bb.121:
	s_endpgm
.LBB307_122:
	s_waitcnt lgkmcnt(0)
	global_store_byte v[2:3], v28, off offset:2816
	s_endpgm
	.section	.rodata,"a",@progbits
	.p2align	6, 0x0
	.amdhsa_kernel _ZN7rocprim17ROCPRIM_400000_NS6detail17trampoline_kernelINS0_14default_configENS1_35adjacent_difference_config_selectorILb1EhEEZNS1_24adjacent_difference_implIS3_Lb1ELb0EPhS7_N6thrust23THRUST_200600_302600_NS4plusIhEEEE10hipError_tPvRmT2_T3_mT4_P12ihipStream_tbEUlT_E_NS1_11comp_targetILNS1_3genE5ELNS1_11target_archE942ELNS1_3gpuE9ELNS1_3repE0EEENS1_30default_config_static_selectorELNS0_4arch9wavefront6targetE1EEEvT1_
		.amdhsa_group_segment_fixed_size 2944
		.amdhsa_private_segment_fixed_size 0
		.amdhsa_kernarg_size 56
		.amdhsa_user_sgpr_count 2
		.amdhsa_user_sgpr_dispatch_ptr 0
		.amdhsa_user_sgpr_queue_ptr 0
		.amdhsa_user_sgpr_kernarg_segment_ptr 1
		.amdhsa_user_sgpr_dispatch_id 0
		.amdhsa_user_sgpr_kernarg_preload_length 0
		.amdhsa_user_sgpr_kernarg_preload_offset 0
		.amdhsa_user_sgpr_private_segment_size 0
		.amdhsa_uses_dynamic_stack 0
		.amdhsa_enable_private_segment 0
		.amdhsa_system_sgpr_workgroup_id_x 1
		.amdhsa_system_sgpr_workgroup_id_y 0
		.amdhsa_system_sgpr_workgroup_id_z 0
		.amdhsa_system_sgpr_workgroup_info 0
		.amdhsa_system_vgpr_workitem_id 0
		.amdhsa_next_free_vgpr 50
		.amdhsa_next_free_sgpr 56
		.amdhsa_accum_offset 52
		.amdhsa_reserve_vcc 1
		.amdhsa_float_round_mode_32 0
		.amdhsa_float_round_mode_16_64 0
		.amdhsa_float_denorm_mode_32 3
		.amdhsa_float_denorm_mode_16_64 3
		.amdhsa_dx10_clamp 1
		.amdhsa_ieee_mode 1
		.amdhsa_fp16_overflow 0
		.amdhsa_tg_split 0
		.amdhsa_exception_fp_ieee_invalid_op 0
		.amdhsa_exception_fp_denorm_src 0
		.amdhsa_exception_fp_ieee_div_zero 0
		.amdhsa_exception_fp_ieee_overflow 0
		.amdhsa_exception_fp_ieee_underflow 0
		.amdhsa_exception_fp_ieee_inexact 0
		.amdhsa_exception_int_div_zero 0
	.end_amdhsa_kernel
	.section	.text._ZN7rocprim17ROCPRIM_400000_NS6detail17trampoline_kernelINS0_14default_configENS1_35adjacent_difference_config_selectorILb1EhEEZNS1_24adjacent_difference_implIS3_Lb1ELb0EPhS7_N6thrust23THRUST_200600_302600_NS4plusIhEEEE10hipError_tPvRmT2_T3_mT4_P12ihipStream_tbEUlT_E_NS1_11comp_targetILNS1_3genE5ELNS1_11target_archE942ELNS1_3gpuE9ELNS1_3repE0EEENS1_30default_config_static_selectorELNS0_4arch9wavefront6targetE1EEEvT1_,"axG",@progbits,_ZN7rocprim17ROCPRIM_400000_NS6detail17trampoline_kernelINS0_14default_configENS1_35adjacent_difference_config_selectorILb1EhEEZNS1_24adjacent_difference_implIS3_Lb1ELb0EPhS7_N6thrust23THRUST_200600_302600_NS4plusIhEEEE10hipError_tPvRmT2_T3_mT4_P12ihipStream_tbEUlT_E_NS1_11comp_targetILNS1_3genE5ELNS1_11target_archE942ELNS1_3gpuE9ELNS1_3repE0EEENS1_30default_config_static_selectorELNS0_4arch9wavefront6targetE1EEEvT1_,comdat
.Lfunc_end307:
	.size	_ZN7rocprim17ROCPRIM_400000_NS6detail17trampoline_kernelINS0_14default_configENS1_35adjacent_difference_config_selectorILb1EhEEZNS1_24adjacent_difference_implIS3_Lb1ELb0EPhS7_N6thrust23THRUST_200600_302600_NS4plusIhEEEE10hipError_tPvRmT2_T3_mT4_P12ihipStream_tbEUlT_E_NS1_11comp_targetILNS1_3genE5ELNS1_11target_archE942ELNS1_3gpuE9ELNS1_3repE0EEENS1_30default_config_static_selectorELNS0_4arch9wavefront6targetE1EEEvT1_, .Lfunc_end307-_ZN7rocprim17ROCPRIM_400000_NS6detail17trampoline_kernelINS0_14default_configENS1_35adjacent_difference_config_selectorILb1EhEEZNS1_24adjacent_difference_implIS3_Lb1ELb0EPhS7_N6thrust23THRUST_200600_302600_NS4plusIhEEEE10hipError_tPvRmT2_T3_mT4_P12ihipStream_tbEUlT_E_NS1_11comp_targetILNS1_3genE5ELNS1_11target_archE942ELNS1_3gpuE9ELNS1_3repE0EEENS1_30default_config_static_selectorELNS0_4arch9wavefront6targetE1EEEvT1_
                                        ; -- End function
	.section	.AMDGPU.csdata,"",@progbits
; Kernel info:
; codeLenInByte = 5384
; NumSgprs: 62
; NumVgprs: 50
; NumAgprs: 0
; TotalNumVgprs: 50
; ScratchSize: 0
; MemoryBound: 0
; FloatMode: 240
; IeeeMode: 1
; LDSByteSize: 2944 bytes/workgroup (compile time only)
; SGPRBlocks: 7
; VGPRBlocks: 6
; NumSGPRsForWavesPerEU: 62
; NumVGPRsForWavesPerEU: 50
; AccumOffset: 52
; Occupancy: 8
; WaveLimiterHint : 1
; COMPUTE_PGM_RSRC2:SCRATCH_EN: 0
; COMPUTE_PGM_RSRC2:USER_SGPR: 2
; COMPUTE_PGM_RSRC2:TRAP_HANDLER: 0
; COMPUTE_PGM_RSRC2:TGID_X_EN: 1
; COMPUTE_PGM_RSRC2:TGID_Y_EN: 0
; COMPUTE_PGM_RSRC2:TGID_Z_EN: 0
; COMPUTE_PGM_RSRC2:TIDIG_COMP_CNT: 0
; COMPUTE_PGM_RSRC3_GFX90A:ACCUM_OFFSET: 12
; COMPUTE_PGM_RSRC3_GFX90A:TG_SPLIT: 0
	.section	.text._ZN7rocprim17ROCPRIM_400000_NS6detail17trampoline_kernelINS0_14default_configENS1_35adjacent_difference_config_selectorILb1EhEEZNS1_24adjacent_difference_implIS3_Lb1ELb0EPhS7_N6thrust23THRUST_200600_302600_NS4plusIhEEEE10hipError_tPvRmT2_T3_mT4_P12ihipStream_tbEUlT_E_NS1_11comp_targetILNS1_3genE4ELNS1_11target_archE910ELNS1_3gpuE8ELNS1_3repE0EEENS1_30default_config_static_selectorELNS0_4arch9wavefront6targetE1EEEvT1_,"axG",@progbits,_ZN7rocprim17ROCPRIM_400000_NS6detail17trampoline_kernelINS0_14default_configENS1_35adjacent_difference_config_selectorILb1EhEEZNS1_24adjacent_difference_implIS3_Lb1ELb0EPhS7_N6thrust23THRUST_200600_302600_NS4plusIhEEEE10hipError_tPvRmT2_T3_mT4_P12ihipStream_tbEUlT_E_NS1_11comp_targetILNS1_3genE4ELNS1_11target_archE910ELNS1_3gpuE8ELNS1_3repE0EEENS1_30default_config_static_selectorELNS0_4arch9wavefront6targetE1EEEvT1_,comdat
	.protected	_ZN7rocprim17ROCPRIM_400000_NS6detail17trampoline_kernelINS0_14default_configENS1_35adjacent_difference_config_selectorILb1EhEEZNS1_24adjacent_difference_implIS3_Lb1ELb0EPhS7_N6thrust23THRUST_200600_302600_NS4plusIhEEEE10hipError_tPvRmT2_T3_mT4_P12ihipStream_tbEUlT_E_NS1_11comp_targetILNS1_3genE4ELNS1_11target_archE910ELNS1_3gpuE8ELNS1_3repE0EEENS1_30default_config_static_selectorELNS0_4arch9wavefront6targetE1EEEvT1_ ; -- Begin function _ZN7rocprim17ROCPRIM_400000_NS6detail17trampoline_kernelINS0_14default_configENS1_35adjacent_difference_config_selectorILb1EhEEZNS1_24adjacent_difference_implIS3_Lb1ELb0EPhS7_N6thrust23THRUST_200600_302600_NS4plusIhEEEE10hipError_tPvRmT2_T3_mT4_P12ihipStream_tbEUlT_E_NS1_11comp_targetILNS1_3genE4ELNS1_11target_archE910ELNS1_3gpuE8ELNS1_3repE0EEENS1_30default_config_static_selectorELNS0_4arch9wavefront6targetE1EEEvT1_
	.globl	_ZN7rocprim17ROCPRIM_400000_NS6detail17trampoline_kernelINS0_14default_configENS1_35adjacent_difference_config_selectorILb1EhEEZNS1_24adjacent_difference_implIS3_Lb1ELb0EPhS7_N6thrust23THRUST_200600_302600_NS4plusIhEEEE10hipError_tPvRmT2_T3_mT4_P12ihipStream_tbEUlT_E_NS1_11comp_targetILNS1_3genE4ELNS1_11target_archE910ELNS1_3gpuE8ELNS1_3repE0EEENS1_30default_config_static_selectorELNS0_4arch9wavefront6targetE1EEEvT1_
	.p2align	8
	.type	_ZN7rocprim17ROCPRIM_400000_NS6detail17trampoline_kernelINS0_14default_configENS1_35adjacent_difference_config_selectorILb1EhEEZNS1_24adjacent_difference_implIS3_Lb1ELb0EPhS7_N6thrust23THRUST_200600_302600_NS4plusIhEEEE10hipError_tPvRmT2_T3_mT4_P12ihipStream_tbEUlT_E_NS1_11comp_targetILNS1_3genE4ELNS1_11target_archE910ELNS1_3gpuE8ELNS1_3repE0EEENS1_30default_config_static_selectorELNS0_4arch9wavefront6targetE1EEEvT1_,@function
_ZN7rocprim17ROCPRIM_400000_NS6detail17trampoline_kernelINS0_14default_configENS1_35adjacent_difference_config_selectorILb1EhEEZNS1_24adjacent_difference_implIS3_Lb1ELb0EPhS7_N6thrust23THRUST_200600_302600_NS4plusIhEEEE10hipError_tPvRmT2_T3_mT4_P12ihipStream_tbEUlT_E_NS1_11comp_targetILNS1_3genE4ELNS1_11target_archE910ELNS1_3gpuE8ELNS1_3repE0EEENS1_30default_config_static_selectorELNS0_4arch9wavefront6targetE1EEEvT1_: ; @_ZN7rocprim17ROCPRIM_400000_NS6detail17trampoline_kernelINS0_14default_configENS1_35adjacent_difference_config_selectorILb1EhEEZNS1_24adjacent_difference_implIS3_Lb1ELb0EPhS7_N6thrust23THRUST_200600_302600_NS4plusIhEEEE10hipError_tPvRmT2_T3_mT4_P12ihipStream_tbEUlT_E_NS1_11comp_targetILNS1_3genE4ELNS1_11target_archE910ELNS1_3gpuE8ELNS1_3repE0EEENS1_30default_config_static_selectorELNS0_4arch9wavefront6targetE1EEEvT1_
; %bb.0:
	.section	.rodata,"a",@progbits
	.p2align	6, 0x0
	.amdhsa_kernel _ZN7rocprim17ROCPRIM_400000_NS6detail17trampoline_kernelINS0_14default_configENS1_35adjacent_difference_config_selectorILb1EhEEZNS1_24adjacent_difference_implIS3_Lb1ELb0EPhS7_N6thrust23THRUST_200600_302600_NS4plusIhEEEE10hipError_tPvRmT2_T3_mT4_P12ihipStream_tbEUlT_E_NS1_11comp_targetILNS1_3genE4ELNS1_11target_archE910ELNS1_3gpuE8ELNS1_3repE0EEENS1_30default_config_static_selectorELNS0_4arch9wavefront6targetE1EEEvT1_
		.amdhsa_group_segment_fixed_size 0
		.amdhsa_private_segment_fixed_size 0
		.amdhsa_kernarg_size 56
		.amdhsa_user_sgpr_count 2
		.amdhsa_user_sgpr_dispatch_ptr 0
		.amdhsa_user_sgpr_queue_ptr 0
		.amdhsa_user_sgpr_kernarg_segment_ptr 1
		.amdhsa_user_sgpr_dispatch_id 0
		.amdhsa_user_sgpr_kernarg_preload_length 0
		.amdhsa_user_sgpr_kernarg_preload_offset 0
		.amdhsa_user_sgpr_private_segment_size 0
		.amdhsa_uses_dynamic_stack 0
		.amdhsa_enable_private_segment 0
		.amdhsa_system_sgpr_workgroup_id_x 1
		.amdhsa_system_sgpr_workgroup_id_y 0
		.amdhsa_system_sgpr_workgroup_id_z 0
		.amdhsa_system_sgpr_workgroup_info 0
		.amdhsa_system_vgpr_workitem_id 0
		.amdhsa_next_free_vgpr 1
		.amdhsa_next_free_sgpr 0
		.amdhsa_accum_offset 4
		.amdhsa_reserve_vcc 0
		.amdhsa_float_round_mode_32 0
		.amdhsa_float_round_mode_16_64 0
		.amdhsa_float_denorm_mode_32 3
		.amdhsa_float_denorm_mode_16_64 3
		.amdhsa_dx10_clamp 1
		.amdhsa_ieee_mode 1
		.amdhsa_fp16_overflow 0
		.amdhsa_tg_split 0
		.amdhsa_exception_fp_ieee_invalid_op 0
		.amdhsa_exception_fp_denorm_src 0
		.amdhsa_exception_fp_ieee_div_zero 0
		.amdhsa_exception_fp_ieee_overflow 0
		.amdhsa_exception_fp_ieee_underflow 0
		.amdhsa_exception_fp_ieee_inexact 0
		.amdhsa_exception_int_div_zero 0
	.end_amdhsa_kernel
	.section	.text._ZN7rocprim17ROCPRIM_400000_NS6detail17trampoline_kernelINS0_14default_configENS1_35adjacent_difference_config_selectorILb1EhEEZNS1_24adjacent_difference_implIS3_Lb1ELb0EPhS7_N6thrust23THRUST_200600_302600_NS4plusIhEEEE10hipError_tPvRmT2_T3_mT4_P12ihipStream_tbEUlT_E_NS1_11comp_targetILNS1_3genE4ELNS1_11target_archE910ELNS1_3gpuE8ELNS1_3repE0EEENS1_30default_config_static_selectorELNS0_4arch9wavefront6targetE1EEEvT1_,"axG",@progbits,_ZN7rocprim17ROCPRIM_400000_NS6detail17trampoline_kernelINS0_14default_configENS1_35adjacent_difference_config_selectorILb1EhEEZNS1_24adjacent_difference_implIS3_Lb1ELb0EPhS7_N6thrust23THRUST_200600_302600_NS4plusIhEEEE10hipError_tPvRmT2_T3_mT4_P12ihipStream_tbEUlT_E_NS1_11comp_targetILNS1_3genE4ELNS1_11target_archE910ELNS1_3gpuE8ELNS1_3repE0EEENS1_30default_config_static_selectorELNS0_4arch9wavefront6targetE1EEEvT1_,comdat
.Lfunc_end308:
	.size	_ZN7rocprim17ROCPRIM_400000_NS6detail17trampoline_kernelINS0_14default_configENS1_35adjacent_difference_config_selectorILb1EhEEZNS1_24adjacent_difference_implIS3_Lb1ELb0EPhS7_N6thrust23THRUST_200600_302600_NS4plusIhEEEE10hipError_tPvRmT2_T3_mT4_P12ihipStream_tbEUlT_E_NS1_11comp_targetILNS1_3genE4ELNS1_11target_archE910ELNS1_3gpuE8ELNS1_3repE0EEENS1_30default_config_static_selectorELNS0_4arch9wavefront6targetE1EEEvT1_, .Lfunc_end308-_ZN7rocprim17ROCPRIM_400000_NS6detail17trampoline_kernelINS0_14default_configENS1_35adjacent_difference_config_selectorILb1EhEEZNS1_24adjacent_difference_implIS3_Lb1ELb0EPhS7_N6thrust23THRUST_200600_302600_NS4plusIhEEEE10hipError_tPvRmT2_T3_mT4_P12ihipStream_tbEUlT_E_NS1_11comp_targetILNS1_3genE4ELNS1_11target_archE910ELNS1_3gpuE8ELNS1_3repE0EEENS1_30default_config_static_selectorELNS0_4arch9wavefront6targetE1EEEvT1_
                                        ; -- End function
	.section	.AMDGPU.csdata,"",@progbits
; Kernel info:
; codeLenInByte = 0
; NumSgprs: 6
; NumVgprs: 0
; NumAgprs: 0
; TotalNumVgprs: 0
; ScratchSize: 0
; MemoryBound: 0
; FloatMode: 240
; IeeeMode: 1
; LDSByteSize: 0 bytes/workgroup (compile time only)
; SGPRBlocks: 0
; VGPRBlocks: 0
; NumSGPRsForWavesPerEU: 6
; NumVGPRsForWavesPerEU: 1
; AccumOffset: 4
; Occupancy: 8
; WaveLimiterHint : 0
; COMPUTE_PGM_RSRC2:SCRATCH_EN: 0
; COMPUTE_PGM_RSRC2:USER_SGPR: 2
; COMPUTE_PGM_RSRC2:TRAP_HANDLER: 0
; COMPUTE_PGM_RSRC2:TGID_X_EN: 1
; COMPUTE_PGM_RSRC2:TGID_Y_EN: 0
; COMPUTE_PGM_RSRC2:TGID_Z_EN: 0
; COMPUTE_PGM_RSRC2:TIDIG_COMP_CNT: 0
; COMPUTE_PGM_RSRC3_GFX90A:ACCUM_OFFSET: 0
; COMPUTE_PGM_RSRC3_GFX90A:TG_SPLIT: 0
	.section	.text._ZN7rocprim17ROCPRIM_400000_NS6detail17trampoline_kernelINS0_14default_configENS1_35adjacent_difference_config_selectorILb1EhEEZNS1_24adjacent_difference_implIS3_Lb1ELb0EPhS7_N6thrust23THRUST_200600_302600_NS4plusIhEEEE10hipError_tPvRmT2_T3_mT4_P12ihipStream_tbEUlT_E_NS1_11comp_targetILNS1_3genE3ELNS1_11target_archE908ELNS1_3gpuE7ELNS1_3repE0EEENS1_30default_config_static_selectorELNS0_4arch9wavefront6targetE1EEEvT1_,"axG",@progbits,_ZN7rocprim17ROCPRIM_400000_NS6detail17trampoline_kernelINS0_14default_configENS1_35adjacent_difference_config_selectorILb1EhEEZNS1_24adjacent_difference_implIS3_Lb1ELb0EPhS7_N6thrust23THRUST_200600_302600_NS4plusIhEEEE10hipError_tPvRmT2_T3_mT4_P12ihipStream_tbEUlT_E_NS1_11comp_targetILNS1_3genE3ELNS1_11target_archE908ELNS1_3gpuE7ELNS1_3repE0EEENS1_30default_config_static_selectorELNS0_4arch9wavefront6targetE1EEEvT1_,comdat
	.protected	_ZN7rocprim17ROCPRIM_400000_NS6detail17trampoline_kernelINS0_14default_configENS1_35adjacent_difference_config_selectorILb1EhEEZNS1_24adjacent_difference_implIS3_Lb1ELb0EPhS7_N6thrust23THRUST_200600_302600_NS4plusIhEEEE10hipError_tPvRmT2_T3_mT4_P12ihipStream_tbEUlT_E_NS1_11comp_targetILNS1_3genE3ELNS1_11target_archE908ELNS1_3gpuE7ELNS1_3repE0EEENS1_30default_config_static_selectorELNS0_4arch9wavefront6targetE1EEEvT1_ ; -- Begin function _ZN7rocprim17ROCPRIM_400000_NS6detail17trampoline_kernelINS0_14default_configENS1_35adjacent_difference_config_selectorILb1EhEEZNS1_24adjacent_difference_implIS3_Lb1ELb0EPhS7_N6thrust23THRUST_200600_302600_NS4plusIhEEEE10hipError_tPvRmT2_T3_mT4_P12ihipStream_tbEUlT_E_NS1_11comp_targetILNS1_3genE3ELNS1_11target_archE908ELNS1_3gpuE7ELNS1_3repE0EEENS1_30default_config_static_selectorELNS0_4arch9wavefront6targetE1EEEvT1_
	.globl	_ZN7rocprim17ROCPRIM_400000_NS6detail17trampoline_kernelINS0_14default_configENS1_35adjacent_difference_config_selectorILb1EhEEZNS1_24adjacent_difference_implIS3_Lb1ELb0EPhS7_N6thrust23THRUST_200600_302600_NS4plusIhEEEE10hipError_tPvRmT2_T3_mT4_P12ihipStream_tbEUlT_E_NS1_11comp_targetILNS1_3genE3ELNS1_11target_archE908ELNS1_3gpuE7ELNS1_3repE0EEENS1_30default_config_static_selectorELNS0_4arch9wavefront6targetE1EEEvT1_
	.p2align	8
	.type	_ZN7rocprim17ROCPRIM_400000_NS6detail17trampoline_kernelINS0_14default_configENS1_35adjacent_difference_config_selectorILb1EhEEZNS1_24adjacent_difference_implIS3_Lb1ELb0EPhS7_N6thrust23THRUST_200600_302600_NS4plusIhEEEE10hipError_tPvRmT2_T3_mT4_P12ihipStream_tbEUlT_E_NS1_11comp_targetILNS1_3genE3ELNS1_11target_archE908ELNS1_3gpuE7ELNS1_3repE0EEENS1_30default_config_static_selectorELNS0_4arch9wavefront6targetE1EEEvT1_,@function
_ZN7rocprim17ROCPRIM_400000_NS6detail17trampoline_kernelINS0_14default_configENS1_35adjacent_difference_config_selectorILb1EhEEZNS1_24adjacent_difference_implIS3_Lb1ELb0EPhS7_N6thrust23THRUST_200600_302600_NS4plusIhEEEE10hipError_tPvRmT2_T3_mT4_P12ihipStream_tbEUlT_E_NS1_11comp_targetILNS1_3genE3ELNS1_11target_archE908ELNS1_3gpuE7ELNS1_3repE0EEENS1_30default_config_static_selectorELNS0_4arch9wavefront6targetE1EEEvT1_: ; @_ZN7rocprim17ROCPRIM_400000_NS6detail17trampoline_kernelINS0_14default_configENS1_35adjacent_difference_config_selectorILb1EhEEZNS1_24adjacent_difference_implIS3_Lb1ELb0EPhS7_N6thrust23THRUST_200600_302600_NS4plusIhEEEE10hipError_tPvRmT2_T3_mT4_P12ihipStream_tbEUlT_E_NS1_11comp_targetILNS1_3genE3ELNS1_11target_archE908ELNS1_3gpuE7ELNS1_3repE0EEENS1_30default_config_static_selectorELNS0_4arch9wavefront6targetE1EEEvT1_
; %bb.0:
	.section	.rodata,"a",@progbits
	.p2align	6, 0x0
	.amdhsa_kernel _ZN7rocprim17ROCPRIM_400000_NS6detail17trampoline_kernelINS0_14default_configENS1_35adjacent_difference_config_selectorILb1EhEEZNS1_24adjacent_difference_implIS3_Lb1ELb0EPhS7_N6thrust23THRUST_200600_302600_NS4plusIhEEEE10hipError_tPvRmT2_T3_mT4_P12ihipStream_tbEUlT_E_NS1_11comp_targetILNS1_3genE3ELNS1_11target_archE908ELNS1_3gpuE7ELNS1_3repE0EEENS1_30default_config_static_selectorELNS0_4arch9wavefront6targetE1EEEvT1_
		.amdhsa_group_segment_fixed_size 0
		.amdhsa_private_segment_fixed_size 0
		.amdhsa_kernarg_size 56
		.amdhsa_user_sgpr_count 2
		.amdhsa_user_sgpr_dispatch_ptr 0
		.amdhsa_user_sgpr_queue_ptr 0
		.amdhsa_user_sgpr_kernarg_segment_ptr 1
		.amdhsa_user_sgpr_dispatch_id 0
		.amdhsa_user_sgpr_kernarg_preload_length 0
		.amdhsa_user_sgpr_kernarg_preload_offset 0
		.amdhsa_user_sgpr_private_segment_size 0
		.amdhsa_uses_dynamic_stack 0
		.amdhsa_enable_private_segment 0
		.amdhsa_system_sgpr_workgroup_id_x 1
		.amdhsa_system_sgpr_workgroup_id_y 0
		.amdhsa_system_sgpr_workgroup_id_z 0
		.amdhsa_system_sgpr_workgroup_info 0
		.amdhsa_system_vgpr_workitem_id 0
		.amdhsa_next_free_vgpr 1
		.amdhsa_next_free_sgpr 0
		.amdhsa_accum_offset 4
		.amdhsa_reserve_vcc 0
		.amdhsa_float_round_mode_32 0
		.amdhsa_float_round_mode_16_64 0
		.amdhsa_float_denorm_mode_32 3
		.amdhsa_float_denorm_mode_16_64 3
		.amdhsa_dx10_clamp 1
		.amdhsa_ieee_mode 1
		.amdhsa_fp16_overflow 0
		.amdhsa_tg_split 0
		.amdhsa_exception_fp_ieee_invalid_op 0
		.amdhsa_exception_fp_denorm_src 0
		.amdhsa_exception_fp_ieee_div_zero 0
		.amdhsa_exception_fp_ieee_overflow 0
		.amdhsa_exception_fp_ieee_underflow 0
		.amdhsa_exception_fp_ieee_inexact 0
		.amdhsa_exception_int_div_zero 0
	.end_amdhsa_kernel
	.section	.text._ZN7rocprim17ROCPRIM_400000_NS6detail17trampoline_kernelINS0_14default_configENS1_35adjacent_difference_config_selectorILb1EhEEZNS1_24adjacent_difference_implIS3_Lb1ELb0EPhS7_N6thrust23THRUST_200600_302600_NS4plusIhEEEE10hipError_tPvRmT2_T3_mT4_P12ihipStream_tbEUlT_E_NS1_11comp_targetILNS1_3genE3ELNS1_11target_archE908ELNS1_3gpuE7ELNS1_3repE0EEENS1_30default_config_static_selectorELNS0_4arch9wavefront6targetE1EEEvT1_,"axG",@progbits,_ZN7rocprim17ROCPRIM_400000_NS6detail17trampoline_kernelINS0_14default_configENS1_35adjacent_difference_config_selectorILb1EhEEZNS1_24adjacent_difference_implIS3_Lb1ELb0EPhS7_N6thrust23THRUST_200600_302600_NS4plusIhEEEE10hipError_tPvRmT2_T3_mT4_P12ihipStream_tbEUlT_E_NS1_11comp_targetILNS1_3genE3ELNS1_11target_archE908ELNS1_3gpuE7ELNS1_3repE0EEENS1_30default_config_static_selectorELNS0_4arch9wavefront6targetE1EEEvT1_,comdat
.Lfunc_end309:
	.size	_ZN7rocprim17ROCPRIM_400000_NS6detail17trampoline_kernelINS0_14default_configENS1_35adjacent_difference_config_selectorILb1EhEEZNS1_24adjacent_difference_implIS3_Lb1ELb0EPhS7_N6thrust23THRUST_200600_302600_NS4plusIhEEEE10hipError_tPvRmT2_T3_mT4_P12ihipStream_tbEUlT_E_NS1_11comp_targetILNS1_3genE3ELNS1_11target_archE908ELNS1_3gpuE7ELNS1_3repE0EEENS1_30default_config_static_selectorELNS0_4arch9wavefront6targetE1EEEvT1_, .Lfunc_end309-_ZN7rocprim17ROCPRIM_400000_NS6detail17trampoline_kernelINS0_14default_configENS1_35adjacent_difference_config_selectorILb1EhEEZNS1_24adjacent_difference_implIS3_Lb1ELb0EPhS7_N6thrust23THRUST_200600_302600_NS4plusIhEEEE10hipError_tPvRmT2_T3_mT4_P12ihipStream_tbEUlT_E_NS1_11comp_targetILNS1_3genE3ELNS1_11target_archE908ELNS1_3gpuE7ELNS1_3repE0EEENS1_30default_config_static_selectorELNS0_4arch9wavefront6targetE1EEEvT1_
                                        ; -- End function
	.section	.AMDGPU.csdata,"",@progbits
; Kernel info:
; codeLenInByte = 0
; NumSgprs: 6
; NumVgprs: 0
; NumAgprs: 0
; TotalNumVgprs: 0
; ScratchSize: 0
; MemoryBound: 0
; FloatMode: 240
; IeeeMode: 1
; LDSByteSize: 0 bytes/workgroup (compile time only)
; SGPRBlocks: 0
; VGPRBlocks: 0
; NumSGPRsForWavesPerEU: 6
; NumVGPRsForWavesPerEU: 1
; AccumOffset: 4
; Occupancy: 8
; WaveLimiterHint : 0
; COMPUTE_PGM_RSRC2:SCRATCH_EN: 0
; COMPUTE_PGM_RSRC2:USER_SGPR: 2
; COMPUTE_PGM_RSRC2:TRAP_HANDLER: 0
; COMPUTE_PGM_RSRC2:TGID_X_EN: 1
; COMPUTE_PGM_RSRC2:TGID_Y_EN: 0
; COMPUTE_PGM_RSRC2:TGID_Z_EN: 0
; COMPUTE_PGM_RSRC2:TIDIG_COMP_CNT: 0
; COMPUTE_PGM_RSRC3_GFX90A:ACCUM_OFFSET: 0
; COMPUTE_PGM_RSRC3_GFX90A:TG_SPLIT: 0
	.section	.text._ZN7rocprim17ROCPRIM_400000_NS6detail17trampoline_kernelINS0_14default_configENS1_35adjacent_difference_config_selectorILb1EhEEZNS1_24adjacent_difference_implIS3_Lb1ELb0EPhS7_N6thrust23THRUST_200600_302600_NS4plusIhEEEE10hipError_tPvRmT2_T3_mT4_P12ihipStream_tbEUlT_E_NS1_11comp_targetILNS1_3genE2ELNS1_11target_archE906ELNS1_3gpuE6ELNS1_3repE0EEENS1_30default_config_static_selectorELNS0_4arch9wavefront6targetE1EEEvT1_,"axG",@progbits,_ZN7rocprim17ROCPRIM_400000_NS6detail17trampoline_kernelINS0_14default_configENS1_35adjacent_difference_config_selectorILb1EhEEZNS1_24adjacent_difference_implIS3_Lb1ELb0EPhS7_N6thrust23THRUST_200600_302600_NS4plusIhEEEE10hipError_tPvRmT2_T3_mT4_P12ihipStream_tbEUlT_E_NS1_11comp_targetILNS1_3genE2ELNS1_11target_archE906ELNS1_3gpuE6ELNS1_3repE0EEENS1_30default_config_static_selectorELNS0_4arch9wavefront6targetE1EEEvT1_,comdat
	.protected	_ZN7rocprim17ROCPRIM_400000_NS6detail17trampoline_kernelINS0_14default_configENS1_35adjacent_difference_config_selectorILb1EhEEZNS1_24adjacent_difference_implIS3_Lb1ELb0EPhS7_N6thrust23THRUST_200600_302600_NS4plusIhEEEE10hipError_tPvRmT2_T3_mT4_P12ihipStream_tbEUlT_E_NS1_11comp_targetILNS1_3genE2ELNS1_11target_archE906ELNS1_3gpuE6ELNS1_3repE0EEENS1_30default_config_static_selectorELNS0_4arch9wavefront6targetE1EEEvT1_ ; -- Begin function _ZN7rocprim17ROCPRIM_400000_NS6detail17trampoline_kernelINS0_14default_configENS1_35adjacent_difference_config_selectorILb1EhEEZNS1_24adjacent_difference_implIS3_Lb1ELb0EPhS7_N6thrust23THRUST_200600_302600_NS4plusIhEEEE10hipError_tPvRmT2_T3_mT4_P12ihipStream_tbEUlT_E_NS1_11comp_targetILNS1_3genE2ELNS1_11target_archE906ELNS1_3gpuE6ELNS1_3repE0EEENS1_30default_config_static_selectorELNS0_4arch9wavefront6targetE1EEEvT1_
	.globl	_ZN7rocprim17ROCPRIM_400000_NS6detail17trampoline_kernelINS0_14default_configENS1_35adjacent_difference_config_selectorILb1EhEEZNS1_24adjacent_difference_implIS3_Lb1ELb0EPhS7_N6thrust23THRUST_200600_302600_NS4plusIhEEEE10hipError_tPvRmT2_T3_mT4_P12ihipStream_tbEUlT_E_NS1_11comp_targetILNS1_3genE2ELNS1_11target_archE906ELNS1_3gpuE6ELNS1_3repE0EEENS1_30default_config_static_selectorELNS0_4arch9wavefront6targetE1EEEvT1_
	.p2align	8
	.type	_ZN7rocprim17ROCPRIM_400000_NS6detail17trampoline_kernelINS0_14default_configENS1_35adjacent_difference_config_selectorILb1EhEEZNS1_24adjacent_difference_implIS3_Lb1ELb0EPhS7_N6thrust23THRUST_200600_302600_NS4plusIhEEEE10hipError_tPvRmT2_T3_mT4_P12ihipStream_tbEUlT_E_NS1_11comp_targetILNS1_3genE2ELNS1_11target_archE906ELNS1_3gpuE6ELNS1_3repE0EEENS1_30default_config_static_selectorELNS0_4arch9wavefront6targetE1EEEvT1_,@function
_ZN7rocprim17ROCPRIM_400000_NS6detail17trampoline_kernelINS0_14default_configENS1_35adjacent_difference_config_selectorILb1EhEEZNS1_24adjacent_difference_implIS3_Lb1ELb0EPhS7_N6thrust23THRUST_200600_302600_NS4plusIhEEEE10hipError_tPvRmT2_T3_mT4_P12ihipStream_tbEUlT_E_NS1_11comp_targetILNS1_3genE2ELNS1_11target_archE906ELNS1_3gpuE6ELNS1_3repE0EEENS1_30default_config_static_selectorELNS0_4arch9wavefront6targetE1EEEvT1_: ; @_ZN7rocprim17ROCPRIM_400000_NS6detail17trampoline_kernelINS0_14default_configENS1_35adjacent_difference_config_selectorILb1EhEEZNS1_24adjacent_difference_implIS3_Lb1ELb0EPhS7_N6thrust23THRUST_200600_302600_NS4plusIhEEEE10hipError_tPvRmT2_T3_mT4_P12ihipStream_tbEUlT_E_NS1_11comp_targetILNS1_3genE2ELNS1_11target_archE906ELNS1_3gpuE6ELNS1_3repE0EEENS1_30default_config_static_selectorELNS0_4arch9wavefront6targetE1EEEvT1_
; %bb.0:
	.section	.rodata,"a",@progbits
	.p2align	6, 0x0
	.amdhsa_kernel _ZN7rocprim17ROCPRIM_400000_NS6detail17trampoline_kernelINS0_14default_configENS1_35adjacent_difference_config_selectorILb1EhEEZNS1_24adjacent_difference_implIS3_Lb1ELb0EPhS7_N6thrust23THRUST_200600_302600_NS4plusIhEEEE10hipError_tPvRmT2_T3_mT4_P12ihipStream_tbEUlT_E_NS1_11comp_targetILNS1_3genE2ELNS1_11target_archE906ELNS1_3gpuE6ELNS1_3repE0EEENS1_30default_config_static_selectorELNS0_4arch9wavefront6targetE1EEEvT1_
		.amdhsa_group_segment_fixed_size 0
		.amdhsa_private_segment_fixed_size 0
		.amdhsa_kernarg_size 56
		.amdhsa_user_sgpr_count 2
		.amdhsa_user_sgpr_dispatch_ptr 0
		.amdhsa_user_sgpr_queue_ptr 0
		.amdhsa_user_sgpr_kernarg_segment_ptr 1
		.amdhsa_user_sgpr_dispatch_id 0
		.amdhsa_user_sgpr_kernarg_preload_length 0
		.amdhsa_user_sgpr_kernarg_preload_offset 0
		.amdhsa_user_sgpr_private_segment_size 0
		.amdhsa_uses_dynamic_stack 0
		.amdhsa_enable_private_segment 0
		.amdhsa_system_sgpr_workgroup_id_x 1
		.amdhsa_system_sgpr_workgroup_id_y 0
		.amdhsa_system_sgpr_workgroup_id_z 0
		.amdhsa_system_sgpr_workgroup_info 0
		.amdhsa_system_vgpr_workitem_id 0
		.amdhsa_next_free_vgpr 1
		.amdhsa_next_free_sgpr 0
		.amdhsa_accum_offset 4
		.amdhsa_reserve_vcc 0
		.amdhsa_float_round_mode_32 0
		.amdhsa_float_round_mode_16_64 0
		.amdhsa_float_denorm_mode_32 3
		.amdhsa_float_denorm_mode_16_64 3
		.amdhsa_dx10_clamp 1
		.amdhsa_ieee_mode 1
		.amdhsa_fp16_overflow 0
		.amdhsa_tg_split 0
		.amdhsa_exception_fp_ieee_invalid_op 0
		.amdhsa_exception_fp_denorm_src 0
		.amdhsa_exception_fp_ieee_div_zero 0
		.amdhsa_exception_fp_ieee_overflow 0
		.amdhsa_exception_fp_ieee_underflow 0
		.amdhsa_exception_fp_ieee_inexact 0
		.amdhsa_exception_int_div_zero 0
	.end_amdhsa_kernel
	.section	.text._ZN7rocprim17ROCPRIM_400000_NS6detail17trampoline_kernelINS0_14default_configENS1_35adjacent_difference_config_selectorILb1EhEEZNS1_24adjacent_difference_implIS3_Lb1ELb0EPhS7_N6thrust23THRUST_200600_302600_NS4plusIhEEEE10hipError_tPvRmT2_T3_mT4_P12ihipStream_tbEUlT_E_NS1_11comp_targetILNS1_3genE2ELNS1_11target_archE906ELNS1_3gpuE6ELNS1_3repE0EEENS1_30default_config_static_selectorELNS0_4arch9wavefront6targetE1EEEvT1_,"axG",@progbits,_ZN7rocprim17ROCPRIM_400000_NS6detail17trampoline_kernelINS0_14default_configENS1_35adjacent_difference_config_selectorILb1EhEEZNS1_24adjacent_difference_implIS3_Lb1ELb0EPhS7_N6thrust23THRUST_200600_302600_NS4plusIhEEEE10hipError_tPvRmT2_T3_mT4_P12ihipStream_tbEUlT_E_NS1_11comp_targetILNS1_3genE2ELNS1_11target_archE906ELNS1_3gpuE6ELNS1_3repE0EEENS1_30default_config_static_selectorELNS0_4arch9wavefront6targetE1EEEvT1_,comdat
.Lfunc_end310:
	.size	_ZN7rocprim17ROCPRIM_400000_NS6detail17trampoline_kernelINS0_14default_configENS1_35adjacent_difference_config_selectorILb1EhEEZNS1_24adjacent_difference_implIS3_Lb1ELb0EPhS7_N6thrust23THRUST_200600_302600_NS4plusIhEEEE10hipError_tPvRmT2_T3_mT4_P12ihipStream_tbEUlT_E_NS1_11comp_targetILNS1_3genE2ELNS1_11target_archE906ELNS1_3gpuE6ELNS1_3repE0EEENS1_30default_config_static_selectorELNS0_4arch9wavefront6targetE1EEEvT1_, .Lfunc_end310-_ZN7rocprim17ROCPRIM_400000_NS6detail17trampoline_kernelINS0_14default_configENS1_35adjacent_difference_config_selectorILb1EhEEZNS1_24adjacent_difference_implIS3_Lb1ELb0EPhS7_N6thrust23THRUST_200600_302600_NS4plusIhEEEE10hipError_tPvRmT2_T3_mT4_P12ihipStream_tbEUlT_E_NS1_11comp_targetILNS1_3genE2ELNS1_11target_archE906ELNS1_3gpuE6ELNS1_3repE0EEENS1_30default_config_static_selectorELNS0_4arch9wavefront6targetE1EEEvT1_
                                        ; -- End function
	.section	.AMDGPU.csdata,"",@progbits
; Kernel info:
; codeLenInByte = 0
; NumSgprs: 6
; NumVgprs: 0
; NumAgprs: 0
; TotalNumVgprs: 0
; ScratchSize: 0
; MemoryBound: 0
; FloatMode: 240
; IeeeMode: 1
; LDSByteSize: 0 bytes/workgroup (compile time only)
; SGPRBlocks: 0
; VGPRBlocks: 0
; NumSGPRsForWavesPerEU: 6
; NumVGPRsForWavesPerEU: 1
; AccumOffset: 4
; Occupancy: 8
; WaveLimiterHint : 0
; COMPUTE_PGM_RSRC2:SCRATCH_EN: 0
; COMPUTE_PGM_RSRC2:USER_SGPR: 2
; COMPUTE_PGM_RSRC2:TRAP_HANDLER: 0
; COMPUTE_PGM_RSRC2:TGID_X_EN: 1
; COMPUTE_PGM_RSRC2:TGID_Y_EN: 0
; COMPUTE_PGM_RSRC2:TGID_Z_EN: 0
; COMPUTE_PGM_RSRC2:TIDIG_COMP_CNT: 0
; COMPUTE_PGM_RSRC3_GFX90A:ACCUM_OFFSET: 0
; COMPUTE_PGM_RSRC3_GFX90A:TG_SPLIT: 0
	.section	.text._ZN7rocprim17ROCPRIM_400000_NS6detail17trampoline_kernelINS0_14default_configENS1_35adjacent_difference_config_selectorILb1EhEEZNS1_24adjacent_difference_implIS3_Lb1ELb0EPhS7_N6thrust23THRUST_200600_302600_NS4plusIhEEEE10hipError_tPvRmT2_T3_mT4_P12ihipStream_tbEUlT_E_NS1_11comp_targetILNS1_3genE9ELNS1_11target_archE1100ELNS1_3gpuE3ELNS1_3repE0EEENS1_30default_config_static_selectorELNS0_4arch9wavefront6targetE1EEEvT1_,"axG",@progbits,_ZN7rocprim17ROCPRIM_400000_NS6detail17trampoline_kernelINS0_14default_configENS1_35adjacent_difference_config_selectorILb1EhEEZNS1_24adjacent_difference_implIS3_Lb1ELb0EPhS7_N6thrust23THRUST_200600_302600_NS4plusIhEEEE10hipError_tPvRmT2_T3_mT4_P12ihipStream_tbEUlT_E_NS1_11comp_targetILNS1_3genE9ELNS1_11target_archE1100ELNS1_3gpuE3ELNS1_3repE0EEENS1_30default_config_static_selectorELNS0_4arch9wavefront6targetE1EEEvT1_,comdat
	.protected	_ZN7rocprim17ROCPRIM_400000_NS6detail17trampoline_kernelINS0_14default_configENS1_35adjacent_difference_config_selectorILb1EhEEZNS1_24adjacent_difference_implIS3_Lb1ELb0EPhS7_N6thrust23THRUST_200600_302600_NS4plusIhEEEE10hipError_tPvRmT2_T3_mT4_P12ihipStream_tbEUlT_E_NS1_11comp_targetILNS1_3genE9ELNS1_11target_archE1100ELNS1_3gpuE3ELNS1_3repE0EEENS1_30default_config_static_selectorELNS0_4arch9wavefront6targetE1EEEvT1_ ; -- Begin function _ZN7rocprim17ROCPRIM_400000_NS6detail17trampoline_kernelINS0_14default_configENS1_35adjacent_difference_config_selectorILb1EhEEZNS1_24adjacent_difference_implIS3_Lb1ELb0EPhS7_N6thrust23THRUST_200600_302600_NS4plusIhEEEE10hipError_tPvRmT2_T3_mT4_P12ihipStream_tbEUlT_E_NS1_11comp_targetILNS1_3genE9ELNS1_11target_archE1100ELNS1_3gpuE3ELNS1_3repE0EEENS1_30default_config_static_selectorELNS0_4arch9wavefront6targetE1EEEvT1_
	.globl	_ZN7rocprim17ROCPRIM_400000_NS6detail17trampoline_kernelINS0_14default_configENS1_35adjacent_difference_config_selectorILb1EhEEZNS1_24adjacent_difference_implIS3_Lb1ELb0EPhS7_N6thrust23THRUST_200600_302600_NS4plusIhEEEE10hipError_tPvRmT2_T3_mT4_P12ihipStream_tbEUlT_E_NS1_11comp_targetILNS1_3genE9ELNS1_11target_archE1100ELNS1_3gpuE3ELNS1_3repE0EEENS1_30default_config_static_selectorELNS0_4arch9wavefront6targetE1EEEvT1_
	.p2align	8
	.type	_ZN7rocprim17ROCPRIM_400000_NS6detail17trampoline_kernelINS0_14default_configENS1_35adjacent_difference_config_selectorILb1EhEEZNS1_24adjacent_difference_implIS3_Lb1ELb0EPhS7_N6thrust23THRUST_200600_302600_NS4plusIhEEEE10hipError_tPvRmT2_T3_mT4_P12ihipStream_tbEUlT_E_NS1_11comp_targetILNS1_3genE9ELNS1_11target_archE1100ELNS1_3gpuE3ELNS1_3repE0EEENS1_30default_config_static_selectorELNS0_4arch9wavefront6targetE1EEEvT1_,@function
_ZN7rocprim17ROCPRIM_400000_NS6detail17trampoline_kernelINS0_14default_configENS1_35adjacent_difference_config_selectorILb1EhEEZNS1_24adjacent_difference_implIS3_Lb1ELb0EPhS7_N6thrust23THRUST_200600_302600_NS4plusIhEEEE10hipError_tPvRmT2_T3_mT4_P12ihipStream_tbEUlT_E_NS1_11comp_targetILNS1_3genE9ELNS1_11target_archE1100ELNS1_3gpuE3ELNS1_3repE0EEENS1_30default_config_static_selectorELNS0_4arch9wavefront6targetE1EEEvT1_: ; @_ZN7rocprim17ROCPRIM_400000_NS6detail17trampoline_kernelINS0_14default_configENS1_35adjacent_difference_config_selectorILb1EhEEZNS1_24adjacent_difference_implIS3_Lb1ELb0EPhS7_N6thrust23THRUST_200600_302600_NS4plusIhEEEE10hipError_tPvRmT2_T3_mT4_P12ihipStream_tbEUlT_E_NS1_11comp_targetILNS1_3genE9ELNS1_11target_archE1100ELNS1_3gpuE3ELNS1_3repE0EEENS1_30default_config_static_selectorELNS0_4arch9wavefront6targetE1EEEvT1_
; %bb.0:
	.section	.rodata,"a",@progbits
	.p2align	6, 0x0
	.amdhsa_kernel _ZN7rocprim17ROCPRIM_400000_NS6detail17trampoline_kernelINS0_14default_configENS1_35adjacent_difference_config_selectorILb1EhEEZNS1_24adjacent_difference_implIS3_Lb1ELb0EPhS7_N6thrust23THRUST_200600_302600_NS4plusIhEEEE10hipError_tPvRmT2_T3_mT4_P12ihipStream_tbEUlT_E_NS1_11comp_targetILNS1_3genE9ELNS1_11target_archE1100ELNS1_3gpuE3ELNS1_3repE0EEENS1_30default_config_static_selectorELNS0_4arch9wavefront6targetE1EEEvT1_
		.amdhsa_group_segment_fixed_size 0
		.amdhsa_private_segment_fixed_size 0
		.amdhsa_kernarg_size 56
		.amdhsa_user_sgpr_count 2
		.amdhsa_user_sgpr_dispatch_ptr 0
		.amdhsa_user_sgpr_queue_ptr 0
		.amdhsa_user_sgpr_kernarg_segment_ptr 1
		.amdhsa_user_sgpr_dispatch_id 0
		.amdhsa_user_sgpr_kernarg_preload_length 0
		.amdhsa_user_sgpr_kernarg_preload_offset 0
		.amdhsa_user_sgpr_private_segment_size 0
		.amdhsa_uses_dynamic_stack 0
		.amdhsa_enable_private_segment 0
		.amdhsa_system_sgpr_workgroup_id_x 1
		.amdhsa_system_sgpr_workgroup_id_y 0
		.amdhsa_system_sgpr_workgroup_id_z 0
		.amdhsa_system_sgpr_workgroup_info 0
		.amdhsa_system_vgpr_workitem_id 0
		.amdhsa_next_free_vgpr 1
		.amdhsa_next_free_sgpr 0
		.amdhsa_accum_offset 4
		.amdhsa_reserve_vcc 0
		.amdhsa_float_round_mode_32 0
		.amdhsa_float_round_mode_16_64 0
		.amdhsa_float_denorm_mode_32 3
		.amdhsa_float_denorm_mode_16_64 3
		.amdhsa_dx10_clamp 1
		.amdhsa_ieee_mode 1
		.amdhsa_fp16_overflow 0
		.amdhsa_tg_split 0
		.amdhsa_exception_fp_ieee_invalid_op 0
		.amdhsa_exception_fp_denorm_src 0
		.amdhsa_exception_fp_ieee_div_zero 0
		.amdhsa_exception_fp_ieee_overflow 0
		.amdhsa_exception_fp_ieee_underflow 0
		.amdhsa_exception_fp_ieee_inexact 0
		.amdhsa_exception_int_div_zero 0
	.end_amdhsa_kernel
	.section	.text._ZN7rocprim17ROCPRIM_400000_NS6detail17trampoline_kernelINS0_14default_configENS1_35adjacent_difference_config_selectorILb1EhEEZNS1_24adjacent_difference_implIS3_Lb1ELb0EPhS7_N6thrust23THRUST_200600_302600_NS4plusIhEEEE10hipError_tPvRmT2_T3_mT4_P12ihipStream_tbEUlT_E_NS1_11comp_targetILNS1_3genE9ELNS1_11target_archE1100ELNS1_3gpuE3ELNS1_3repE0EEENS1_30default_config_static_selectorELNS0_4arch9wavefront6targetE1EEEvT1_,"axG",@progbits,_ZN7rocprim17ROCPRIM_400000_NS6detail17trampoline_kernelINS0_14default_configENS1_35adjacent_difference_config_selectorILb1EhEEZNS1_24adjacent_difference_implIS3_Lb1ELb0EPhS7_N6thrust23THRUST_200600_302600_NS4plusIhEEEE10hipError_tPvRmT2_T3_mT4_P12ihipStream_tbEUlT_E_NS1_11comp_targetILNS1_3genE9ELNS1_11target_archE1100ELNS1_3gpuE3ELNS1_3repE0EEENS1_30default_config_static_selectorELNS0_4arch9wavefront6targetE1EEEvT1_,comdat
.Lfunc_end311:
	.size	_ZN7rocprim17ROCPRIM_400000_NS6detail17trampoline_kernelINS0_14default_configENS1_35adjacent_difference_config_selectorILb1EhEEZNS1_24adjacent_difference_implIS3_Lb1ELb0EPhS7_N6thrust23THRUST_200600_302600_NS4plusIhEEEE10hipError_tPvRmT2_T3_mT4_P12ihipStream_tbEUlT_E_NS1_11comp_targetILNS1_3genE9ELNS1_11target_archE1100ELNS1_3gpuE3ELNS1_3repE0EEENS1_30default_config_static_selectorELNS0_4arch9wavefront6targetE1EEEvT1_, .Lfunc_end311-_ZN7rocprim17ROCPRIM_400000_NS6detail17trampoline_kernelINS0_14default_configENS1_35adjacent_difference_config_selectorILb1EhEEZNS1_24adjacent_difference_implIS3_Lb1ELb0EPhS7_N6thrust23THRUST_200600_302600_NS4plusIhEEEE10hipError_tPvRmT2_T3_mT4_P12ihipStream_tbEUlT_E_NS1_11comp_targetILNS1_3genE9ELNS1_11target_archE1100ELNS1_3gpuE3ELNS1_3repE0EEENS1_30default_config_static_selectorELNS0_4arch9wavefront6targetE1EEEvT1_
                                        ; -- End function
	.section	.AMDGPU.csdata,"",@progbits
; Kernel info:
; codeLenInByte = 0
; NumSgprs: 6
; NumVgprs: 0
; NumAgprs: 0
; TotalNumVgprs: 0
; ScratchSize: 0
; MemoryBound: 0
; FloatMode: 240
; IeeeMode: 1
; LDSByteSize: 0 bytes/workgroup (compile time only)
; SGPRBlocks: 0
; VGPRBlocks: 0
; NumSGPRsForWavesPerEU: 6
; NumVGPRsForWavesPerEU: 1
; AccumOffset: 4
; Occupancy: 8
; WaveLimiterHint : 0
; COMPUTE_PGM_RSRC2:SCRATCH_EN: 0
; COMPUTE_PGM_RSRC2:USER_SGPR: 2
; COMPUTE_PGM_RSRC2:TRAP_HANDLER: 0
; COMPUTE_PGM_RSRC2:TGID_X_EN: 1
; COMPUTE_PGM_RSRC2:TGID_Y_EN: 0
; COMPUTE_PGM_RSRC2:TGID_Z_EN: 0
; COMPUTE_PGM_RSRC2:TIDIG_COMP_CNT: 0
; COMPUTE_PGM_RSRC3_GFX90A:ACCUM_OFFSET: 0
; COMPUTE_PGM_RSRC3_GFX90A:TG_SPLIT: 0
	.section	.text._ZN7rocprim17ROCPRIM_400000_NS6detail17trampoline_kernelINS0_14default_configENS1_35adjacent_difference_config_selectorILb1EhEEZNS1_24adjacent_difference_implIS3_Lb1ELb0EPhS7_N6thrust23THRUST_200600_302600_NS4plusIhEEEE10hipError_tPvRmT2_T3_mT4_P12ihipStream_tbEUlT_E_NS1_11comp_targetILNS1_3genE8ELNS1_11target_archE1030ELNS1_3gpuE2ELNS1_3repE0EEENS1_30default_config_static_selectorELNS0_4arch9wavefront6targetE1EEEvT1_,"axG",@progbits,_ZN7rocprim17ROCPRIM_400000_NS6detail17trampoline_kernelINS0_14default_configENS1_35adjacent_difference_config_selectorILb1EhEEZNS1_24adjacent_difference_implIS3_Lb1ELb0EPhS7_N6thrust23THRUST_200600_302600_NS4plusIhEEEE10hipError_tPvRmT2_T3_mT4_P12ihipStream_tbEUlT_E_NS1_11comp_targetILNS1_3genE8ELNS1_11target_archE1030ELNS1_3gpuE2ELNS1_3repE0EEENS1_30default_config_static_selectorELNS0_4arch9wavefront6targetE1EEEvT1_,comdat
	.protected	_ZN7rocprim17ROCPRIM_400000_NS6detail17trampoline_kernelINS0_14default_configENS1_35adjacent_difference_config_selectorILb1EhEEZNS1_24adjacent_difference_implIS3_Lb1ELb0EPhS7_N6thrust23THRUST_200600_302600_NS4plusIhEEEE10hipError_tPvRmT2_T3_mT4_P12ihipStream_tbEUlT_E_NS1_11comp_targetILNS1_3genE8ELNS1_11target_archE1030ELNS1_3gpuE2ELNS1_3repE0EEENS1_30default_config_static_selectorELNS0_4arch9wavefront6targetE1EEEvT1_ ; -- Begin function _ZN7rocprim17ROCPRIM_400000_NS6detail17trampoline_kernelINS0_14default_configENS1_35adjacent_difference_config_selectorILb1EhEEZNS1_24adjacent_difference_implIS3_Lb1ELb0EPhS7_N6thrust23THRUST_200600_302600_NS4plusIhEEEE10hipError_tPvRmT2_T3_mT4_P12ihipStream_tbEUlT_E_NS1_11comp_targetILNS1_3genE8ELNS1_11target_archE1030ELNS1_3gpuE2ELNS1_3repE0EEENS1_30default_config_static_selectorELNS0_4arch9wavefront6targetE1EEEvT1_
	.globl	_ZN7rocprim17ROCPRIM_400000_NS6detail17trampoline_kernelINS0_14default_configENS1_35adjacent_difference_config_selectorILb1EhEEZNS1_24adjacent_difference_implIS3_Lb1ELb0EPhS7_N6thrust23THRUST_200600_302600_NS4plusIhEEEE10hipError_tPvRmT2_T3_mT4_P12ihipStream_tbEUlT_E_NS1_11comp_targetILNS1_3genE8ELNS1_11target_archE1030ELNS1_3gpuE2ELNS1_3repE0EEENS1_30default_config_static_selectorELNS0_4arch9wavefront6targetE1EEEvT1_
	.p2align	8
	.type	_ZN7rocprim17ROCPRIM_400000_NS6detail17trampoline_kernelINS0_14default_configENS1_35adjacent_difference_config_selectorILb1EhEEZNS1_24adjacent_difference_implIS3_Lb1ELb0EPhS7_N6thrust23THRUST_200600_302600_NS4plusIhEEEE10hipError_tPvRmT2_T3_mT4_P12ihipStream_tbEUlT_E_NS1_11comp_targetILNS1_3genE8ELNS1_11target_archE1030ELNS1_3gpuE2ELNS1_3repE0EEENS1_30default_config_static_selectorELNS0_4arch9wavefront6targetE1EEEvT1_,@function
_ZN7rocprim17ROCPRIM_400000_NS6detail17trampoline_kernelINS0_14default_configENS1_35adjacent_difference_config_selectorILb1EhEEZNS1_24adjacent_difference_implIS3_Lb1ELb0EPhS7_N6thrust23THRUST_200600_302600_NS4plusIhEEEE10hipError_tPvRmT2_T3_mT4_P12ihipStream_tbEUlT_E_NS1_11comp_targetILNS1_3genE8ELNS1_11target_archE1030ELNS1_3gpuE2ELNS1_3repE0EEENS1_30default_config_static_selectorELNS0_4arch9wavefront6targetE1EEEvT1_: ; @_ZN7rocprim17ROCPRIM_400000_NS6detail17trampoline_kernelINS0_14default_configENS1_35adjacent_difference_config_selectorILb1EhEEZNS1_24adjacent_difference_implIS3_Lb1ELb0EPhS7_N6thrust23THRUST_200600_302600_NS4plusIhEEEE10hipError_tPvRmT2_T3_mT4_P12ihipStream_tbEUlT_E_NS1_11comp_targetILNS1_3genE8ELNS1_11target_archE1030ELNS1_3gpuE2ELNS1_3repE0EEENS1_30default_config_static_selectorELNS0_4arch9wavefront6targetE1EEEvT1_
; %bb.0:
	.section	.rodata,"a",@progbits
	.p2align	6, 0x0
	.amdhsa_kernel _ZN7rocprim17ROCPRIM_400000_NS6detail17trampoline_kernelINS0_14default_configENS1_35adjacent_difference_config_selectorILb1EhEEZNS1_24adjacent_difference_implIS3_Lb1ELb0EPhS7_N6thrust23THRUST_200600_302600_NS4plusIhEEEE10hipError_tPvRmT2_T3_mT4_P12ihipStream_tbEUlT_E_NS1_11comp_targetILNS1_3genE8ELNS1_11target_archE1030ELNS1_3gpuE2ELNS1_3repE0EEENS1_30default_config_static_selectorELNS0_4arch9wavefront6targetE1EEEvT1_
		.amdhsa_group_segment_fixed_size 0
		.amdhsa_private_segment_fixed_size 0
		.amdhsa_kernarg_size 56
		.amdhsa_user_sgpr_count 2
		.amdhsa_user_sgpr_dispatch_ptr 0
		.amdhsa_user_sgpr_queue_ptr 0
		.amdhsa_user_sgpr_kernarg_segment_ptr 1
		.amdhsa_user_sgpr_dispatch_id 0
		.amdhsa_user_sgpr_kernarg_preload_length 0
		.amdhsa_user_sgpr_kernarg_preload_offset 0
		.amdhsa_user_sgpr_private_segment_size 0
		.amdhsa_uses_dynamic_stack 0
		.amdhsa_enable_private_segment 0
		.amdhsa_system_sgpr_workgroup_id_x 1
		.amdhsa_system_sgpr_workgroup_id_y 0
		.amdhsa_system_sgpr_workgroup_id_z 0
		.amdhsa_system_sgpr_workgroup_info 0
		.amdhsa_system_vgpr_workitem_id 0
		.amdhsa_next_free_vgpr 1
		.amdhsa_next_free_sgpr 0
		.amdhsa_accum_offset 4
		.amdhsa_reserve_vcc 0
		.amdhsa_float_round_mode_32 0
		.amdhsa_float_round_mode_16_64 0
		.amdhsa_float_denorm_mode_32 3
		.amdhsa_float_denorm_mode_16_64 3
		.amdhsa_dx10_clamp 1
		.amdhsa_ieee_mode 1
		.amdhsa_fp16_overflow 0
		.amdhsa_tg_split 0
		.amdhsa_exception_fp_ieee_invalid_op 0
		.amdhsa_exception_fp_denorm_src 0
		.amdhsa_exception_fp_ieee_div_zero 0
		.amdhsa_exception_fp_ieee_overflow 0
		.amdhsa_exception_fp_ieee_underflow 0
		.amdhsa_exception_fp_ieee_inexact 0
		.amdhsa_exception_int_div_zero 0
	.end_amdhsa_kernel
	.section	.text._ZN7rocprim17ROCPRIM_400000_NS6detail17trampoline_kernelINS0_14default_configENS1_35adjacent_difference_config_selectorILb1EhEEZNS1_24adjacent_difference_implIS3_Lb1ELb0EPhS7_N6thrust23THRUST_200600_302600_NS4plusIhEEEE10hipError_tPvRmT2_T3_mT4_P12ihipStream_tbEUlT_E_NS1_11comp_targetILNS1_3genE8ELNS1_11target_archE1030ELNS1_3gpuE2ELNS1_3repE0EEENS1_30default_config_static_selectorELNS0_4arch9wavefront6targetE1EEEvT1_,"axG",@progbits,_ZN7rocprim17ROCPRIM_400000_NS6detail17trampoline_kernelINS0_14default_configENS1_35adjacent_difference_config_selectorILb1EhEEZNS1_24adjacent_difference_implIS3_Lb1ELb0EPhS7_N6thrust23THRUST_200600_302600_NS4plusIhEEEE10hipError_tPvRmT2_T3_mT4_P12ihipStream_tbEUlT_E_NS1_11comp_targetILNS1_3genE8ELNS1_11target_archE1030ELNS1_3gpuE2ELNS1_3repE0EEENS1_30default_config_static_selectorELNS0_4arch9wavefront6targetE1EEEvT1_,comdat
.Lfunc_end312:
	.size	_ZN7rocprim17ROCPRIM_400000_NS6detail17trampoline_kernelINS0_14default_configENS1_35adjacent_difference_config_selectorILb1EhEEZNS1_24adjacent_difference_implIS3_Lb1ELb0EPhS7_N6thrust23THRUST_200600_302600_NS4plusIhEEEE10hipError_tPvRmT2_T3_mT4_P12ihipStream_tbEUlT_E_NS1_11comp_targetILNS1_3genE8ELNS1_11target_archE1030ELNS1_3gpuE2ELNS1_3repE0EEENS1_30default_config_static_selectorELNS0_4arch9wavefront6targetE1EEEvT1_, .Lfunc_end312-_ZN7rocprim17ROCPRIM_400000_NS6detail17trampoline_kernelINS0_14default_configENS1_35adjacent_difference_config_selectorILb1EhEEZNS1_24adjacent_difference_implIS3_Lb1ELb0EPhS7_N6thrust23THRUST_200600_302600_NS4plusIhEEEE10hipError_tPvRmT2_T3_mT4_P12ihipStream_tbEUlT_E_NS1_11comp_targetILNS1_3genE8ELNS1_11target_archE1030ELNS1_3gpuE2ELNS1_3repE0EEENS1_30default_config_static_selectorELNS0_4arch9wavefront6targetE1EEEvT1_
                                        ; -- End function
	.section	.AMDGPU.csdata,"",@progbits
; Kernel info:
; codeLenInByte = 0
; NumSgprs: 6
; NumVgprs: 0
; NumAgprs: 0
; TotalNumVgprs: 0
; ScratchSize: 0
; MemoryBound: 0
; FloatMode: 240
; IeeeMode: 1
; LDSByteSize: 0 bytes/workgroup (compile time only)
; SGPRBlocks: 0
; VGPRBlocks: 0
; NumSGPRsForWavesPerEU: 6
; NumVGPRsForWavesPerEU: 1
; AccumOffset: 4
; Occupancy: 8
; WaveLimiterHint : 0
; COMPUTE_PGM_RSRC2:SCRATCH_EN: 0
; COMPUTE_PGM_RSRC2:USER_SGPR: 2
; COMPUTE_PGM_RSRC2:TRAP_HANDLER: 0
; COMPUTE_PGM_RSRC2:TGID_X_EN: 1
; COMPUTE_PGM_RSRC2:TGID_Y_EN: 0
; COMPUTE_PGM_RSRC2:TGID_Z_EN: 0
; COMPUTE_PGM_RSRC2:TIDIG_COMP_CNT: 0
; COMPUTE_PGM_RSRC3_GFX90A:ACCUM_OFFSET: 0
; COMPUTE_PGM_RSRC3_GFX90A:TG_SPLIT: 0
	.section	.text._ZN6thrust23THRUST_200600_302600_NS11hip_rocprim14__parallel_for6kernelILj256ENS1_20__uninitialized_fill7functorINS0_10device_ptrItEEtEEmLj1EEEvT0_T1_SA_,"axG",@progbits,_ZN6thrust23THRUST_200600_302600_NS11hip_rocprim14__parallel_for6kernelILj256ENS1_20__uninitialized_fill7functorINS0_10device_ptrItEEtEEmLj1EEEvT0_T1_SA_,comdat
	.protected	_ZN6thrust23THRUST_200600_302600_NS11hip_rocprim14__parallel_for6kernelILj256ENS1_20__uninitialized_fill7functorINS0_10device_ptrItEEtEEmLj1EEEvT0_T1_SA_ ; -- Begin function _ZN6thrust23THRUST_200600_302600_NS11hip_rocprim14__parallel_for6kernelILj256ENS1_20__uninitialized_fill7functorINS0_10device_ptrItEEtEEmLj1EEEvT0_T1_SA_
	.globl	_ZN6thrust23THRUST_200600_302600_NS11hip_rocprim14__parallel_for6kernelILj256ENS1_20__uninitialized_fill7functorINS0_10device_ptrItEEtEEmLj1EEEvT0_T1_SA_
	.p2align	8
	.type	_ZN6thrust23THRUST_200600_302600_NS11hip_rocprim14__parallel_for6kernelILj256ENS1_20__uninitialized_fill7functorINS0_10device_ptrItEEtEEmLj1EEEvT0_T1_SA_,@function
_ZN6thrust23THRUST_200600_302600_NS11hip_rocprim14__parallel_for6kernelILj256ENS1_20__uninitialized_fill7functorINS0_10device_ptrItEEtEEmLj1EEEvT0_T1_SA_: ; @_ZN6thrust23THRUST_200600_302600_NS11hip_rocprim14__parallel_for6kernelILj256ENS1_20__uninitialized_fill7functorINS0_10device_ptrItEEtEEmLj1EEEvT0_T1_SA_
; %bb.0:
	s_load_dwordx4 s[4:7], s[0:1], 0x10
	s_lshl_b32 s2, s2, 8
	v_mov_b64_e32 v[2:3], 0x100
	s_waitcnt lgkmcnt(0)
	s_add_u32 s2, s2, s6
	s_addc_u32 s3, 0, s7
	s_sub_u32 s4, s4, s2
	s_subb_u32 s5, s5, s3
	v_cmp_lt_u64_e32 vcc, s[4:5], v[2:3]
	s_cbranch_vccz .LBB313_2
; %bb.1:
	v_cmp_gt_u32_e32 vcc, s4, v0
	s_and_b64 s[4:5], vcc, exec
	s_cbranch_execz .LBB313_3
	s_branch .LBB313_4
.LBB313_2:
	s_mov_b64 s[4:5], 0
.LBB313_3:
	s_or_b64 s[4:5], s[4:5], exec
.LBB313_4:
	s_and_saveexec_b64 s[6:7], s[4:5]
	s_cbranch_execnz .LBB313_6
; %bb.5:
	s_endpgm
.LBB313_6:
	s_load_dwordx2 s[4:5], s[0:1], 0x0
	s_load_dword s6, s[0:1], 0x8
	s_lshl_b64 s[0:1], s[2:3], 1
	v_mov_b32_e32 v1, 0
	s_waitcnt lgkmcnt(0)
	s_add_u32 s0, s4, s0
	s_addc_u32 s1, s5, s1
	v_lshl_add_u64 v[0:1], v[0:1], 1, s[0:1]
	v_mov_b32_e32 v2, s6
	flat_store_short v[0:1], v2
	s_endpgm
	.section	.rodata,"a",@progbits
	.p2align	6, 0x0
	.amdhsa_kernel _ZN6thrust23THRUST_200600_302600_NS11hip_rocprim14__parallel_for6kernelILj256ENS1_20__uninitialized_fill7functorINS0_10device_ptrItEEtEEmLj1EEEvT0_T1_SA_
		.amdhsa_group_segment_fixed_size 0
		.amdhsa_private_segment_fixed_size 0
		.amdhsa_kernarg_size 32
		.amdhsa_user_sgpr_count 2
		.amdhsa_user_sgpr_dispatch_ptr 0
		.amdhsa_user_sgpr_queue_ptr 0
		.amdhsa_user_sgpr_kernarg_segment_ptr 1
		.amdhsa_user_sgpr_dispatch_id 0
		.amdhsa_user_sgpr_kernarg_preload_length 0
		.amdhsa_user_sgpr_kernarg_preload_offset 0
		.amdhsa_user_sgpr_private_segment_size 0
		.amdhsa_uses_dynamic_stack 0
		.amdhsa_enable_private_segment 0
		.amdhsa_system_sgpr_workgroup_id_x 1
		.amdhsa_system_sgpr_workgroup_id_y 0
		.amdhsa_system_sgpr_workgroup_id_z 0
		.amdhsa_system_sgpr_workgroup_info 0
		.amdhsa_system_vgpr_workitem_id 0
		.amdhsa_next_free_vgpr 4
		.amdhsa_next_free_sgpr 8
		.amdhsa_accum_offset 4
		.amdhsa_reserve_vcc 1
		.amdhsa_float_round_mode_32 0
		.amdhsa_float_round_mode_16_64 0
		.amdhsa_float_denorm_mode_32 3
		.amdhsa_float_denorm_mode_16_64 3
		.amdhsa_dx10_clamp 1
		.amdhsa_ieee_mode 1
		.amdhsa_fp16_overflow 0
		.amdhsa_tg_split 0
		.amdhsa_exception_fp_ieee_invalid_op 0
		.amdhsa_exception_fp_denorm_src 0
		.amdhsa_exception_fp_ieee_div_zero 0
		.amdhsa_exception_fp_ieee_overflow 0
		.amdhsa_exception_fp_ieee_underflow 0
		.amdhsa_exception_fp_ieee_inexact 0
		.amdhsa_exception_int_div_zero 0
	.end_amdhsa_kernel
	.section	.text._ZN6thrust23THRUST_200600_302600_NS11hip_rocprim14__parallel_for6kernelILj256ENS1_20__uninitialized_fill7functorINS0_10device_ptrItEEtEEmLj1EEEvT0_T1_SA_,"axG",@progbits,_ZN6thrust23THRUST_200600_302600_NS11hip_rocprim14__parallel_for6kernelILj256ENS1_20__uninitialized_fill7functorINS0_10device_ptrItEEtEEmLj1EEEvT0_T1_SA_,comdat
.Lfunc_end313:
	.size	_ZN6thrust23THRUST_200600_302600_NS11hip_rocprim14__parallel_for6kernelILj256ENS1_20__uninitialized_fill7functorINS0_10device_ptrItEEtEEmLj1EEEvT0_T1_SA_, .Lfunc_end313-_ZN6thrust23THRUST_200600_302600_NS11hip_rocprim14__parallel_for6kernelILj256ENS1_20__uninitialized_fill7functorINS0_10device_ptrItEEtEEmLj1EEEvT0_T1_SA_
                                        ; -- End function
	.section	.AMDGPU.csdata,"",@progbits
; Kernel info:
; codeLenInByte = 144
; NumSgprs: 14
; NumVgprs: 4
; NumAgprs: 0
; TotalNumVgprs: 4
; ScratchSize: 0
; MemoryBound: 0
; FloatMode: 240
; IeeeMode: 1
; LDSByteSize: 0 bytes/workgroup (compile time only)
; SGPRBlocks: 1
; VGPRBlocks: 0
; NumSGPRsForWavesPerEU: 14
; NumVGPRsForWavesPerEU: 4
; AccumOffset: 4
; Occupancy: 8
; WaveLimiterHint : 0
; COMPUTE_PGM_RSRC2:SCRATCH_EN: 0
; COMPUTE_PGM_RSRC2:USER_SGPR: 2
; COMPUTE_PGM_RSRC2:TRAP_HANDLER: 0
; COMPUTE_PGM_RSRC2:TGID_X_EN: 1
; COMPUTE_PGM_RSRC2:TGID_Y_EN: 0
; COMPUTE_PGM_RSRC2:TGID_Z_EN: 0
; COMPUTE_PGM_RSRC2:TIDIG_COMP_CNT: 0
; COMPUTE_PGM_RSRC3_GFX90A:ACCUM_OFFSET: 0
; COMPUTE_PGM_RSRC3_GFX90A:TG_SPLIT: 0
	.section	.text._ZN7rocprim17ROCPRIM_400000_NS6detail17trampoline_kernelINS0_14default_configENS1_35adjacent_difference_config_selectorILb0EtEEZNS1_24adjacent_difference_implIS3_Lb0ELb0EPtS7_N6thrust23THRUST_200600_302600_NS5minusItEEEE10hipError_tPvRmT2_T3_mT4_P12ihipStream_tbEUlT_E_NS1_11comp_targetILNS1_3genE0ELNS1_11target_archE4294967295ELNS1_3gpuE0ELNS1_3repE0EEENS1_30default_config_static_selectorELNS0_4arch9wavefront6targetE1EEEvT1_,"axG",@progbits,_ZN7rocprim17ROCPRIM_400000_NS6detail17trampoline_kernelINS0_14default_configENS1_35adjacent_difference_config_selectorILb0EtEEZNS1_24adjacent_difference_implIS3_Lb0ELb0EPtS7_N6thrust23THRUST_200600_302600_NS5minusItEEEE10hipError_tPvRmT2_T3_mT4_P12ihipStream_tbEUlT_E_NS1_11comp_targetILNS1_3genE0ELNS1_11target_archE4294967295ELNS1_3gpuE0ELNS1_3repE0EEENS1_30default_config_static_selectorELNS0_4arch9wavefront6targetE1EEEvT1_,comdat
	.protected	_ZN7rocprim17ROCPRIM_400000_NS6detail17trampoline_kernelINS0_14default_configENS1_35adjacent_difference_config_selectorILb0EtEEZNS1_24adjacent_difference_implIS3_Lb0ELb0EPtS7_N6thrust23THRUST_200600_302600_NS5minusItEEEE10hipError_tPvRmT2_T3_mT4_P12ihipStream_tbEUlT_E_NS1_11comp_targetILNS1_3genE0ELNS1_11target_archE4294967295ELNS1_3gpuE0ELNS1_3repE0EEENS1_30default_config_static_selectorELNS0_4arch9wavefront6targetE1EEEvT1_ ; -- Begin function _ZN7rocprim17ROCPRIM_400000_NS6detail17trampoline_kernelINS0_14default_configENS1_35adjacent_difference_config_selectorILb0EtEEZNS1_24adjacent_difference_implIS3_Lb0ELb0EPtS7_N6thrust23THRUST_200600_302600_NS5minusItEEEE10hipError_tPvRmT2_T3_mT4_P12ihipStream_tbEUlT_E_NS1_11comp_targetILNS1_3genE0ELNS1_11target_archE4294967295ELNS1_3gpuE0ELNS1_3repE0EEENS1_30default_config_static_selectorELNS0_4arch9wavefront6targetE1EEEvT1_
	.globl	_ZN7rocprim17ROCPRIM_400000_NS6detail17trampoline_kernelINS0_14default_configENS1_35adjacent_difference_config_selectorILb0EtEEZNS1_24adjacent_difference_implIS3_Lb0ELb0EPtS7_N6thrust23THRUST_200600_302600_NS5minusItEEEE10hipError_tPvRmT2_T3_mT4_P12ihipStream_tbEUlT_E_NS1_11comp_targetILNS1_3genE0ELNS1_11target_archE4294967295ELNS1_3gpuE0ELNS1_3repE0EEENS1_30default_config_static_selectorELNS0_4arch9wavefront6targetE1EEEvT1_
	.p2align	8
	.type	_ZN7rocprim17ROCPRIM_400000_NS6detail17trampoline_kernelINS0_14default_configENS1_35adjacent_difference_config_selectorILb0EtEEZNS1_24adjacent_difference_implIS3_Lb0ELb0EPtS7_N6thrust23THRUST_200600_302600_NS5minusItEEEE10hipError_tPvRmT2_T3_mT4_P12ihipStream_tbEUlT_E_NS1_11comp_targetILNS1_3genE0ELNS1_11target_archE4294967295ELNS1_3gpuE0ELNS1_3repE0EEENS1_30default_config_static_selectorELNS0_4arch9wavefront6targetE1EEEvT1_,@function
_ZN7rocprim17ROCPRIM_400000_NS6detail17trampoline_kernelINS0_14default_configENS1_35adjacent_difference_config_selectorILb0EtEEZNS1_24adjacent_difference_implIS3_Lb0ELb0EPtS7_N6thrust23THRUST_200600_302600_NS5minusItEEEE10hipError_tPvRmT2_T3_mT4_P12ihipStream_tbEUlT_E_NS1_11comp_targetILNS1_3genE0ELNS1_11target_archE4294967295ELNS1_3gpuE0ELNS1_3repE0EEENS1_30default_config_static_selectorELNS0_4arch9wavefront6targetE1EEEvT1_: ; @_ZN7rocprim17ROCPRIM_400000_NS6detail17trampoline_kernelINS0_14default_configENS1_35adjacent_difference_config_selectorILb0EtEEZNS1_24adjacent_difference_implIS3_Lb0ELb0EPtS7_N6thrust23THRUST_200600_302600_NS5minusItEEEE10hipError_tPvRmT2_T3_mT4_P12ihipStream_tbEUlT_E_NS1_11comp_targetILNS1_3genE0ELNS1_11target_archE4294967295ELNS1_3gpuE0ELNS1_3repE0EEENS1_30default_config_static_selectorELNS0_4arch9wavefront6targetE1EEEvT1_
; %bb.0:
	.section	.rodata,"a",@progbits
	.p2align	6, 0x0
	.amdhsa_kernel _ZN7rocprim17ROCPRIM_400000_NS6detail17trampoline_kernelINS0_14default_configENS1_35adjacent_difference_config_selectorILb0EtEEZNS1_24adjacent_difference_implIS3_Lb0ELb0EPtS7_N6thrust23THRUST_200600_302600_NS5minusItEEEE10hipError_tPvRmT2_T3_mT4_P12ihipStream_tbEUlT_E_NS1_11comp_targetILNS1_3genE0ELNS1_11target_archE4294967295ELNS1_3gpuE0ELNS1_3repE0EEENS1_30default_config_static_selectorELNS0_4arch9wavefront6targetE1EEEvT1_
		.amdhsa_group_segment_fixed_size 0
		.amdhsa_private_segment_fixed_size 0
		.amdhsa_kernarg_size 56
		.amdhsa_user_sgpr_count 2
		.amdhsa_user_sgpr_dispatch_ptr 0
		.amdhsa_user_sgpr_queue_ptr 0
		.amdhsa_user_sgpr_kernarg_segment_ptr 1
		.amdhsa_user_sgpr_dispatch_id 0
		.amdhsa_user_sgpr_kernarg_preload_length 0
		.amdhsa_user_sgpr_kernarg_preload_offset 0
		.amdhsa_user_sgpr_private_segment_size 0
		.amdhsa_uses_dynamic_stack 0
		.amdhsa_enable_private_segment 0
		.amdhsa_system_sgpr_workgroup_id_x 1
		.amdhsa_system_sgpr_workgroup_id_y 0
		.amdhsa_system_sgpr_workgroup_id_z 0
		.amdhsa_system_sgpr_workgroup_info 0
		.amdhsa_system_vgpr_workitem_id 0
		.amdhsa_next_free_vgpr 1
		.amdhsa_next_free_sgpr 0
		.amdhsa_accum_offset 4
		.amdhsa_reserve_vcc 0
		.amdhsa_float_round_mode_32 0
		.amdhsa_float_round_mode_16_64 0
		.amdhsa_float_denorm_mode_32 3
		.amdhsa_float_denorm_mode_16_64 3
		.amdhsa_dx10_clamp 1
		.amdhsa_ieee_mode 1
		.amdhsa_fp16_overflow 0
		.amdhsa_tg_split 0
		.amdhsa_exception_fp_ieee_invalid_op 0
		.amdhsa_exception_fp_denorm_src 0
		.amdhsa_exception_fp_ieee_div_zero 0
		.amdhsa_exception_fp_ieee_overflow 0
		.amdhsa_exception_fp_ieee_underflow 0
		.amdhsa_exception_fp_ieee_inexact 0
		.amdhsa_exception_int_div_zero 0
	.end_amdhsa_kernel
	.section	.text._ZN7rocprim17ROCPRIM_400000_NS6detail17trampoline_kernelINS0_14default_configENS1_35adjacent_difference_config_selectorILb0EtEEZNS1_24adjacent_difference_implIS3_Lb0ELb0EPtS7_N6thrust23THRUST_200600_302600_NS5minusItEEEE10hipError_tPvRmT2_T3_mT4_P12ihipStream_tbEUlT_E_NS1_11comp_targetILNS1_3genE0ELNS1_11target_archE4294967295ELNS1_3gpuE0ELNS1_3repE0EEENS1_30default_config_static_selectorELNS0_4arch9wavefront6targetE1EEEvT1_,"axG",@progbits,_ZN7rocprim17ROCPRIM_400000_NS6detail17trampoline_kernelINS0_14default_configENS1_35adjacent_difference_config_selectorILb0EtEEZNS1_24adjacent_difference_implIS3_Lb0ELb0EPtS7_N6thrust23THRUST_200600_302600_NS5minusItEEEE10hipError_tPvRmT2_T3_mT4_P12ihipStream_tbEUlT_E_NS1_11comp_targetILNS1_3genE0ELNS1_11target_archE4294967295ELNS1_3gpuE0ELNS1_3repE0EEENS1_30default_config_static_selectorELNS0_4arch9wavefront6targetE1EEEvT1_,comdat
.Lfunc_end314:
	.size	_ZN7rocprim17ROCPRIM_400000_NS6detail17trampoline_kernelINS0_14default_configENS1_35adjacent_difference_config_selectorILb0EtEEZNS1_24adjacent_difference_implIS3_Lb0ELb0EPtS7_N6thrust23THRUST_200600_302600_NS5minusItEEEE10hipError_tPvRmT2_T3_mT4_P12ihipStream_tbEUlT_E_NS1_11comp_targetILNS1_3genE0ELNS1_11target_archE4294967295ELNS1_3gpuE0ELNS1_3repE0EEENS1_30default_config_static_selectorELNS0_4arch9wavefront6targetE1EEEvT1_, .Lfunc_end314-_ZN7rocprim17ROCPRIM_400000_NS6detail17trampoline_kernelINS0_14default_configENS1_35adjacent_difference_config_selectorILb0EtEEZNS1_24adjacent_difference_implIS3_Lb0ELb0EPtS7_N6thrust23THRUST_200600_302600_NS5minusItEEEE10hipError_tPvRmT2_T3_mT4_P12ihipStream_tbEUlT_E_NS1_11comp_targetILNS1_3genE0ELNS1_11target_archE4294967295ELNS1_3gpuE0ELNS1_3repE0EEENS1_30default_config_static_selectorELNS0_4arch9wavefront6targetE1EEEvT1_
                                        ; -- End function
	.section	.AMDGPU.csdata,"",@progbits
; Kernel info:
; codeLenInByte = 0
; NumSgprs: 6
; NumVgprs: 0
; NumAgprs: 0
; TotalNumVgprs: 0
; ScratchSize: 0
; MemoryBound: 0
; FloatMode: 240
; IeeeMode: 1
; LDSByteSize: 0 bytes/workgroup (compile time only)
; SGPRBlocks: 0
; VGPRBlocks: 0
; NumSGPRsForWavesPerEU: 6
; NumVGPRsForWavesPerEU: 1
; AccumOffset: 4
; Occupancy: 8
; WaveLimiterHint : 0
; COMPUTE_PGM_RSRC2:SCRATCH_EN: 0
; COMPUTE_PGM_RSRC2:USER_SGPR: 2
; COMPUTE_PGM_RSRC2:TRAP_HANDLER: 0
; COMPUTE_PGM_RSRC2:TGID_X_EN: 1
; COMPUTE_PGM_RSRC2:TGID_Y_EN: 0
; COMPUTE_PGM_RSRC2:TGID_Z_EN: 0
; COMPUTE_PGM_RSRC2:TIDIG_COMP_CNT: 0
; COMPUTE_PGM_RSRC3_GFX90A:ACCUM_OFFSET: 0
; COMPUTE_PGM_RSRC3_GFX90A:TG_SPLIT: 0
	.section	.text._ZN7rocprim17ROCPRIM_400000_NS6detail17trampoline_kernelINS0_14default_configENS1_35adjacent_difference_config_selectorILb0EtEEZNS1_24adjacent_difference_implIS3_Lb0ELb0EPtS7_N6thrust23THRUST_200600_302600_NS5minusItEEEE10hipError_tPvRmT2_T3_mT4_P12ihipStream_tbEUlT_E_NS1_11comp_targetILNS1_3genE10ELNS1_11target_archE1201ELNS1_3gpuE5ELNS1_3repE0EEENS1_30default_config_static_selectorELNS0_4arch9wavefront6targetE1EEEvT1_,"axG",@progbits,_ZN7rocprim17ROCPRIM_400000_NS6detail17trampoline_kernelINS0_14default_configENS1_35adjacent_difference_config_selectorILb0EtEEZNS1_24adjacent_difference_implIS3_Lb0ELb0EPtS7_N6thrust23THRUST_200600_302600_NS5minusItEEEE10hipError_tPvRmT2_T3_mT4_P12ihipStream_tbEUlT_E_NS1_11comp_targetILNS1_3genE10ELNS1_11target_archE1201ELNS1_3gpuE5ELNS1_3repE0EEENS1_30default_config_static_selectorELNS0_4arch9wavefront6targetE1EEEvT1_,comdat
	.protected	_ZN7rocprim17ROCPRIM_400000_NS6detail17trampoline_kernelINS0_14default_configENS1_35adjacent_difference_config_selectorILb0EtEEZNS1_24adjacent_difference_implIS3_Lb0ELb0EPtS7_N6thrust23THRUST_200600_302600_NS5minusItEEEE10hipError_tPvRmT2_T3_mT4_P12ihipStream_tbEUlT_E_NS1_11comp_targetILNS1_3genE10ELNS1_11target_archE1201ELNS1_3gpuE5ELNS1_3repE0EEENS1_30default_config_static_selectorELNS0_4arch9wavefront6targetE1EEEvT1_ ; -- Begin function _ZN7rocprim17ROCPRIM_400000_NS6detail17trampoline_kernelINS0_14default_configENS1_35adjacent_difference_config_selectorILb0EtEEZNS1_24adjacent_difference_implIS3_Lb0ELb0EPtS7_N6thrust23THRUST_200600_302600_NS5minusItEEEE10hipError_tPvRmT2_T3_mT4_P12ihipStream_tbEUlT_E_NS1_11comp_targetILNS1_3genE10ELNS1_11target_archE1201ELNS1_3gpuE5ELNS1_3repE0EEENS1_30default_config_static_selectorELNS0_4arch9wavefront6targetE1EEEvT1_
	.globl	_ZN7rocprim17ROCPRIM_400000_NS6detail17trampoline_kernelINS0_14default_configENS1_35adjacent_difference_config_selectorILb0EtEEZNS1_24adjacent_difference_implIS3_Lb0ELb0EPtS7_N6thrust23THRUST_200600_302600_NS5minusItEEEE10hipError_tPvRmT2_T3_mT4_P12ihipStream_tbEUlT_E_NS1_11comp_targetILNS1_3genE10ELNS1_11target_archE1201ELNS1_3gpuE5ELNS1_3repE0EEENS1_30default_config_static_selectorELNS0_4arch9wavefront6targetE1EEEvT1_
	.p2align	8
	.type	_ZN7rocprim17ROCPRIM_400000_NS6detail17trampoline_kernelINS0_14default_configENS1_35adjacent_difference_config_selectorILb0EtEEZNS1_24adjacent_difference_implIS3_Lb0ELb0EPtS7_N6thrust23THRUST_200600_302600_NS5minusItEEEE10hipError_tPvRmT2_T3_mT4_P12ihipStream_tbEUlT_E_NS1_11comp_targetILNS1_3genE10ELNS1_11target_archE1201ELNS1_3gpuE5ELNS1_3repE0EEENS1_30default_config_static_selectorELNS0_4arch9wavefront6targetE1EEEvT1_,@function
_ZN7rocprim17ROCPRIM_400000_NS6detail17trampoline_kernelINS0_14default_configENS1_35adjacent_difference_config_selectorILb0EtEEZNS1_24adjacent_difference_implIS3_Lb0ELb0EPtS7_N6thrust23THRUST_200600_302600_NS5minusItEEEE10hipError_tPvRmT2_T3_mT4_P12ihipStream_tbEUlT_E_NS1_11comp_targetILNS1_3genE10ELNS1_11target_archE1201ELNS1_3gpuE5ELNS1_3repE0EEENS1_30default_config_static_selectorELNS0_4arch9wavefront6targetE1EEEvT1_: ; @_ZN7rocprim17ROCPRIM_400000_NS6detail17trampoline_kernelINS0_14default_configENS1_35adjacent_difference_config_selectorILb0EtEEZNS1_24adjacent_difference_implIS3_Lb0ELb0EPtS7_N6thrust23THRUST_200600_302600_NS5minusItEEEE10hipError_tPvRmT2_T3_mT4_P12ihipStream_tbEUlT_E_NS1_11comp_targetILNS1_3genE10ELNS1_11target_archE1201ELNS1_3gpuE5ELNS1_3repE0EEENS1_30default_config_static_selectorELNS0_4arch9wavefront6targetE1EEEvT1_
; %bb.0:
	.section	.rodata,"a",@progbits
	.p2align	6, 0x0
	.amdhsa_kernel _ZN7rocprim17ROCPRIM_400000_NS6detail17trampoline_kernelINS0_14default_configENS1_35adjacent_difference_config_selectorILb0EtEEZNS1_24adjacent_difference_implIS3_Lb0ELb0EPtS7_N6thrust23THRUST_200600_302600_NS5minusItEEEE10hipError_tPvRmT2_T3_mT4_P12ihipStream_tbEUlT_E_NS1_11comp_targetILNS1_3genE10ELNS1_11target_archE1201ELNS1_3gpuE5ELNS1_3repE0EEENS1_30default_config_static_selectorELNS0_4arch9wavefront6targetE1EEEvT1_
		.amdhsa_group_segment_fixed_size 0
		.amdhsa_private_segment_fixed_size 0
		.amdhsa_kernarg_size 56
		.amdhsa_user_sgpr_count 2
		.amdhsa_user_sgpr_dispatch_ptr 0
		.amdhsa_user_sgpr_queue_ptr 0
		.amdhsa_user_sgpr_kernarg_segment_ptr 1
		.amdhsa_user_sgpr_dispatch_id 0
		.amdhsa_user_sgpr_kernarg_preload_length 0
		.amdhsa_user_sgpr_kernarg_preload_offset 0
		.amdhsa_user_sgpr_private_segment_size 0
		.amdhsa_uses_dynamic_stack 0
		.amdhsa_enable_private_segment 0
		.amdhsa_system_sgpr_workgroup_id_x 1
		.amdhsa_system_sgpr_workgroup_id_y 0
		.amdhsa_system_sgpr_workgroup_id_z 0
		.amdhsa_system_sgpr_workgroup_info 0
		.amdhsa_system_vgpr_workitem_id 0
		.amdhsa_next_free_vgpr 1
		.amdhsa_next_free_sgpr 0
		.amdhsa_accum_offset 4
		.amdhsa_reserve_vcc 0
		.amdhsa_float_round_mode_32 0
		.amdhsa_float_round_mode_16_64 0
		.amdhsa_float_denorm_mode_32 3
		.amdhsa_float_denorm_mode_16_64 3
		.amdhsa_dx10_clamp 1
		.amdhsa_ieee_mode 1
		.amdhsa_fp16_overflow 0
		.amdhsa_tg_split 0
		.amdhsa_exception_fp_ieee_invalid_op 0
		.amdhsa_exception_fp_denorm_src 0
		.amdhsa_exception_fp_ieee_div_zero 0
		.amdhsa_exception_fp_ieee_overflow 0
		.amdhsa_exception_fp_ieee_underflow 0
		.amdhsa_exception_fp_ieee_inexact 0
		.amdhsa_exception_int_div_zero 0
	.end_amdhsa_kernel
	.section	.text._ZN7rocprim17ROCPRIM_400000_NS6detail17trampoline_kernelINS0_14default_configENS1_35adjacent_difference_config_selectorILb0EtEEZNS1_24adjacent_difference_implIS3_Lb0ELb0EPtS7_N6thrust23THRUST_200600_302600_NS5minusItEEEE10hipError_tPvRmT2_T3_mT4_P12ihipStream_tbEUlT_E_NS1_11comp_targetILNS1_3genE10ELNS1_11target_archE1201ELNS1_3gpuE5ELNS1_3repE0EEENS1_30default_config_static_selectorELNS0_4arch9wavefront6targetE1EEEvT1_,"axG",@progbits,_ZN7rocprim17ROCPRIM_400000_NS6detail17trampoline_kernelINS0_14default_configENS1_35adjacent_difference_config_selectorILb0EtEEZNS1_24adjacent_difference_implIS3_Lb0ELb0EPtS7_N6thrust23THRUST_200600_302600_NS5minusItEEEE10hipError_tPvRmT2_T3_mT4_P12ihipStream_tbEUlT_E_NS1_11comp_targetILNS1_3genE10ELNS1_11target_archE1201ELNS1_3gpuE5ELNS1_3repE0EEENS1_30default_config_static_selectorELNS0_4arch9wavefront6targetE1EEEvT1_,comdat
.Lfunc_end315:
	.size	_ZN7rocprim17ROCPRIM_400000_NS6detail17trampoline_kernelINS0_14default_configENS1_35adjacent_difference_config_selectorILb0EtEEZNS1_24adjacent_difference_implIS3_Lb0ELb0EPtS7_N6thrust23THRUST_200600_302600_NS5minusItEEEE10hipError_tPvRmT2_T3_mT4_P12ihipStream_tbEUlT_E_NS1_11comp_targetILNS1_3genE10ELNS1_11target_archE1201ELNS1_3gpuE5ELNS1_3repE0EEENS1_30default_config_static_selectorELNS0_4arch9wavefront6targetE1EEEvT1_, .Lfunc_end315-_ZN7rocprim17ROCPRIM_400000_NS6detail17trampoline_kernelINS0_14default_configENS1_35adjacent_difference_config_selectorILb0EtEEZNS1_24adjacent_difference_implIS3_Lb0ELb0EPtS7_N6thrust23THRUST_200600_302600_NS5minusItEEEE10hipError_tPvRmT2_T3_mT4_P12ihipStream_tbEUlT_E_NS1_11comp_targetILNS1_3genE10ELNS1_11target_archE1201ELNS1_3gpuE5ELNS1_3repE0EEENS1_30default_config_static_selectorELNS0_4arch9wavefront6targetE1EEEvT1_
                                        ; -- End function
	.section	.AMDGPU.csdata,"",@progbits
; Kernel info:
; codeLenInByte = 0
; NumSgprs: 6
; NumVgprs: 0
; NumAgprs: 0
; TotalNumVgprs: 0
; ScratchSize: 0
; MemoryBound: 0
; FloatMode: 240
; IeeeMode: 1
; LDSByteSize: 0 bytes/workgroup (compile time only)
; SGPRBlocks: 0
; VGPRBlocks: 0
; NumSGPRsForWavesPerEU: 6
; NumVGPRsForWavesPerEU: 1
; AccumOffset: 4
; Occupancy: 8
; WaveLimiterHint : 0
; COMPUTE_PGM_RSRC2:SCRATCH_EN: 0
; COMPUTE_PGM_RSRC2:USER_SGPR: 2
; COMPUTE_PGM_RSRC2:TRAP_HANDLER: 0
; COMPUTE_PGM_RSRC2:TGID_X_EN: 1
; COMPUTE_PGM_RSRC2:TGID_Y_EN: 0
; COMPUTE_PGM_RSRC2:TGID_Z_EN: 0
; COMPUTE_PGM_RSRC2:TIDIG_COMP_CNT: 0
; COMPUTE_PGM_RSRC3_GFX90A:ACCUM_OFFSET: 0
; COMPUTE_PGM_RSRC3_GFX90A:TG_SPLIT: 0
	.section	.text._ZN7rocprim17ROCPRIM_400000_NS6detail17trampoline_kernelINS0_14default_configENS1_35adjacent_difference_config_selectorILb0EtEEZNS1_24adjacent_difference_implIS3_Lb0ELb0EPtS7_N6thrust23THRUST_200600_302600_NS5minusItEEEE10hipError_tPvRmT2_T3_mT4_P12ihipStream_tbEUlT_E_NS1_11comp_targetILNS1_3genE5ELNS1_11target_archE942ELNS1_3gpuE9ELNS1_3repE0EEENS1_30default_config_static_selectorELNS0_4arch9wavefront6targetE1EEEvT1_,"axG",@progbits,_ZN7rocprim17ROCPRIM_400000_NS6detail17trampoline_kernelINS0_14default_configENS1_35adjacent_difference_config_selectorILb0EtEEZNS1_24adjacent_difference_implIS3_Lb0ELb0EPtS7_N6thrust23THRUST_200600_302600_NS5minusItEEEE10hipError_tPvRmT2_T3_mT4_P12ihipStream_tbEUlT_E_NS1_11comp_targetILNS1_3genE5ELNS1_11target_archE942ELNS1_3gpuE9ELNS1_3repE0EEENS1_30default_config_static_selectorELNS0_4arch9wavefront6targetE1EEEvT1_,comdat
	.protected	_ZN7rocprim17ROCPRIM_400000_NS6detail17trampoline_kernelINS0_14default_configENS1_35adjacent_difference_config_selectorILb0EtEEZNS1_24adjacent_difference_implIS3_Lb0ELb0EPtS7_N6thrust23THRUST_200600_302600_NS5minusItEEEE10hipError_tPvRmT2_T3_mT4_P12ihipStream_tbEUlT_E_NS1_11comp_targetILNS1_3genE5ELNS1_11target_archE942ELNS1_3gpuE9ELNS1_3repE0EEENS1_30default_config_static_selectorELNS0_4arch9wavefront6targetE1EEEvT1_ ; -- Begin function _ZN7rocprim17ROCPRIM_400000_NS6detail17trampoline_kernelINS0_14default_configENS1_35adjacent_difference_config_selectorILb0EtEEZNS1_24adjacent_difference_implIS3_Lb0ELb0EPtS7_N6thrust23THRUST_200600_302600_NS5minusItEEEE10hipError_tPvRmT2_T3_mT4_P12ihipStream_tbEUlT_E_NS1_11comp_targetILNS1_3genE5ELNS1_11target_archE942ELNS1_3gpuE9ELNS1_3repE0EEENS1_30default_config_static_selectorELNS0_4arch9wavefront6targetE1EEEvT1_
	.globl	_ZN7rocprim17ROCPRIM_400000_NS6detail17trampoline_kernelINS0_14default_configENS1_35adjacent_difference_config_selectorILb0EtEEZNS1_24adjacent_difference_implIS3_Lb0ELb0EPtS7_N6thrust23THRUST_200600_302600_NS5minusItEEEE10hipError_tPvRmT2_T3_mT4_P12ihipStream_tbEUlT_E_NS1_11comp_targetILNS1_3genE5ELNS1_11target_archE942ELNS1_3gpuE9ELNS1_3repE0EEENS1_30default_config_static_selectorELNS0_4arch9wavefront6targetE1EEEvT1_
	.p2align	8
	.type	_ZN7rocprim17ROCPRIM_400000_NS6detail17trampoline_kernelINS0_14default_configENS1_35adjacent_difference_config_selectorILb0EtEEZNS1_24adjacent_difference_implIS3_Lb0ELb0EPtS7_N6thrust23THRUST_200600_302600_NS5minusItEEEE10hipError_tPvRmT2_T3_mT4_P12ihipStream_tbEUlT_E_NS1_11comp_targetILNS1_3genE5ELNS1_11target_archE942ELNS1_3gpuE9ELNS1_3repE0EEENS1_30default_config_static_selectorELNS0_4arch9wavefront6targetE1EEEvT1_,@function
_ZN7rocprim17ROCPRIM_400000_NS6detail17trampoline_kernelINS0_14default_configENS1_35adjacent_difference_config_selectorILb0EtEEZNS1_24adjacent_difference_implIS3_Lb0ELb0EPtS7_N6thrust23THRUST_200600_302600_NS5minusItEEEE10hipError_tPvRmT2_T3_mT4_P12ihipStream_tbEUlT_E_NS1_11comp_targetILNS1_3genE5ELNS1_11target_archE942ELNS1_3gpuE9ELNS1_3repE0EEENS1_30default_config_static_selectorELNS0_4arch9wavefront6targetE1EEEvT1_: ; @_ZN7rocprim17ROCPRIM_400000_NS6detail17trampoline_kernelINS0_14default_configENS1_35adjacent_difference_config_selectorILb0EtEEZNS1_24adjacent_difference_implIS3_Lb0ELb0EPtS7_N6thrust23THRUST_200600_302600_NS5minusItEEEE10hipError_tPvRmT2_T3_mT4_P12ihipStream_tbEUlT_E_NS1_11comp_targetILNS1_3genE5ELNS1_11target_archE942ELNS1_3gpuE9ELNS1_3repE0EEENS1_30default_config_static_selectorELNS0_4arch9wavefront6targetE1EEEvT1_
; %bb.0:
	s_load_dwordx8 s[4:11], s[0:1], 0x0
	v_bfrev_b32_e32 v1, 11
	s_movk_i32 s3, 0x1100
	s_load_dwordx2 s[0:1], s[0:1], 0x30
	s_mul_i32 s12, s2, 0x1100
	s_waitcnt lgkmcnt(0)
	s_lshl_b64 s[14:15], s[6:7], 1
	s_add_u32 s20, s4, s14
	s_addc_u32 s21, s5, s15
	s_mov_b32 s4, 0x3f0f0aa0
	s_add_u32 s4, 0x367, s4
	s_addc_u32 s5, 0, 0
	v_add_co_u32_e32 v1, vcc, s4, v1
	s_cmp_lg_u64 vcc, 0
	v_readfirstlane_b32 s6, v1
	s_addc_u32 s4, s5, 0xf0f0e
	s_mul_hi_u32 s7, s6, 0xffffef00
	s_mul_i32 s5, s4, 0xffffef00
	s_sub_i32 s7, s7, s6
	s_add_i32 s7, s7, s5
	s_mul_i32 s17, s6, 0xffffef00
	s_mul_hi_u32 s5, s6, s7
	s_mul_i32 s16, s6, s7
	s_mul_hi_u32 s6, s6, s17
	s_add_u32 s6, s6, s16
	s_addc_u32 s5, 0, s5
	s_mul_hi_u32 s18, s4, s17
	s_mul_i32 s17, s4, s17
	s_add_u32 s6, s6, s17
	s_mul_hi_u32 s16, s4, s7
	s_addc_u32 s5, s5, s18
	s_addc_u32 s6, s16, 0
	s_mul_i32 s7, s4, s7
	s_add_u32 s5, s5, s7
	s_addc_u32 s6, 0, s6
	v_add_co_u32_e32 v1, vcc, s5, v1
	s_cmp_lg_u64 vcc, 0
	s_addc_u32 s4, s4, s6
	v_readfirstlane_b32 s7, v1
	s_mul_i32 s6, s10, s4
	s_mul_hi_u32 s16, s10, s7
	s_mul_hi_u32 s5, s10, s4
	s_add_u32 s6, s16, s6
	s_addc_u32 s5, 0, s5
	s_mul_hi_u32 s17, s11, s7
	s_mul_i32 s7, s11, s7
	s_add_u32 s6, s6, s7
	s_mul_hi_u32 s16, s11, s4
	s_addc_u32 s5, s5, s17
	s_addc_u32 s6, s16, 0
	s_mul_i32 s4, s11, s4
	s_add_u32 s4, s5, s4
	s_addc_u32 s5, 0, s6
	s_add_u32 s6, s4, 1
	s_addc_u32 s7, s5, 0
	s_add_u32 s16, s4, 2
	s_mul_i32 s18, s5, 0x1100
	s_mul_hi_u32 s19, s4, 0x1100
	s_addc_u32 s17, s5, 0
	s_add_i32 s19, s19, s18
	s_mul_i32 s18, s4, 0x1100
	v_mov_b32_e32 v1, s18
	v_sub_co_u32_e32 v1, vcc, s10, v1
	s_cmp_lg_u64 vcc, 0
	s_subb_u32 s18, s11, s19
	v_subrev_co_u32_e32 v2, vcc, s3, v1
	s_cmp_lg_u64 vcc, 0
	s_subb_u32 s3, s18, 0
	v_readfirstlane_b32 s19, v2
	s_cmpk_gt_u32 s19, 0x10ff
	s_cselect_b32 s19, -1, 0
	s_cmp_eq_u32 s3, 0
	s_cselect_b32 s3, s19, -1
	s_cmp_lg_u32 s3, 0
	s_cselect_b32 s3, s16, s6
	s_cselect_b32 s6, s17, s7
	v_readfirstlane_b32 s7, v1
	s_cmpk_gt_u32 s7, 0x10ff
	s_cselect_b32 s7, -1, 0
	s_cmp_eq_u32 s18, 0
	s_cselect_b32 s7, s7, -1
	s_cmp_lg_u32 s7, 0
	s_cselect_b32 s6, s6, s5
	s_cselect_b32 s3, s3, s4
	s_mul_i32 s4, s6, 0x1100
	s_mul_hi_u32 s5, s3, 0x1100
	s_add_i32 s5, s5, s4
	s_mul_i32 s4, s3, 0x1100
	s_sub_u32 s4, s10, s4
	s_subb_u32 s5, s11, s5
	s_cmp_lg_u64 s[4:5], 0
	s_cselect_b64 s[4:5], -1, 0
	v_cndmask_b32_e64 v1, 0, 1, s[4:5]
	s_mov_b32 s13, 0
	v_readfirstlane_b32 s4, v1
	s_add_u32 s4, s3, s4
	s_addc_u32 s5, s6, 0
	s_add_u32 s2, s0, s2
	s_addc_u32 s3, s1, 0
	s_add_u32 s6, s4, -1
	s_addc_u32 s7, s5, -1
	v_mov_b64_e32 v[2:3], s[6:7]
	v_cmp_ge_u64_e64 s[0:1], s[2:3], v[2:3]
	s_mov_b64 s[16:17], -1
	s_and_b64 vcc, exec, s[0:1]
	s_mul_i32 s11, s6, 0xffffef00
	s_cbranch_vccz .LBB316_36
; %bb.1:
	s_add_i32 s22, s11, s10
	s_lshl_b64 s[16:17], s[12:13], 1
	s_add_u32 s16, s20, s16
	s_addc_u32 s17, s21, s17
	v_cmp_gt_u32_e32 vcc, s22, v0
                                        ; implicit-def: $vgpr1
	s_and_saveexec_b64 s[18:19], vcc
	s_cbranch_execz .LBB316_3
; %bb.2:
	v_lshlrev_b32_e32 v1, 1, v0
	global_load_ushort v1, v1, s[16:17]
.LBB316_3:
	s_or_b64 exec, exec, s[18:19]
	v_or_b32_e32 v2, 0x100, v0
	v_cmp_gt_u32_e32 vcc, s22, v2
                                        ; implicit-def: $vgpr2
	s_and_saveexec_b64 s[18:19], vcc
	s_cbranch_execz .LBB316_5
; %bb.4:
	v_lshlrev_b32_e32 v2, 1, v0
	global_load_ushort v2, v2, s[16:17] offset:512
.LBB316_5:
	s_or_b64 exec, exec, s[18:19]
	v_or_b32_e32 v3, 0x200, v0
	v_cmp_gt_u32_e32 vcc, s22, v3
                                        ; implicit-def: $vgpr3
	s_and_saveexec_b64 s[18:19], vcc
	s_cbranch_execz .LBB316_7
; %bb.6:
	v_lshlrev_b32_e32 v3, 1, v0
	global_load_ushort v3, v3, s[16:17] offset:1024
.LBB316_7:
	s_or_b64 exec, exec, s[18:19]
	v_or_b32_e32 v4, 0x300, v0
	v_cmp_gt_u32_e32 vcc, s22, v4
                                        ; implicit-def: $vgpr4
	s_and_saveexec_b64 s[18:19], vcc
	s_cbranch_execz .LBB316_9
; %bb.8:
	v_lshlrev_b32_e32 v4, 1, v0
	global_load_ushort v4, v4, s[16:17] offset:1536
.LBB316_9:
	s_or_b64 exec, exec, s[18:19]
	v_or_b32_e32 v5, 0x400, v0
	v_cmp_gt_u32_e32 vcc, s22, v5
                                        ; implicit-def: $vgpr5
	s_and_saveexec_b64 s[18:19], vcc
	s_cbranch_execz .LBB316_11
; %bb.10:
	v_lshlrev_b32_e32 v5, 1, v0
	global_load_ushort v5, v5, s[16:17] offset:2048
.LBB316_11:
	s_or_b64 exec, exec, s[18:19]
	v_or_b32_e32 v6, 0x500, v0
	v_cmp_gt_u32_e32 vcc, s22, v6
                                        ; implicit-def: $vgpr6
	s_and_saveexec_b64 s[18:19], vcc
	s_cbranch_execz .LBB316_13
; %bb.12:
	v_lshlrev_b32_e32 v6, 1, v0
	global_load_ushort v6, v6, s[16:17] offset:2560
.LBB316_13:
	s_or_b64 exec, exec, s[18:19]
	v_or_b32_e32 v7, 0x600, v0
	v_cmp_gt_u32_e32 vcc, s22, v7
                                        ; implicit-def: $vgpr7
	s_and_saveexec_b64 s[18:19], vcc
	s_cbranch_execz .LBB316_15
; %bb.14:
	v_lshlrev_b32_e32 v7, 1, v0
	global_load_ushort v7, v7, s[16:17] offset:3072
.LBB316_15:
	s_or_b64 exec, exec, s[18:19]
	v_or_b32_e32 v8, 0x700, v0
	v_cmp_gt_u32_e32 vcc, s22, v8
                                        ; implicit-def: $vgpr8
	s_and_saveexec_b64 s[18:19], vcc
	s_cbranch_execz .LBB316_17
; %bb.16:
	v_lshlrev_b32_e32 v8, 1, v0
	global_load_ushort v8, v8, s[16:17] offset:3584
.LBB316_17:
	s_or_b64 exec, exec, s[18:19]
	v_or_b32_e32 v10, 0x800, v0
	v_cmp_gt_u32_e32 vcc, s22, v10
                                        ; implicit-def: $vgpr9
	s_and_saveexec_b64 s[18:19], vcc
	s_cbranch_execz .LBB316_19
; %bb.18:
	v_lshlrev_b32_e32 v9, 1, v10
	global_load_ushort v9, v9, s[16:17]
.LBB316_19:
	s_or_b64 exec, exec, s[18:19]
	v_or_b32_e32 v11, 0x900, v0
	v_cmp_gt_u32_e32 vcc, s22, v11
                                        ; implicit-def: $vgpr10
	s_and_saveexec_b64 s[18:19], vcc
	s_cbranch_execz .LBB316_21
; %bb.20:
	v_lshlrev_b32_e32 v10, 1, v11
	global_load_ushort v10, v10, s[16:17]
.LBB316_21:
	s_or_b64 exec, exec, s[18:19]
	v_or_b32_e32 v12, 0xa00, v0
	v_cmp_gt_u32_e32 vcc, s22, v12
                                        ; implicit-def: $vgpr11
	s_and_saveexec_b64 s[18:19], vcc
	s_cbranch_execz .LBB316_23
; %bb.22:
	v_lshlrev_b32_e32 v11, 1, v12
	global_load_ushort v11, v11, s[16:17]
.LBB316_23:
	s_or_b64 exec, exec, s[18:19]
	v_or_b32_e32 v13, 0xb00, v0
	v_cmp_gt_u32_e32 vcc, s22, v13
                                        ; implicit-def: $vgpr12
	s_and_saveexec_b64 s[18:19], vcc
	s_cbranch_execz .LBB316_25
; %bb.24:
	v_lshlrev_b32_e32 v12, 1, v13
	global_load_ushort v12, v12, s[16:17]
.LBB316_25:
	s_or_b64 exec, exec, s[18:19]
	v_or_b32_e32 v14, 0xc00, v0
	v_cmp_gt_u32_e32 vcc, s22, v14
                                        ; implicit-def: $vgpr13
	s_and_saveexec_b64 s[18:19], vcc
	s_cbranch_execz .LBB316_27
; %bb.26:
	v_lshlrev_b32_e32 v13, 1, v14
	global_load_ushort v13, v13, s[16:17]
.LBB316_27:
	s_or_b64 exec, exec, s[18:19]
	v_or_b32_e32 v15, 0xd00, v0
	v_cmp_gt_u32_e32 vcc, s22, v15
                                        ; implicit-def: $vgpr14
	s_and_saveexec_b64 s[18:19], vcc
	s_cbranch_execz .LBB316_29
; %bb.28:
	v_lshlrev_b32_e32 v14, 1, v15
	global_load_ushort v14, v14, s[16:17]
.LBB316_29:
	s_or_b64 exec, exec, s[18:19]
	v_or_b32_e32 v16, 0xe00, v0
	v_cmp_gt_u32_e32 vcc, s22, v16
                                        ; implicit-def: $vgpr15
	s_and_saveexec_b64 s[18:19], vcc
	s_cbranch_execz .LBB316_31
; %bb.30:
	v_lshlrev_b32_e32 v15, 1, v16
	global_load_ushort v15, v15, s[16:17]
.LBB316_31:
	s_or_b64 exec, exec, s[18:19]
	v_or_b32_e32 v17, 0xf00, v0
	v_cmp_gt_u32_e32 vcc, s22, v17
                                        ; implicit-def: $vgpr16
	s_and_saveexec_b64 s[18:19], vcc
	s_cbranch_execz .LBB316_33
; %bb.32:
	v_lshlrev_b32_e32 v16, 1, v17
	global_load_ushort v16, v16, s[16:17]
.LBB316_33:
	s_or_b64 exec, exec, s[18:19]
	v_or_b32_e32 v18, 0x1000, v0
	v_cmp_gt_u32_e32 vcc, s22, v18
                                        ; implicit-def: $vgpr17
	s_and_saveexec_b64 s[18:19], vcc
	s_cbranch_execz .LBB316_35
; %bb.34:
	v_lshlrev_b32_e32 v17, 1, v18
	global_load_ushort v17, v17, s[16:17]
.LBB316_35:
	s_or_b64 exec, exec, s[18:19]
	v_lshlrev_b32_e32 v18, 1, v0
	s_mov_b64 s[16:17], 0
	s_waitcnt vmcnt(0)
	ds_write_b16 v18, v1
	ds_write_b16 v18, v2 offset:512
	ds_write_b16 v18, v3 offset:1024
	;; [unrolled: 1-line block ×16, first 2 shown]
	s_waitcnt lgkmcnt(0)
	s_barrier
.LBB316_36:
	s_and_b64 vcc, exec, s[16:17]
	v_lshlrev_b32_e32 v10, 1, v0
	s_cbranch_vccz .LBB316_38
; %bb.37:
	s_lshl_b64 s[16:17], s[12:13], 1
	s_add_u32 s16, s20, s16
	s_addc_u32 s17, s21, s17
	v_mov_b32_e32 v11, 0
	v_lshl_add_u64 v[2:3], s[16:17], 0, v[10:11]
	s_movk_i32 s13, 0x1000
	v_add_co_u32_e32 v4, vcc, s13, v2
	s_movk_i32 s13, 0x2000
	s_nop 0
	v_addc_co_u32_e32 v5, vcc, 0, v3, vcc
	v_add_co_u32_e32 v2, vcc, s13, v2
	global_load_ushort v1, v10, s[16:17]
	s_nop 0
	v_addc_co_u32_e32 v3, vcc, 0, v3, vcc
	global_load_ushort v6, v10, s[16:17] offset:512
	global_load_ushort v7, v10, s[16:17] offset:1024
	;; [unrolled: 1-line block ×7, first 2 shown]
	global_load_ushort v14, v[2:3], off offset:-4096
	global_load_ushort v15, v[4:5], off offset:512
	global_load_ushort v16, v[4:5], off offset:1024
	;; [unrolled: 1-line block ×7, first 2 shown]
                                        ; kill: killed $vgpr4 killed $vgpr5
                                        ; kill: killed $sgpr16 killed $sgpr17
	s_nop 0
	global_load_ushort v2, v[2:3], off
	s_waitcnt vmcnt(16)
	ds_write_b16 v10, v1
	s_waitcnt vmcnt(15)
	ds_write_b16 v10, v6 offset:512
	s_waitcnt vmcnt(14)
	ds_write_b16 v10, v7 offset:1024
	;; [unrolled: 2-line block ×16, first 2 shown]
	s_waitcnt lgkmcnt(0)
	s_barrier
.LBB316_38:
	v_mul_u32_u24_e32 v1, 17, v0
	v_lshlrev_b32_e32 v1, 1, v1
	ds_read_b96 v[2:4], v1 offset:20
	ds_read_b96 v[6:8], v1
	ds_read_b64 v[12:13], v1 offset:12
	ds_read_u16 v5, v1 offset:32
	s_cmp_eq_u64 s[2:3], 0
	s_waitcnt lgkmcnt(3)
	v_alignbit_b32 v9, v4, v3, 16
	v_alignbit_b32 v3, v3, v2, 16
	v_lshrrev_b32_e32 v4, 16, v4
	s_waitcnt lgkmcnt(2)
	v_alignbit_b32 v11, v8, v7, 16
	v_alignbit_b32 v7, v7, v6, 16
	v_lshrrev_b32_e32 v8, 16, v8
	s_waitcnt lgkmcnt(0)
	s_barrier
	s_cbranch_scc1 .LBB316_43
; %bb.39:
	s_mov_b32 s13, 0
	s_lshl_b64 s[16:17], s[12:13], 1
	s_add_u32 s16, s20, s16
	s_addc_u32 s17, s21, s17
	v_mov_b32_e32 v1, 0
	global_load_ushort v23, v1, s[16:17] offset:-2
	s_cmp_eq_u64 s[2:3], s[6:7]
	s_cbranch_scc1 .LBB316_44
; %bb.40:
	v_cmp_ne_u32_e32 vcc, 0, v0
	s_waitcnt vmcnt(0)
	v_mov_b32_e32 v1, v23
	ds_write_b16 v10, v5
	s_waitcnt lgkmcnt(0)
	s_barrier
	s_and_saveexec_b64 s[6:7], vcc
	s_cbranch_execz .LBB316_42
; %bb.41:
	v_add_u32_e32 v1, -2, v10
	ds_read_u16 v1, v1
.LBB316_42:
	s_or_b64 exec, exec, s[6:7]
	s_mov_b32 s3, 0x5040100
	v_perm_b32 v17, v7, v6, s3
	v_perm_b32 v20, v12, v8, s3
	v_perm_b32 v18, v3, v2, s3
	s_mov_b32 s3, 0xffff
	s_waitcnt lgkmcnt(0)
	v_sub_u16_e32 v1, v6, v1
	v_alignbit_b32 v19, v11, v7, 16
	v_lshrrev_b32_e32 v16, 16, v11
	v_alignbit_b32 v22, v13, v12, 16
	v_lshrrev_b32_e32 v15, 16, v13
	v_alignbit_b32 v21, v9, v3, 16
	v_bfi_b32 v14, s3, v4, v9
	s_branch .LBB316_48
.LBB316_43:
                                        ; implicit-def: $vgpr21
                                        ; implicit-def: $vgpr18
                                        ; implicit-def: $vgpr22
                                        ; implicit-def: $vgpr20
                                        ; implicit-def: $vgpr19
                                        ; implicit-def: $vgpr17
                                        ; implicit-def: $vgpr14
                                        ; implicit-def: $vgpr1
                                        ; implicit-def: $vgpr16
                                        ; implicit-def: $vgpr15
	s_branch .LBB316_49
.LBB316_44:
                                        ; implicit-def: $vgpr21
                                        ; implicit-def: $vgpr18
                                        ; implicit-def: $vgpr22
                                        ; implicit-def: $vgpr20
                                        ; implicit-def: $vgpr19
                                        ; implicit-def: $vgpr17
                                        ; implicit-def: $vgpr14
                                        ; implicit-def: $vgpr1
                                        ; implicit-def: $vgpr16
                                        ; implicit-def: $vgpr15
	s_cbranch_execz .LBB316_48
; %bb.45:
	v_mul_u32_u24_e32 v1, 17, v0
	v_cmp_ne_u32_e32 vcc, 0, v0
	ds_write_b16 v10, v5
	s_waitcnt lgkmcnt(0)
	s_barrier
	s_and_saveexec_b64 s[6:7], vcc
	s_cbranch_execz .LBB316_47
; %bb.46:
	v_add_u32_e32 v14, -2, v10
	s_waitcnt vmcnt(0)
	ds_read_u16 v23, v14
.LBB316_47:
	s_or_b64 exec, exec, s[6:7]
	s_mulk_i32 s2, 0xef00
	s_add_i32 s2, s2, s10
	v_add_u32_e32 v14, 16, v1
	v_add_u32_e32 v15, 15, v1
	v_cmp_gt_u32_e32 vcc, s2, v14
	v_lshrrev_b32_e32 v16, 16, v9
	s_mov_b32 s3, 0x5040100
	v_cndmask_b32_e32 v14, 0, v4, vcc
	v_cmp_gt_u32_e32 vcc, s2, v15
	v_lshrrev_b32_e32 v19, 16, v3
	v_add_u32_e32 v17, 11, v1
	v_cndmask_b32_e32 v15, 0, v16, vcc
	v_perm_b32 v14, v15, v14, s3
	v_add_u32_e32 v15, 13, v1
	v_add_u32_e32 v16, 14, v1
	v_cmp_gt_u32_e32 vcc, s2, v15
	v_add_u32_e32 v18, 12, v1
	v_add_u32_e32 v15, 10, v1
	v_cndmask_b32_e32 v21, 0, v19, vcc
	v_cmp_gt_u32_e32 vcc, s2, v16
	v_lshrrev_b32_e32 v16, 16, v13
	v_lshrrev_b32_e32 v22, 16, v12
	v_cndmask_b32_e32 v24, 0, v9, vcc
	v_cmp_gt_u32_e32 vcc, s2, v17
	v_add_u32_e32 v17, 9, v1
	v_add_u32_e32 v19, 6, v1
	v_cndmask_b32_e32 v25, 0, v2, vcc
	v_cmp_gt_u32_e32 vcc, s2, v18
	v_add_u32_e32 v20, 7, v1
	v_lshrrev_b32_e32 v30, 16, v7
	v_cndmask_b32_e32 v18, 0, v3, vcc
	v_cmp_gt_u32_e32 vcc, s2, v15
	v_add_u32_e32 v28, 1, v1
	v_add_u32_e32 v29, 2, v1
	v_cndmask_b32_e32 v15, 0, v16, vcc
	v_add_u32_e32 v16, 8, v1
	v_cmp_gt_u32_e32 vcc, s2, v16
	v_add_u32_e32 v16, 5, v1
	v_perm_b32 v18, v18, v25, s3
	v_cndmask_b32_e32 v22, 0, v22, vcc
	v_cmp_gt_u32_e32 vcc, s2, v17
	v_lshrrev_b32_e32 v17, 16, v11
	v_perm_b32 v21, v24, v21, s3
	v_cndmask_b32_e32 v26, 0, v13, vcc
	v_cmp_gt_u32_e32 vcc, s2, v19
	v_add_u32_e32 v19, 4, v1
	v_perm_b32 v22, v26, v22, s3
	v_cndmask_b32_e32 v27, 0, v8, vcc
	v_cmp_gt_u32_e32 vcc, s2, v20
	s_nop 1
	v_cndmask_b32_e32 v20, 0, v12, vcc
	v_cmp_gt_u32_e32 vcc, s2, v16
	v_perm_b32 v20, v20, v27, s3
	s_nop 0
	v_cndmask_b32_e32 v16, 0, v17, vcc
	v_add_u32_e32 v17, 3, v1
	v_cmp_gt_u32_e32 vcc, s2, v17
	s_nop 1
	v_cndmask_b32_e32 v30, 0, v30, vcc
	v_cmp_gt_u32_e32 vcc, s2, v19
	s_nop 1
	v_cndmask_b32_e32 v19, 0, v11, vcc
	v_cmp_gt_u32_e32 vcc, s2, v28
	v_perm_b32 v19, v19, v30, s3
	s_nop 0
	v_cndmask_b32_e32 v17, 0, v6, vcc
	v_cmp_gt_u32_e32 vcc, s2, v29
	s_nop 1
	v_cndmask_b32_e32 v28, 0, v7, vcc
	v_cmp_gt_u32_e32 vcc, s2, v1
	v_perm_b32 v17, v28, v17, s3
	s_waitcnt vmcnt(0) lgkmcnt(0)
	v_cndmask_b32_e32 v1, 0, v23, vcc
	v_sub_u16_e32 v1, v6, v1
.LBB316_48:
	s_cbranch_execnz .LBB316_57
.LBB316_49:
	s_cmp_eq_u64 s[4:5], 1
	v_cmp_ne_u32_e32 vcc, 0, v0
	s_cbranch_scc1 .LBB316_53
; %bb.50:
	s_mov_b32 s5, 0x5040100
	s_mov_b32 s4, 0xffff
	v_mov_b32_e32 v1, v6
	ds_write_b16 v10, v5
	s_waitcnt lgkmcnt(0)
	s_barrier
	s_and_saveexec_b64 s[2:3], vcc
	s_cbranch_execz .LBB316_52
; %bb.51:
	v_add_u32_e32 v1, -2, v10
	ds_read_u16 v1, v1
	s_waitcnt lgkmcnt(0)
	v_sub_u16_e32 v1, v6, v1
.LBB316_52:
	s_or_b64 exec, exec, s[2:3]
	v_perm_b32 v17, v7, v6, s5
	v_alignbit_b32 v19, v11, v7, 16
	v_lshrrev_b32_e32 v16, 16, v11
	v_perm_b32 v20, v12, v8, s5
	v_alignbit_b32 v22, v13, v12, 16
	v_lshrrev_b32_e32 v15, 16, v13
	v_perm_b32 v18, v3, v2, s5
	v_alignbit_b32 v21, v9, v3, 16
	v_bfi_b32 v14, s4, v4, v9
	s_cbranch_execz .LBB316_54
	s_branch .LBB316_57
.LBB316_53:
                                        ; implicit-def: $vgpr21
                                        ; implicit-def: $vgpr18
                                        ; implicit-def: $vgpr22
                                        ; implicit-def: $vgpr20
                                        ; implicit-def: $vgpr19
                                        ; implicit-def: $vgpr17
                                        ; implicit-def: $vgpr14
                                        ; implicit-def: $vgpr1
                                        ; implicit-def: $vgpr16
                                        ; implicit-def: $vgpr15
.LBB316_54:
	v_mad_u32_u24 v1, v0, 17, 16
	v_mad_u32_u24 v14, v0, 17, 15
	v_cmp_gt_u32_e32 vcc, s10, v1
	v_lshrrev_b32_e32 v15, 16, v9
	v_mad_u32_u24 v16, v0, 17, 13
	v_cndmask_b32_e32 v1, 0, v4, vcc
	v_cmp_gt_u32_e32 vcc, s10, v14
	v_mad_u32_u24 v17, v0, 17, 11
	v_lshrrev_b32_e32 v18, 16, v3
	v_cndmask_b32_e32 v14, 0, v15, vcc
	v_mad_u32_u24 v15, v0, 17, 14
	v_cmp_gt_u32_e32 vcc, s10, v15
	v_mad_u32_u24 v19, v0, 17, 12
	v_lshrrev_b32_e32 v20, 16, v12
	v_cndmask_b32_e32 v21, 0, v9, vcc
	v_cmp_gt_u32_e32 vcc, s10, v16
	v_mad_u32_u24 v16, v0, 17, 9
	v_cmp_gt_u32_e64 s[2:3], s10, v16
	s_waitcnt vmcnt(0)
	v_cndmask_b32_e32 v23, 0, v18, vcc
	v_cmp_gt_u32_e32 vcc, s10, v17
	v_mad_u32_u24 v17, v0, 17, 8
	v_cndmask_b32_e64 v22, 0, v13, s[2:3]
	v_cmp_gt_u32_e64 s[2:3], s10, v17
	v_mad_u32_u24 v17, v0, 17, 4
	v_cndmask_b32_e32 v18, 0, v2, vcc
	v_cmp_gt_u32_e32 vcc, s10, v19
	v_mad_u32_u24 v19, v0, 17, 6
	v_mad_u32_u24 v27, v0, 17, 3
	v_cmp_gt_u32_e64 s[4:5], s10, v17
	v_cndmask_b32_e64 v25, 0, v20, s[2:3]
	v_cmp_gt_u32_e64 s[2:3], s10, v19
	v_mad_u32_u24 v28, v0, 17, 1
	v_lshrrev_b32_e32 v31, 16, v7
	v_cndmask_b32_e64 v19, 0, v11, s[4:5]
	v_cmp_gt_u32_e64 s[4:5], s10, v27
	v_mad_u32_u24 v30, v0, 17, 2
	v_mul_u32_u24_e32 v29, 17, v0
	v_cndmask_b32_e64 v27, 0, v31, s[4:5]
	v_cmp_gt_u32_e64 s[4:5], s10, v28
	v_mad_u32_u24 v26, v0, 17, 7
	v_mad_u32_u24 v15, v0, 17, 10
	v_cndmask_b32_e64 v17, 0, v6, s[4:5]
	v_cmp_gt_u32_e64 s[4:5], s10, v30
	v_cndmask_b32_e64 v20, 0, v8, s[2:3]
	v_cmp_gt_u32_e64 s[2:3], s10, v26
	v_mad_u32_u24 v16, v0, 17, 5
	v_cndmask_b32_e64 v28, 0, v7, s[4:5]
	v_cmp_ne_u32_e64 s[4:5], 0, v0
	v_cmp_gt_u32_e64 s[6:7], s10, v29
	s_mov_b32 s13, 0x5040100
	v_cndmask_b32_e32 v24, 0, v3, vcc
	v_cmp_gt_u32_e32 vcc, s10, v15
	v_lshrrev_b32_e32 v15, 16, v13
	v_cndmask_b32_e64 v26, 0, v12, s[2:3]
	v_cmp_gt_u32_e64 s[2:3], s10, v16
	v_lshrrev_b32_e32 v16, 16, v11
	s_and_b64 s[6:7], s[4:5], s[6:7]
	ds_write_b16 v10, v5
	s_waitcnt lgkmcnt(0)
	s_barrier
	s_and_saveexec_b64 s[4:5], s[6:7]
	s_cbranch_execz .LBB316_56
; %bb.55:
	v_add_u32_e32 v29, -2, v10
	ds_read_u16 v29, v29
	s_waitcnt lgkmcnt(0)
	v_sub_u16_e32 v6, v6, v29
.LBB316_56:
	s_or_b64 exec, exec, s[4:5]
	v_perm_b32 v14, v14, v1, s13
	v_cndmask_b32_e32 v15, 0, v15, vcc
	v_cndmask_b32_e64 v16, 0, v16, s[2:3]
	v_perm_b32 v17, v28, v17, s13
	v_perm_b32 v19, v19, v27, s13
	;; [unrolled: 1-line block ×6, first 2 shown]
	v_mov_b32_e32 v1, v6
.LBB316_57:
	s_add_u32 s4, s8, s14
	v_pk_sub_i16 v6, v11, v19
	v_pk_sub_i16 v17, v7, v17
	v_sub_u16_e32 v7, v8, v16
	v_sub_u16_e32 v16, v2, v15
	v_pk_sub_i16 v2, v9, v21
	v_pk_sub_i16 v18, v3, v18
	v_sub_u16_sdwa v3, v4, v14 dst_sel:DWORD dst_unused:UNUSED_PAD src0_sel:DWORD src1_sel:WORD_1
	s_addc_u32 s5, s9, s15
	v_pk_sub_i16 v13, v13, v22
	v_pk_sub_i16 v12, v12, v20
	v_sub_u16_e32 v5, v5, v14
	s_and_b64 vcc, exec, s[0:1]
	v_mul_u32_u24_e32 v9, 34, v0
	v_alignbit_b32 v8, v7, v6, 16
	v_alignbit_b32 v7, v6, v17, 16
	v_alignbit_b32 v4, v3, v2, 16
	v_alignbit_b32 v3, v2, v18, 16
	v_lshlrev_b32_e32 v19, 5, v0
	s_barrier
	s_cbranch_vccz .LBB316_91
; %bb.58:
	s_mov_b32 s2, 0x5040100
	v_perm_b32 v6, v17, v1, s2
	v_perm_b32 v2, v18, v16, s2
	ds_write_b96 v9, v[6:8]
	ds_write_b64 v9, v[12:13] offset:12
	ds_write_b96 v9, v[2:4] offset:20
	ds_write_b16 v9, v5 offset:32
	v_sub_u32_e32 v2, v9, v19
	s_waitcnt lgkmcnt(0)
	s_barrier
	ds_read_u16 v33, v2 offset:512
	ds_read_u16 v32, v2 offset:1024
	;; [unrolled: 1-line block ×10, first 2 shown]
	s_waitcnt vmcnt(0)
	ds_read_u16 v23, v2 offset:5632
	ds_read_u16 v22, v2 offset:6144
	;; [unrolled: 1-line block ×6, first 2 shown]
	s_mov_b32 s13, 0
	s_add_i32 s11, s11, s10
	s_lshl_b64 s[0:1], s[12:13], 1
	s_add_u32 s0, s4, s0
	s_addc_u32 s1, s5, s1
	v_mov_b32_e32 v11, 0
	v_lshl_add_u64 v[14:15], s[0:1], 0, v[10:11]
	v_cmp_gt_u32_e32 vcc, s11, v0
	s_and_saveexec_b64 s[0:1], vcc
	s_cbranch_execz .LBB316_60
; %bb.59:
	v_sub_u32_e32 v11, 0, v19
	v_add_u32_e32 v11, v9, v11
	ds_read_u16 v11, v11
	s_waitcnt lgkmcnt(0)
	global_store_short v[14:15], v11, off
.LBB316_60:
	s_or_b64 exec, exec, s[0:1]
	v_or_b32_e32 v11, 0x100, v0
	v_cmp_gt_u32_e32 vcc, s11, v11
	s_and_saveexec_b64 s[0:1], vcc
	s_cbranch_execz .LBB316_62
; %bb.61:
	s_waitcnt lgkmcnt(14)
	global_store_short v[14:15], v33, off offset:512
.LBB316_62:
	s_or_b64 exec, exec, s[0:1]
	v_or_b32_e32 v11, 0x200, v0
	v_cmp_gt_u32_e32 vcc, s11, v11
	s_and_saveexec_b64 s[0:1], vcc
	s_cbranch_execz .LBB316_64
; %bb.63:
	s_waitcnt lgkmcnt(14)
	global_store_short v[14:15], v32, off offset:1024
.LBB316_64:
	;; [unrolled: 9-line block ×7, first 2 shown]
	s_or_b64 exec, exec, s[0:1]
	v_or_b32_e32 v11, 0x800, v0
	v_cmp_gt_u32_e32 vcc, s11, v11
	s_and_saveexec_b64 s[0:1], vcc
	s_cbranch_execz .LBB316_76
; %bb.75:
	s_waitcnt lgkmcnt(10)
	v_add_co_u32_e32 v28, vcc, 0x1000, v14
	s_nop 1
	v_addc_co_u32_e32 v29, vcc, 0, v15, vcc
	s_waitcnt lgkmcnt(8)
	global_store_short v[28:29], v26, off
.LBB316_76:
	s_or_b64 exec, exec, s[0:1]
	v_or_b32_e32 v11, 0x900, v0
	v_cmp_gt_u32_e32 vcc, s11, v11
	s_and_saveexec_b64 s[0:1], vcc
	s_cbranch_execz .LBB316_78
; %bb.77:
	s_waitcnt lgkmcnt(8)
	v_add_co_u32_e32 v26, vcc, 0x1000, v14
	s_nop 1
	v_addc_co_u32_e32 v27, vcc, 0, v15, vcc
	s_waitcnt lgkmcnt(7)
	global_store_short v[26:27], v25, off offset:512
.LBB316_78:
	s_or_b64 exec, exec, s[0:1]
	v_or_b32_e32 v11, 0xa00, v0
	v_cmp_gt_u32_e32 vcc, s11, v11
	s_and_saveexec_b64 s[0:1], vcc
	s_cbranch_execz .LBB316_80
; %bb.79:
	s_waitcnt lgkmcnt(8)
	v_add_co_u32_e32 v26, vcc, 0x1000, v14
	s_nop 1
	v_addc_co_u32_e32 v27, vcc, 0, v15, vcc
	s_waitcnt lgkmcnt(6)
	global_store_short v[26:27], v24, off offset:1024
.LBB316_80:
	;; [unrolled: 13-line block ×7, first 2 shown]
	s_or_b64 exec, exec, s[0:1]
	v_or_b32_e32 v0, 0x1000, v0
	v_cmp_gt_u32_e64 s[0:1], s11, v0
	s_branch .LBB316_93
.LBB316_91:
	s_mov_b64 s[0:1], 0
                                        ; implicit-def: $vgpr2
                                        ; implicit-def: $vgpr14_vgpr15
	s_cbranch_execz .LBB316_93
; %bb.92:
	s_mov_b32 s13, 0
	s_lshl_b64 s[2:3], s[12:13], 1
	s_add_u32 s2, s4, s2
	s_mov_b32 s4, 0x5040100
	s_waitcnt lgkmcnt(1)
	v_perm_b32 v6, v17, v1, s4
	s_waitcnt lgkmcnt(0)
	v_perm_b32 v2, v18, v16, s4
	v_sub_u32_e32 v0, v9, v19
	s_addc_u32 s3, s5, s3
	ds_write_b96 v9, v[6:8]
	ds_write_b64 v9, v[12:13] offset:12
	ds_write_b96 v9, v[2:4] offset:20
	ds_write_b16 v9, v5 offset:32
	s_waitcnt lgkmcnt(0)
	s_barrier
	ds_read_u16 v1, v0
	ds_read_u16 v3, v0 offset:512
	ds_read_u16 v4, v0 offset:1024
	;; [unrolled: 1-line block ×16, first 2 shown]
	v_mov_b32_e32 v11, 0
	v_lshl_add_u64 v[14:15], s[2:3], 0, v[10:11]
	v_add_co_u32_e32 v0, vcc, 0x1000, v14
	s_waitcnt lgkmcnt(14)
	global_store_short v10, v1, s[2:3]
	global_store_short v10, v3, s[2:3] offset:512
	global_store_short v10, v4, s[2:3] offset:1024
	s_waitcnt lgkmcnt(13)
	global_store_short v10, v5, s[2:3] offset:1536
	s_waitcnt lgkmcnt(12)
	;; [unrolled: 2-line block ×5, first 2 shown]
	global_store_short v10, v9, s[2:3] offset:3584
	v_addc_co_u32_e32 v1, vcc, 0, v15, vcc
	s_or_b64 s[0:1], s[0:1], exec
	s_waitcnt lgkmcnt(8)
	global_store_short v[0:1], v12, off
	s_waitcnt lgkmcnt(7)
	global_store_short v[0:1], v13, off offset:512
	s_waitcnt lgkmcnt(6)
	global_store_short v[0:1], v16, off offset:1024
	s_waitcnt lgkmcnt(5)
	global_store_short v[0:1], v17, off offset:1536
	s_waitcnt lgkmcnt(4)
	global_store_short v[0:1], v18, off offset:2048
	s_waitcnt lgkmcnt(3)
	global_store_short v[0:1], v19, off offset:2560
	s_waitcnt lgkmcnt(2)
	global_store_short v[0:1], v20, off offset:3072
	s_waitcnt lgkmcnt(1)
	global_store_short v[0:1], v21, off offset:3584
.LBB316_93:
	s_and_saveexec_b64 s[2:3], s[0:1]
	s_cbranch_execnz .LBB316_95
; %bb.94:
	s_endpgm
.LBB316_95:
	v_add_co_u32_e32 v0, vcc, 0x2000, v14
	s_nop 1
	v_addc_co_u32_e32 v1, vcc, 0, v15, vcc
	s_waitcnt lgkmcnt(0)
	global_store_short v[0:1], v2, off
	s_endpgm
	.section	.rodata,"a",@progbits
	.p2align	6, 0x0
	.amdhsa_kernel _ZN7rocprim17ROCPRIM_400000_NS6detail17trampoline_kernelINS0_14default_configENS1_35adjacent_difference_config_selectorILb0EtEEZNS1_24adjacent_difference_implIS3_Lb0ELb0EPtS7_N6thrust23THRUST_200600_302600_NS5minusItEEEE10hipError_tPvRmT2_T3_mT4_P12ihipStream_tbEUlT_E_NS1_11comp_targetILNS1_3genE5ELNS1_11target_archE942ELNS1_3gpuE9ELNS1_3repE0EEENS1_30default_config_static_selectorELNS0_4arch9wavefront6targetE1EEEvT1_
		.amdhsa_group_segment_fixed_size 8704
		.amdhsa_private_segment_fixed_size 0
		.amdhsa_kernarg_size 56
		.amdhsa_user_sgpr_count 2
		.amdhsa_user_sgpr_dispatch_ptr 0
		.amdhsa_user_sgpr_queue_ptr 0
		.amdhsa_user_sgpr_kernarg_segment_ptr 1
		.amdhsa_user_sgpr_dispatch_id 0
		.amdhsa_user_sgpr_kernarg_preload_length 0
		.amdhsa_user_sgpr_kernarg_preload_offset 0
		.amdhsa_user_sgpr_private_segment_size 0
		.amdhsa_uses_dynamic_stack 0
		.amdhsa_enable_private_segment 0
		.amdhsa_system_sgpr_workgroup_id_x 1
		.amdhsa_system_sgpr_workgroup_id_y 0
		.amdhsa_system_sgpr_workgroup_id_z 0
		.amdhsa_system_sgpr_workgroup_info 0
		.amdhsa_system_vgpr_workitem_id 0
		.amdhsa_next_free_vgpr 34
		.amdhsa_next_free_sgpr 23
		.amdhsa_accum_offset 36
		.amdhsa_reserve_vcc 1
		.amdhsa_float_round_mode_32 0
		.amdhsa_float_round_mode_16_64 0
		.amdhsa_float_denorm_mode_32 3
		.amdhsa_float_denorm_mode_16_64 3
		.amdhsa_dx10_clamp 1
		.amdhsa_ieee_mode 1
		.amdhsa_fp16_overflow 0
		.amdhsa_tg_split 0
		.amdhsa_exception_fp_ieee_invalid_op 0
		.amdhsa_exception_fp_denorm_src 0
		.amdhsa_exception_fp_ieee_div_zero 0
		.amdhsa_exception_fp_ieee_overflow 0
		.amdhsa_exception_fp_ieee_underflow 0
		.amdhsa_exception_fp_ieee_inexact 0
		.amdhsa_exception_int_div_zero 0
	.end_amdhsa_kernel
	.section	.text._ZN7rocprim17ROCPRIM_400000_NS6detail17trampoline_kernelINS0_14default_configENS1_35adjacent_difference_config_selectorILb0EtEEZNS1_24adjacent_difference_implIS3_Lb0ELb0EPtS7_N6thrust23THRUST_200600_302600_NS5minusItEEEE10hipError_tPvRmT2_T3_mT4_P12ihipStream_tbEUlT_E_NS1_11comp_targetILNS1_3genE5ELNS1_11target_archE942ELNS1_3gpuE9ELNS1_3repE0EEENS1_30default_config_static_selectorELNS0_4arch9wavefront6targetE1EEEvT1_,"axG",@progbits,_ZN7rocprim17ROCPRIM_400000_NS6detail17trampoline_kernelINS0_14default_configENS1_35adjacent_difference_config_selectorILb0EtEEZNS1_24adjacent_difference_implIS3_Lb0ELb0EPtS7_N6thrust23THRUST_200600_302600_NS5minusItEEEE10hipError_tPvRmT2_T3_mT4_P12ihipStream_tbEUlT_E_NS1_11comp_targetILNS1_3genE5ELNS1_11target_archE942ELNS1_3gpuE9ELNS1_3repE0EEENS1_30default_config_static_selectorELNS0_4arch9wavefront6targetE1EEEvT1_,comdat
.Lfunc_end316:
	.size	_ZN7rocprim17ROCPRIM_400000_NS6detail17trampoline_kernelINS0_14default_configENS1_35adjacent_difference_config_selectorILb0EtEEZNS1_24adjacent_difference_implIS3_Lb0ELb0EPtS7_N6thrust23THRUST_200600_302600_NS5minusItEEEE10hipError_tPvRmT2_T3_mT4_P12ihipStream_tbEUlT_E_NS1_11comp_targetILNS1_3genE5ELNS1_11target_archE942ELNS1_3gpuE9ELNS1_3repE0EEENS1_30default_config_static_selectorELNS0_4arch9wavefront6targetE1EEEvT1_, .Lfunc_end316-_ZN7rocprim17ROCPRIM_400000_NS6detail17trampoline_kernelINS0_14default_configENS1_35adjacent_difference_config_selectorILb0EtEEZNS1_24adjacent_difference_implIS3_Lb0ELb0EPtS7_N6thrust23THRUST_200600_302600_NS5minusItEEEE10hipError_tPvRmT2_T3_mT4_P12ihipStream_tbEUlT_E_NS1_11comp_targetILNS1_3genE5ELNS1_11target_archE942ELNS1_3gpuE9ELNS1_3repE0EEENS1_30default_config_static_selectorELNS0_4arch9wavefront6targetE1EEEvT1_
                                        ; -- End function
	.section	.AMDGPU.csdata,"",@progbits
; Kernel info:
; codeLenInByte = 4636
; NumSgprs: 29
; NumVgprs: 34
; NumAgprs: 0
; TotalNumVgprs: 34
; ScratchSize: 0
; MemoryBound: 0
; FloatMode: 240
; IeeeMode: 1
; LDSByteSize: 8704 bytes/workgroup (compile time only)
; SGPRBlocks: 3
; VGPRBlocks: 4
; NumSGPRsForWavesPerEU: 29
; NumVGPRsForWavesPerEU: 34
; AccumOffset: 36
; Occupancy: 7
; WaveLimiterHint : 1
; COMPUTE_PGM_RSRC2:SCRATCH_EN: 0
; COMPUTE_PGM_RSRC2:USER_SGPR: 2
; COMPUTE_PGM_RSRC2:TRAP_HANDLER: 0
; COMPUTE_PGM_RSRC2:TGID_X_EN: 1
; COMPUTE_PGM_RSRC2:TGID_Y_EN: 0
; COMPUTE_PGM_RSRC2:TGID_Z_EN: 0
; COMPUTE_PGM_RSRC2:TIDIG_COMP_CNT: 0
; COMPUTE_PGM_RSRC3_GFX90A:ACCUM_OFFSET: 8
; COMPUTE_PGM_RSRC3_GFX90A:TG_SPLIT: 0
	.section	.text._ZN7rocprim17ROCPRIM_400000_NS6detail17trampoline_kernelINS0_14default_configENS1_35adjacent_difference_config_selectorILb0EtEEZNS1_24adjacent_difference_implIS3_Lb0ELb0EPtS7_N6thrust23THRUST_200600_302600_NS5minusItEEEE10hipError_tPvRmT2_T3_mT4_P12ihipStream_tbEUlT_E_NS1_11comp_targetILNS1_3genE4ELNS1_11target_archE910ELNS1_3gpuE8ELNS1_3repE0EEENS1_30default_config_static_selectorELNS0_4arch9wavefront6targetE1EEEvT1_,"axG",@progbits,_ZN7rocprim17ROCPRIM_400000_NS6detail17trampoline_kernelINS0_14default_configENS1_35adjacent_difference_config_selectorILb0EtEEZNS1_24adjacent_difference_implIS3_Lb0ELb0EPtS7_N6thrust23THRUST_200600_302600_NS5minusItEEEE10hipError_tPvRmT2_T3_mT4_P12ihipStream_tbEUlT_E_NS1_11comp_targetILNS1_3genE4ELNS1_11target_archE910ELNS1_3gpuE8ELNS1_3repE0EEENS1_30default_config_static_selectorELNS0_4arch9wavefront6targetE1EEEvT1_,comdat
	.protected	_ZN7rocprim17ROCPRIM_400000_NS6detail17trampoline_kernelINS0_14default_configENS1_35adjacent_difference_config_selectorILb0EtEEZNS1_24adjacent_difference_implIS3_Lb0ELb0EPtS7_N6thrust23THRUST_200600_302600_NS5minusItEEEE10hipError_tPvRmT2_T3_mT4_P12ihipStream_tbEUlT_E_NS1_11comp_targetILNS1_3genE4ELNS1_11target_archE910ELNS1_3gpuE8ELNS1_3repE0EEENS1_30default_config_static_selectorELNS0_4arch9wavefront6targetE1EEEvT1_ ; -- Begin function _ZN7rocprim17ROCPRIM_400000_NS6detail17trampoline_kernelINS0_14default_configENS1_35adjacent_difference_config_selectorILb0EtEEZNS1_24adjacent_difference_implIS3_Lb0ELb0EPtS7_N6thrust23THRUST_200600_302600_NS5minusItEEEE10hipError_tPvRmT2_T3_mT4_P12ihipStream_tbEUlT_E_NS1_11comp_targetILNS1_3genE4ELNS1_11target_archE910ELNS1_3gpuE8ELNS1_3repE0EEENS1_30default_config_static_selectorELNS0_4arch9wavefront6targetE1EEEvT1_
	.globl	_ZN7rocprim17ROCPRIM_400000_NS6detail17trampoline_kernelINS0_14default_configENS1_35adjacent_difference_config_selectorILb0EtEEZNS1_24adjacent_difference_implIS3_Lb0ELb0EPtS7_N6thrust23THRUST_200600_302600_NS5minusItEEEE10hipError_tPvRmT2_T3_mT4_P12ihipStream_tbEUlT_E_NS1_11comp_targetILNS1_3genE4ELNS1_11target_archE910ELNS1_3gpuE8ELNS1_3repE0EEENS1_30default_config_static_selectorELNS0_4arch9wavefront6targetE1EEEvT1_
	.p2align	8
	.type	_ZN7rocprim17ROCPRIM_400000_NS6detail17trampoline_kernelINS0_14default_configENS1_35adjacent_difference_config_selectorILb0EtEEZNS1_24adjacent_difference_implIS3_Lb0ELb0EPtS7_N6thrust23THRUST_200600_302600_NS5minusItEEEE10hipError_tPvRmT2_T3_mT4_P12ihipStream_tbEUlT_E_NS1_11comp_targetILNS1_3genE4ELNS1_11target_archE910ELNS1_3gpuE8ELNS1_3repE0EEENS1_30default_config_static_selectorELNS0_4arch9wavefront6targetE1EEEvT1_,@function
_ZN7rocprim17ROCPRIM_400000_NS6detail17trampoline_kernelINS0_14default_configENS1_35adjacent_difference_config_selectorILb0EtEEZNS1_24adjacent_difference_implIS3_Lb0ELb0EPtS7_N6thrust23THRUST_200600_302600_NS5minusItEEEE10hipError_tPvRmT2_T3_mT4_P12ihipStream_tbEUlT_E_NS1_11comp_targetILNS1_3genE4ELNS1_11target_archE910ELNS1_3gpuE8ELNS1_3repE0EEENS1_30default_config_static_selectorELNS0_4arch9wavefront6targetE1EEEvT1_: ; @_ZN7rocprim17ROCPRIM_400000_NS6detail17trampoline_kernelINS0_14default_configENS1_35adjacent_difference_config_selectorILb0EtEEZNS1_24adjacent_difference_implIS3_Lb0ELb0EPtS7_N6thrust23THRUST_200600_302600_NS5minusItEEEE10hipError_tPvRmT2_T3_mT4_P12ihipStream_tbEUlT_E_NS1_11comp_targetILNS1_3genE4ELNS1_11target_archE910ELNS1_3gpuE8ELNS1_3repE0EEENS1_30default_config_static_selectorELNS0_4arch9wavefront6targetE1EEEvT1_
; %bb.0:
	.section	.rodata,"a",@progbits
	.p2align	6, 0x0
	.amdhsa_kernel _ZN7rocprim17ROCPRIM_400000_NS6detail17trampoline_kernelINS0_14default_configENS1_35adjacent_difference_config_selectorILb0EtEEZNS1_24adjacent_difference_implIS3_Lb0ELb0EPtS7_N6thrust23THRUST_200600_302600_NS5minusItEEEE10hipError_tPvRmT2_T3_mT4_P12ihipStream_tbEUlT_E_NS1_11comp_targetILNS1_3genE4ELNS1_11target_archE910ELNS1_3gpuE8ELNS1_3repE0EEENS1_30default_config_static_selectorELNS0_4arch9wavefront6targetE1EEEvT1_
		.amdhsa_group_segment_fixed_size 0
		.amdhsa_private_segment_fixed_size 0
		.amdhsa_kernarg_size 56
		.amdhsa_user_sgpr_count 2
		.amdhsa_user_sgpr_dispatch_ptr 0
		.amdhsa_user_sgpr_queue_ptr 0
		.amdhsa_user_sgpr_kernarg_segment_ptr 1
		.amdhsa_user_sgpr_dispatch_id 0
		.amdhsa_user_sgpr_kernarg_preload_length 0
		.amdhsa_user_sgpr_kernarg_preload_offset 0
		.amdhsa_user_sgpr_private_segment_size 0
		.amdhsa_uses_dynamic_stack 0
		.amdhsa_enable_private_segment 0
		.amdhsa_system_sgpr_workgroup_id_x 1
		.amdhsa_system_sgpr_workgroup_id_y 0
		.amdhsa_system_sgpr_workgroup_id_z 0
		.amdhsa_system_sgpr_workgroup_info 0
		.amdhsa_system_vgpr_workitem_id 0
		.amdhsa_next_free_vgpr 1
		.amdhsa_next_free_sgpr 0
		.amdhsa_accum_offset 4
		.amdhsa_reserve_vcc 0
		.amdhsa_float_round_mode_32 0
		.amdhsa_float_round_mode_16_64 0
		.amdhsa_float_denorm_mode_32 3
		.amdhsa_float_denorm_mode_16_64 3
		.amdhsa_dx10_clamp 1
		.amdhsa_ieee_mode 1
		.amdhsa_fp16_overflow 0
		.amdhsa_tg_split 0
		.amdhsa_exception_fp_ieee_invalid_op 0
		.amdhsa_exception_fp_denorm_src 0
		.amdhsa_exception_fp_ieee_div_zero 0
		.amdhsa_exception_fp_ieee_overflow 0
		.amdhsa_exception_fp_ieee_underflow 0
		.amdhsa_exception_fp_ieee_inexact 0
		.amdhsa_exception_int_div_zero 0
	.end_amdhsa_kernel
	.section	.text._ZN7rocprim17ROCPRIM_400000_NS6detail17trampoline_kernelINS0_14default_configENS1_35adjacent_difference_config_selectorILb0EtEEZNS1_24adjacent_difference_implIS3_Lb0ELb0EPtS7_N6thrust23THRUST_200600_302600_NS5minusItEEEE10hipError_tPvRmT2_T3_mT4_P12ihipStream_tbEUlT_E_NS1_11comp_targetILNS1_3genE4ELNS1_11target_archE910ELNS1_3gpuE8ELNS1_3repE0EEENS1_30default_config_static_selectorELNS0_4arch9wavefront6targetE1EEEvT1_,"axG",@progbits,_ZN7rocprim17ROCPRIM_400000_NS6detail17trampoline_kernelINS0_14default_configENS1_35adjacent_difference_config_selectorILb0EtEEZNS1_24adjacent_difference_implIS3_Lb0ELb0EPtS7_N6thrust23THRUST_200600_302600_NS5minusItEEEE10hipError_tPvRmT2_T3_mT4_P12ihipStream_tbEUlT_E_NS1_11comp_targetILNS1_3genE4ELNS1_11target_archE910ELNS1_3gpuE8ELNS1_3repE0EEENS1_30default_config_static_selectorELNS0_4arch9wavefront6targetE1EEEvT1_,comdat
.Lfunc_end317:
	.size	_ZN7rocprim17ROCPRIM_400000_NS6detail17trampoline_kernelINS0_14default_configENS1_35adjacent_difference_config_selectorILb0EtEEZNS1_24adjacent_difference_implIS3_Lb0ELb0EPtS7_N6thrust23THRUST_200600_302600_NS5minusItEEEE10hipError_tPvRmT2_T3_mT4_P12ihipStream_tbEUlT_E_NS1_11comp_targetILNS1_3genE4ELNS1_11target_archE910ELNS1_3gpuE8ELNS1_3repE0EEENS1_30default_config_static_selectorELNS0_4arch9wavefront6targetE1EEEvT1_, .Lfunc_end317-_ZN7rocprim17ROCPRIM_400000_NS6detail17trampoline_kernelINS0_14default_configENS1_35adjacent_difference_config_selectorILb0EtEEZNS1_24adjacent_difference_implIS3_Lb0ELb0EPtS7_N6thrust23THRUST_200600_302600_NS5minusItEEEE10hipError_tPvRmT2_T3_mT4_P12ihipStream_tbEUlT_E_NS1_11comp_targetILNS1_3genE4ELNS1_11target_archE910ELNS1_3gpuE8ELNS1_3repE0EEENS1_30default_config_static_selectorELNS0_4arch9wavefront6targetE1EEEvT1_
                                        ; -- End function
	.section	.AMDGPU.csdata,"",@progbits
; Kernel info:
; codeLenInByte = 0
; NumSgprs: 6
; NumVgprs: 0
; NumAgprs: 0
; TotalNumVgprs: 0
; ScratchSize: 0
; MemoryBound: 0
; FloatMode: 240
; IeeeMode: 1
; LDSByteSize: 0 bytes/workgroup (compile time only)
; SGPRBlocks: 0
; VGPRBlocks: 0
; NumSGPRsForWavesPerEU: 6
; NumVGPRsForWavesPerEU: 1
; AccumOffset: 4
; Occupancy: 8
; WaveLimiterHint : 0
; COMPUTE_PGM_RSRC2:SCRATCH_EN: 0
; COMPUTE_PGM_RSRC2:USER_SGPR: 2
; COMPUTE_PGM_RSRC2:TRAP_HANDLER: 0
; COMPUTE_PGM_RSRC2:TGID_X_EN: 1
; COMPUTE_PGM_RSRC2:TGID_Y_EN: 0
; COMPUTE_PGM_RSRC2:TGID_Z_EN: 0
; COMPUTE_PGM_RSRC2:TIDIG_COMP_CNT: 0
; COMPUTE_PGM_RSRC3_GFX90A:ACCUM_OFFSET: 0
; COMPUTE_PGM_RSRC3_GFX90A:TG_SPLIT: 0
	.section	.text._ZN7rocprim17ROCPRIM_400000_NS6detail17trampoline_kernelINS0_14default_configENS1_35adjacent_difference_config_selectorILb0EtEEZNS1_24adjacent_difference_implIS3_Lb0ELb0EPtS7_N6thrust23THRUST_200600_302600_NS5minusItEEEE10hipError_tPvRmT2_T3_mT4_P12ihipStream_tbEUlT_E_NS1_11comp_targetILNS1_3genE3ELNS1_11target_archE908ELNS1_3gpuE7ELNS1_3repE0EEENS1_30default_config_static_selectorELNS0_4arch9wavefront6targetE1EEEvT1_,"axG",@progbits,_ZN7rocprim17ROCPRIM_400000_NS6detail17trampoline_kernelINS0_14default_configENS1_35adjacent_difference_config_selectorILb0EtEEZNS1_24adjacent_difference_implIS3_Lb0ELb0EPtS7_N6thrust23THRUST_200600_302600_NS5minusItEEEE10hipError_tPvRmT2_T3_mT4_P12ihipStream_tbEUlT_E_NS1_11comp_targetILNS1_3genE3ELNS1_11target_archE908ELNS1_3gpuE7ELNS1_3repE0EEENS1_30default_config_static_selectorELNS0_4arch9wavefront6targetE1EEEvT1_,comdat
	.protected	_ZN7rocprim17ROCPRIM_400000_NS6detail17trampoline_kernelINS0_14default_configENS1_35adjacent_difference_config_selectorILb0EtEEZNS1_24adjacent_difference_implIS3_Lb0ELb0EPtS7_N6thrust23THRUST_200600_302600_NS5minusItEEEE10hipError_tPvRmT2_T3_mT4_P12ihipStream_tbEUlT_E_NS1_11comp_targetILNS1_3genE3ELNS1_11target_archE908ELNS1_3gpuE7ELNS1_3repE0EEENS1_30default_config_static_selectorELNS0_4arch9wavefront6targetE1EEEvT1_ ; -- Begin function _ZN7rocprim17ROCPRIM_400000_NS6detail17trampoline_kernelINS0_14default_configENS1_35adjacent_difference_config_selectorILb0EtEEZNS1_24adjacent_difference_implIS3_Lb0ELb0EPtS7_N6thrust23THRUST_200600_302600_NS5minusItEEEE10hipError_tPvRmT2_T3_mT4_P12ihipStream_tbEUlT_E_NS1_11comp_targetILNS1_3genE3ELNS1_11target_archE908ELNS1_3gpuE7ELNS1_3repE0EEENS1_30default_config_static_selectorELNS0_4arch9wavefront6targetE1EEEvT1_
	.globl	_ZN7rocprim17ROCPRIM_400000_NS6detail17trampoline_kernelINS0_14default_configENS1_35adjacent_difference_config_selectorILb0EtEEZNS1_24adjacent_difference_implIS3_Lb0ELb0EPtS7_N6thrust23THRUST_200600_302600_NS5minusItEEEE10hipError_tPvRmT2_T3_mT4_P12ihipStream_tbEUlT_E_NS1_11comp_targetILNS1_3genE3ELNS1_11target_archE908ELNS1_3gpuE7ELNS1_3repE0EEENS1_30default_config_static_selectorELNS0_4arch9wavefront6targetE1EEEvT1_
	.p2align	8
	.type	_ZN7rocprim17ROCPRIM_400000_NS6detail17trampoline_kernelINS0_14default_configENS1_35adjacent_difference_config_selectorILb0EtEEZNS1_24adjacent_difference_implIS3_Lb0ELb0EPtS7_N6thrust23THRUST_200600_302600_NS5minusItEEEE10hipError_tPvRmT2_T3_mT4_P12ihipStream_tbEUlT_E_NS1_11comp_targetILNS1_3genE3ELNS1_11target_archE908ELNS1_3gpuE7ELNS1_3repE0EEENS1_30default_config_static_selectorELNS0_4arch9wavefront6targetE1EEEvT1_,@function
_ZN7rocprim17ROCPRIM_400000_NS6detail17trampoline_kernelINS0_14default_configENS1_35adjacent_difference_config_selectorILb0EtEEZNS1_24adjacent_difference_implIS3_Lb0ELb0EPtS7_N6thrust23THRUST_200600_302600_NS5minusItEEEE10hipError_tPvRmT2_T3_mT4_P12ihipStream_tbEUlT_E_NS1_11comp_targetILNS1_3genE3ELNS1_11target_archE908ELNS1_3gpuE7ELNS1_3repE0EEENS1_30default_config_static_selectorELNS0_4arch9wavefront6targetE1EEEvT1_: ; @_ZN7rocprim17ROCPRIM_400000_NS6detail17trampoline_kernelINS0_14default_configENS1_35adjacent_difference_config_selectorILb0EtEEZNS1_24adjacent_difference_implIS3_Lb0ELb0EPtS7_N6thrust23THRUST_200600_302600_NS5minusItEEEE10hipError_tPvRmT2_T3_mT4_P12ihipStream_tbEUlT_E_NS1_11comp_targetILNS1_3genE3ELNS1_11target_archE908ELNS1_3gpuE7ELNS1_3repE0EEENS1_30default_config_static_selectorELNS0_4arch9wavefront6targetE1EEEvT1_
; %bb.0:
	.section	.rodata,"a",@progbits
	.p2align	6, 0x0
	.amdhsa_kernel _ZN7rocprim17ROCPRIM_400000_NS6detail17trampoline_kernelINS0_14default_configENS1_35adjacent_difference_config_selectorILb0EtEEZNS1_24adjacent_difference_implIS3_Lb0ELb0EPtS7_N6thrust23THRUST_200600_302600_NS5minusItEEEE10hipError_tPvRmT2_T3_mT4_P12ihipStream_tbEUlT_E_NS1_11comp_targetILNS1_3genE3ELNS1_11target_archE908ELNS1_3gpuE7ELNS1_3repE0EEENS1_30default_config_static_selectorELNS0_4arch9wavefront6targetE1EEEvT1_
		.amdhsa_group_segment_fixed_size 0
		.amdhsa_private_segment_fixed_size 0
		.amdhsa_kernarg_size 56
		.amdhsa_user_sgpr_count 2
		.amdhsa_user_sgpr_dispatch_ptr 0
		.amdhsa_user_sgpr_queue_ptr 0
		.amdhsa_user_sgpr_kernarg_segment_ptr 1
		.amdhsa_user_sgpr_dispatch_id 0
		.amdhsa_user_sgpr_kernarg_preload_length 0
		.amdhsa_user_sgpr_kernarg_preload_offset 0
		.amdhsa_user_sgpr_private_segment_size 0
		.amdhsa_uses_dynamic_stack 0
		.amdhsa_enable_private_segment 0
		.amdhsa_system_sgpr_workgroup_id_x 1
		.amdhsa_system_sgpr_workgroup_id_y 0
		.amdhsa_system_sgpr_workgroup_id_z 0
		.amdhsa_system_sgpr_workgroup_info 0
		.amdhsa_system_vgpr_workitem_id 0
		.amdhsa_next_free_vgpr 1
		.amdhsa_next_free_sgpr 0
		.amdhsa_accum_offset 4
		.amdhsa_reserve_vcc 0
		.amdhsa_float_round_mode_32 0
		.amdhsa_float_round_mode_16_64 0
		.amdhsa_float_denorm_mode_32 3
		.amdhsa_float_denorm_mode_16_64 3
		.amdhsa_dx10_clamp 1
		.amdhsa_ieee_mode 1
		.amdhsa_fp16_overflow 0
		.amdhsa_tg_split 0
		.amdhsa_exception_fp_ieee_invalid_op 0
		.amdhsa_exception_fp_denorm_src 0
		.amdhsa_exception_fp_ieee_div_zero 0
		.amdhsa_exception_fp_ieee_overflow 0
		.amdhsa_exception_fp_ieee_underflow 0
		.amdhsa_exception_fp_ieee_inexact 0
		.amdhsa_exception_int_div_zero 0
	.end_amdhsa_kernel
	.section	.text._ZN7rocprim17ROCPRIM_400000_NS6detail17trampoline_kernelINS0_14default_configENS1_35adjacent_difference_config_selectorILb0EtEEZNS1_24adjacent_difference_implIS3_Lb0ELb0EPtS7_N6thrust23THRUST_200600_302600_NS5minusItEEEE10hipError_tPvRmT2_T3_mT4_P12ihipStream_tbEUlT_E_NS1_11comp_targetILNS1_3genE3ELNS1_11target_archE908ELNS1_3gpuE7ELNS1_3repE0EEENS1_30default_config_static_selectorELNS0_4arch9wavefront6targetE1EEEvT1_,"axG",@progbits,_ZN7rocprim17ROCPRIM_400000_NS6detail17trampoline_kernelINS0_14default_configENS1_35adjacent_difference_config_selectorILb0EtEEZNS1_24adjacent_difference_implIS3_Lb0ELb0EPtS7_N6thrust23THRUST_200600_302600_NS5minusItEEEE10hipError_tPvRmT2_T3_mT4_P12ihipStream_tbEUlT_E_NS1_11comp_targetILNS1_3genE3ELNS1_11target_archE908ELNS1_3gpuE7ELNS1_3repE0EEENS1_30default_config_static_selectorELNS0_4arch9wavefront6targetE1EEEvT1_,comdat
.Lfunc_end318:
	.size	_ZN7rocprim17ROCPRIM_400000_NS6detail17trampoline_kernelINS0_14default_configENS1_35adjacent_difference_config_selectorILb0EtEEZNS1_24adjacent_difference_implIS3_Lb0ELb0EPtS7_N6thrust23THRUST_200600_302600_NS5minusItEEEE10hipError_tPvRmT2_T3_mT4_P12ihipStream_tbEUlT_E_NS1_11comp_targetILNS1_3genE3ELNS1_11target_archE908ELNS1_3gpuE7ELNS1_3repE0EEENS1_30default_config_static_selectorELNS0_4arch9wavefront6targetE1EEEvT1_, .Lfunc_end318-_ZN7rocprim17ROCPRIM_400000_NS6detail17trampoline_kernelINS0_14default_configENS1_35adjacent_difference_config_selectorILb0EtEEZNS1_24adjacent_difference_implIS3_Lb0ELb0EPtS7_N6thrust23THRUST_200600_302600_NS5minusItEEEE10hipError_tPvRmT2_T3_mT4_P12ihipStream_tbEUlT_E_NS1_11comp_targetILNS1_3genE3ELNS1_11target_archE908ELNS1_3gpuE7ELNS1_3repE0EEENS1_30default_config_static_selectorELNS0_4arch9wavefront6targetE1EEEvT1_
                                        ; -- End function
	.section	.AMDGPU.csdata,"",@progbits
; Kernel info:
; codeLenInByte = 0
; NumSgprs: 6
; NumVgprs: 0
; NumAgprs: 0
; TotalNumVgprs: 0
; ScratchSize: 0
; MemoryBound: 0
; FloatMode: 240
; IeeeMode: 1
; LDSByteSize: 0 bytes/workgroup (compile time only)
; SGPRBlocks: 0
; VGPRBlocks: 0
; NumSGPRsForWavesPerEU: 6
; NumVGPRsForWavesPerEU: 1
; AccumOffset: 4
; Occupancy: 8
; WaveLimiterHint : 0
; COMPUTE_PGM_RSRC2:SCRATCH_EN: 0
; COMPUTE_PGM_RSRC2:USER_SGPR: 2
; COMPUTE_PGM_RSRC2:TRAP_HANDLER: 0
; COMPUTE_PGM_RSRC2:TGID_X_EN: 1
; COMPUTE_PGM_RSRC2:TGID_Y_EN: 0
; COMPUTE_PGM_RSRC2:TGID_Z_EN: 0
; COMPUTE_PGM_RSRC2:TIDIG_COMP_CNT: 0
; COMPUTE_PGM_RSRC3_GFX90A:ACCUM_OFFSET: 0
; COMPUTE_PGM_RSRC3_GFX90A:TG_SPLIT: 0
	.section	.text._ZN7rocprim17ROCPRIM_400000_NS6detail17trampoline_kernelINS0_14default_configENS1_35adjacent_difference_config_selectorILb0EtEEZNS1_24adjacent_difference_implIS3_Lb0ELb0EPtS7_N6thrust23THRUST_200600_302600_NS5minusItEEEE10hipError_tPvRmT2_T3_mT4_P12ihipStream_tbEUlT_E_NS1_11comp_targetILNS1_3genE2ELNS1_11target_archE906ELNS1_3gpuE6ELNS1_3repE0EEENS1_30default_config_static_selectorELNS0_4arch9wavefront6targetE1EEEvT1_,"axG",@progbits,_ZN7rocprim17ROCPRIM_400000_NS6detail17trampoline_kernelINS0_14default_configENS1_35adjacent_difference_config_selectorILb0EtEEZNS1_24adjacent_difference_implIS3_Lb0ELb0EPtS7_N6thrust23THRUST_200600_302600_NS5minusItEEEE10hipError_tPvRmT2_T3_mT4_P12ihipStream_tbEUlT_E_NS1_11comp_targetILNS1_3genE2ELNS1_11target_archE906ELNS1_3gpuE6ELNS1_3repE0EEENS1_30default_config_static_selectorELNS0_4arch9wavefront6targetE1EEEvT1_,comdat
	.protected	_ZN7rocprim17ROCPRIM_400000_NS6detail17trampoline_kernelINS0_14default_configENS1_35adjacent_difference_config_selectorILb0EtEEZNS1_24adjacent_difference_implIS3_Lb0ELb0EPtS7_N6thrust23THRUST_200600_302600_NS5minusItEEEE10hipError_tPvRmT2_T3_mT4_P12ihipStream_tbEUlT_E_NS1_11comp_targetILNS1_3genE2ELNS1_11target_archE906ELNS1_3gpuE6ELNS1_3repE0EEENS1_30default_config_static_selectorELNS0_4arch9wavefront6targetE1EEEvT1_ ; -- Begin function _ZN7rocprim17ROCPRIM_400000_NS6detail17trampoline_kernelINS0_14default_configENS1_35adjacent_difference_config_selectorILb0EtEEZNS1_24adjacent_difference_implIS3_Lb0ELb0EPtS7_N6thrust23THRUST_200600_302600_NS5minusItEEEE10hipError_tPvRmT2_T3_mT4_P12ihipStream_tbEUlT_E_NS1_11comp_targetILNS1_3genE2ELNS1_11target_archE906ELNS1_3gpuE6ELNS1_3repE0EEENS1_30default_config_static_selectorELNS0_4arch9wavefront6targetE1EEEvT1_
	.globl	_ZN7rocprim17ROCPRIM_400000_NS6detail17trampoline_kernelINS0_14default_configENS1_35adjacent_difference_config_selectorILb0EtEEZNS1_24adjacent_difference_implIS3_Lb0ELb0EPtS7_N6thrust23THRUST_200600_302600_NS5minusItEEEE10hipError_tPvRmT2_T3_mT4_P12ihipStream_tbEUlT_E_NS1_11comp_targetILNS1_3genE2ELNS1_11target_archE906ELNS1_3gpuE6ELNS1_3repE0EEENS1_30default_config_static_selectorELNS0_4arch9wavefront6targetE1EEEvT1_
	.p2align	8
	.type	_ZN7rocprim17ROCPRIM_400000_NS6detail17trampoline_kernelINS0_14default_configENS1_35adjacent_difference_config_selectorILb0EtEEZNS1_24adjacent_difference_implIS3_Lb0ELb0EPtS7_N6thrust23THRUST_200600_302600_NS5minusItEEEE10hipError_tPvRmT2_T3_mT4_P12ihipStream_tbEUlT_E_NS1_11comp_targetILNS1_3genE2ELNS1_11target_archE906ELNS1_3gpuE6ELNS1_3repE0EEENS1_30default_config_static_selectorELNS0_4arch9wavefront6targetE1EEEvT1_,@function
_ZN7rocprim17ROCPRIM_400000_NS6detail17trampoline_kernelINS0_14default_configENS1_35adjacent_difference_config_selectorILb0EtEEZNS1_24adjacent_difference_implIS3_Lb0ELb0EPtS7_N6thrust23THRUST_200600_302600_NS5minusItEEEE10hipError_tPvRmT2_T3_mT4_P12ihipStream_tbEUlT_E_NS1_11comp_targetILNS1_3genE2ELNS1_11target_archE906ELNS1_3gpuE6ELNS1_3repE0EEENS1_30default_config_static_selectorELNS0_4arch9wavefront6targetE1EEEvT1_: ; @_ZN7rocprim17ROCPRIM_400000_NS6detail17trampoline_kernelINS0_14default_configENS1_35adjacent_difference_config_selectorILb0EtEEZNS1_24adjacent_difference_implIS3_Lb0ELb0EPtS7_N6thrust23THRUST_200600_302600_NS5minusItEEEE10hipError_tPvRmT2_T3_mT4_P12ihipStream_tbEUlT_E_NS1_11comp_targetILNS1_3genE2ELNS1_11target_archE906ELNS1_3gpuE6ELNS1_3repE0EEENS1_30default_config_static_selectorELNS0_4arch9wavefront6targetE1EEEvT1_
; %bb.0:
	.section	.rodata,"a",@progbits
	.p2align	6, 0x0
	.amdhsa_kernel _ZN7rocprim17ROCPRIM_400000_NS6detail17trampoline_kernelINS0_14default_configENS1_35adjacent_difference_config_selectorILb0EtEEZNS1_24adjacent_difference_implIS3_Lb0ELb0EPtS7_N6thrust23THRUST_200600_302600_NS5minusItEEEE10hipError_tPvRmT2_T3_mT4_P12ihipStream_tbEUlT_E_NS1_11comp_targetILNS1_3genE2ELNS1_11target_archE906ELNS1_3gpuE6ELNS1_3repE0EEENS1_30default_config_static_selectorELNS0_4arch9wavefront6targetE1EEEvT1_
		.amdhsa_group_segment_fixed_size 0
		.amdhsa_private_segment_fixed_size 0
		.amdhsa_kernarg_size 56
		.amdhsa_user_sgpr_count 2
		.amdhsa_user_sgpr_dispatch_ptr 0
		.amdhsa_user_sgpr_queue_ptr 0
		.amdhsa_user_sgpr_kernarg_segment_ptr 1
		.amdhsa_user_sgpr_dispatch_id 0
		.amdhsa_user_sgpr_kernarg_preload_length 0
		.amdhsa_user_sgpr_kernarg_preload_offset 0
		.amdhsa_user_sgpr_private_segment_size 0
		.amdhsa_uses_dynamic_stack 0
		.amdhsa_enable_private_segment 0
		.amdhsa_system_sgpr_workgroup_id_x 1
		.amdhsa_system_sgpr_workgroup_id_y 0
		.amdhsa_system_sgpr_workgroup_id_z 0
		.amdhsa_system_sgpr_workgroup_info 0
		.amdhsa_system_vgpr_workitem_id 0
		.amdhsa_next_free_vgpr 1
		.amdhsa_next_free_sgpr 0
		.amdhsa_accum_offset 4
		.amdhsa_reserve_vcc 0
		.amdhsa_float_round_mode_32 0
		.amdhsa_float_round_mode_16_64 0
		.amdhsa_float_denorm_mode_32 3
		.amdhsa_float_denorm_mode_16_64 3
		.amdhsa_dx10_clamp 1
		.amdhsa_ieee_mode 1
		.amdhsa_fp16_overflow 0
		.amdhsa_tg_split 0
		.amdhsa_exception_fp_ieee_invalid_op 0
		.amdhsa_exception_fp_denorm_src 0
		.amdhsa_exception_fp_ieee_div_zero 0
		.amdhsa_exception_fp_ieee_overflow 0
		.amdhsa_exception_fp_ieee_underflow 0
		.amdhsa_exception_fp_ieee_inexact 0
		.amdhsa_exception_int_div_zero 0
	.end_amdhsa_kernel
	.section	.text._ZN7rocprim17ROCPRIM_400000_NS6detail17trampoline_kernelINS0_14default_configENS1_35adjacent_difference_config_selectorILb0EtEEZNS1_24adjacent_difference_implIS3_Lb0ELb0EPtS7_N6thrust23THRUST_200600_302600_NS5minusItEEEE10hipError_tPvRmT2_T3_mT4_P12ihipStream_tbEUlT_E_NS1_11comp_targetILNS1_3genE2ELNS1_11target_archE906ELNS1_3gpuE6ELNS1_3repE0EEENS1_30default_config_static_selectorELNS0_4arch9wavefront6targetE1EEEvT1_,"axG",@progbits,_ZN7rocprim17ROCPRIM_400000_NS6detail17trampoline_kernelINS0_14default_configENS1_35adjacent_difference_config_selectorILb0EtEEZNS1_24adjacent_difference_implIS3_Lb0ELb0EPtS7_N6thrust23THRUST_200600_302600_NS5minusItEEEE10hipError_tPvRmT2_T3_mT4_P12ihipStream_tbEUlT_E_NS1_11comp_targetILNS1_3genE2ELNS1_11target_archE906ELNS1_3gpuE6ELNS1_3repE0EEENS1_30default_config_static_selectorELNS0_4arch9wavefront6targetE1EEEvT1_,comdat
.Lfunc_end319:
	.size	_ZN7rocprim17ROCPRIM_400000_NS6detail17trampoline_kernelINS0_14default_configENS1_35adjacent_difference_config_selectorILb0EtEEZNS1_24adjacent_difference_implIS3_Lb0ELb0EPtS7_N6thrust23THRUST_200600_302600_NS5minusItEEEE10hipError_tPvRmT2_T3_mT4_P12ihipStream_tbEUlT_E_NS1_11comp_targetILNS1_3genE2ELNS1_11target_archE906ELNS1_3gpuE6ELNS1_3repE0EEENS1_30default_config_static_selectorELNS0_4arch9wavefront6targetE1EEEvT1_, .Lfunc_end319-_ZN7rocprim17ROCPRIM_400000_NS6detail17trampoline_kernelINS0_14default_configENS1_35adjacent_difference_config_selectorILb0EtEEZNS1_24adjacent_difference_implIS3_Lb0ELb0EPtS7_N6thrust23THRUST_200600_302600_NS5minusItEEEE10hipError_tPvRmT2_T3_mT4_P12ihipStream_tbEUlT_E_NS1_11comp_targetILNS1_3genE2ELNS1_11target_archE906ELNS1_3gpuE6ELNS1_3repE0EEENS1_30default_config_static_selectorELNS0_4arch9wavefront6targetE1EEEvT1_
                                        ; -- End function
	.section	.AMDGPU.csdata,"",@progbits
; Kernel info:
; codeLenInByte = 0
; NumSgprs: 6
; NumVgprs: 0
; NumAgprs: 0
; TotalNumVgprs: 0
; ScratchSize: 0
; MemoryBound: 0
; FloatMode: 240
; IeeeMode: 1
; LDSByteSize: 0 bytes/workgroup (compile time only)
; SGPRBlocks: 0
; VGPRBlocks: 0
; NumSGPRsForWavesPerEU: 6
; NumVGPRsForWavesPerEU: 1
; AccumOffset: 4
; Occupancy: 8
; WaveLimiterHint : 0
; COMPUTE_PGM_RSRC2:SCRATCH_EN: 0
; COMPUTE_PGM_RSRC2:USER_SGPR: 2
; COMPUTE_PGM_RSRC2:TRAP_HANDLER: 0
; COMPUTE_PGM_RSRC2:TGID_X_EN: 1
; COMPUTE_PGM_RSRC2:TGID_Y_EN: 0
; COMPUTE_PGM_RSRC2:TGID_Z_EN: 0
; COMPUTE_PGM_RSRC2:TIDIG_COMP_CNT: 0
; COMPUTE_PGM_RSRC3_GFX90A:ACCUM_OFFSET: 0
; COMPUTE_PGM_RSRC3_GFX90A:TG_SPLIT: 0
	.section	.text._ZN7rocprim17ROCPRIM_400000_NS6detail17trampoline_kernelINS0_14default_configENS1_35adjacent_difference_config_selectorILb0EtEEZNS1_24adjacent_difference_implIS3_Lb0ELb0EPtS7_N6thrust23THRUST_200600_302600_NS5minusItEEEE10hipError_tPvRmT2_T3_mT4_P12ihipStream_tbEUlT_E_NS1_11comp_targetILNS1_3genE9ELNS1_11target_archE1100ELNS1_3gpuE3ELNS1_3repE0EEENS1_30default_config_static_selectorELNS0_4arch9wavefront6targetE1EEEvT1_,"axG",@progbits,_ZN7rocprim17ROCPRIM_400000_NS6detail17trampoline_kernelINS0_14default_configENS1_35adjacent_difference_config_selectorILb0EtEEZNS1_24adjacent_difference_implIS3_Lb0ELb0EPtS7_N6thrust23THRUST_200600_302600_NS5minusItEEEE10hipError_tPvRmT2_T3_mT4_P12ihipStream_tbEUlT_E_NS1_11comp_targetILNS1_3genE9ELNS1_11target_archE1100ELNS1_3gpuE3ELNS1_3repE0EEENS1_30default_config_static_selectorELNS0_4arch9wavefront6targetE1EEEvT1_,comdat
	.protected	_ZN7rocprim17ROCPRIM_400000_NS6detail17trampoline_kernelINS0_14default_configENS1_35adjacent_difference_config_selectorILb0EtEEZNS1_24adjacent_difference_implIS3_Lb0ELb0EPtS7_N6thrust23THRUST_200600_302600_NS5minusItEEEE10hipError_tPvRmT2_T3_mT4_P12ihipStream_tbEUlT_E_NS1_11comp_targetILNS1_3genE9ELNS1_11target_archE1100ELNS1_3gpuE3ELNS1_3repE0EEENS1_30default_config_static_selectorELNS0_4arch9wavefront6targetE1EEEvT1_ ; -- Begin function _ZN7rocprim17ROCPRIM_400000_NS6detail17trampoline_kernelINS0_14default_configENS1_35adjacent_difference_config_selectorILb0EtEEZNS1_24adjacent_difference_implIS3_Lb0ELb0EPtS7_N6thrust23THRUST_200600_302600_NS5minusItEEEE10hipError_tPvRmT2_T3_mT4_P12ihipStream_tbEUlT_E_NS1_11comp_targetILNS1_3genE9ELNS1_11target_archE1100ELNS1_3gpuE3ELNS1_3repE0EEENS1_30default_config_static_selectorELNS0_4arch9wavefront6targetE1EEEvT1_
	.globl	_ZN7rocprim17ROCPRIM_400000_NS6detail17trampoline_kernelINS0_14default_configENS1_35adjacent_difference_config_selectorILb0EtEEZNS1_24adjacent_difference_implIS3_Lb0ELb0EPtS7_N6thrust23THRUST_200600_302600_NS5minusItEEEE10hipError_tPvRmT2_T3_mT4_P12ihipStream_tbEUlT_E_NS1_11comp_targetILNS1_3genE9ELNS1_11target_archE1100ELNS1_3gpuE3ELNS1_3repE0EEENS1_30default_config_static_selectorELNS0_4arch9wavefront6targetE1EEEvT1_
	.p2align	8
	.type	_ZN7rocprim17ROCPRIM_400000_NS6detail17trampoline_kernelINS0_14default_configENS1_35adjacent_difference_config_selectorILb0EtEEZNS1_24adjacent_difference_implIS3_Lb0ELb0EPtS7_N6thrust23THRUST_200600_302600_NS5minusItEEEE10hipError_tPvRmT2_T3_mT4_P12ihipStream_tbEUlT_E_NS1_11comp_targetILNS1_3genE9ELNS1_11target_archE1100ELNS1_3gpuE3ELNS1_3repE0EEENS1_30default_config_static_selectorELNS0_4arch9wavefront6targetE1EEEvT1_,@function
_ZN7rocprim17ROCPRIM_400000_NS6detail17trampoline_kernelINS0_14default_configENS1_35adjacent_difference_config_selectorILb0EtEEZNS1_24adjacent_difference_implIS3_Lb0ELb0EPtS7_N6thrust23THRUST_200600_302600_NS5minusItEEEE10hipError_tPvRmT2_T3_mT4_P12ihipStream_tbEUlT_E_NS1_11comp_targetILNS1_3genE9ELNS1_11target_archE1100ELNS1_3gpuE3ELNS1_3repE0EEENS1_30default_config_static_selectorELNS0_4arch9wavefront6targetE1EEEvT1_: ; @_ZN7rocprim17ROCPRIM_400000_NS6detail17trampoline_kernelINS0_14default_configENS1_35adjacent_difference_config_selectorILb0EtEEZNS1_24adjacent_difference_implIS3_Lb0ELb0EPtS7_N6thrust23THRUST_200600_302600_NS5minusItEEEE10hipError_tPvRmT2_T3_mT4_P12ihipStream_tbEUlT_E_NS1_11comp_targetILNS1_3genE9ELNS1_11target_archE1100ELNS1_3gpuE3ELNS1_3repE0EEENS1_30default_config_static_selectorELNS0_4arch9wavefront6targetE1EEEvT1_
; %bb.0:
	.section	.rodata,"a",@progbits
	.p2align	6, 0x0
	.amdhsa_kernel _ZN7rocprim17ROCPRIM_400000_NS6detail17trampoline_kernelINS0_14default_configENS1_35adjacent_difference_config_selectorILb0EtEEZNS1_24adjacent_difference_implIS3_Lb0ELb0EPtS7_N6thrust23THRUST_200600_302600_NS5minusItEEEE10hipError_tPvRmT2_T3_mT4_P12ihipStream_tbEUlT_E_NS1_11comp_targetILNS1_3genE9ELNS1_11target_archE1100ELNS1_3gpuE3ELNS1_3repE0EEENS1_30default_config_static_selectorELNS0_4arch9wavefront6targetE1EEEvT1_
		.amdhsa_group_segment_fixed_size 0
		.amdhsa_private_segment_fixed_size 0
		.amdhsa_kernarg_size 56
		.amdhsa_user_sgpr_count 2
		.amdhsa_user_sgpr_dispatch_ptr 0
		.amdhsa_user_sgpr_queue_ptr 0
		.amdhsa_user_sgpr_kernarg_segment_ptr 1
		.amdhsa_user_sgpr_dispatch_id 0
		.amdhsa_user_sgpr_kernarg_preload_length 0
		.amdhsa_user_sgpr_kernarg_preload_offset 0
		.amdhsa_user_sgpr_private_segment_size 0
		.amdhsa_uses_dynamic_stack 0
		.amdhsa_enable_private_segment 0
		.amdhsa_system_sgpr_workgroup_id_x 1
		.amdhsa_system_sgpr_workgroup_id_y 0
		.amdhsa_system_sgpr_workgroup_id_z 0
		.amdhsa_system_sgpr_workgroup_info 0
		.amdhsa_system_vgpr_workitem_id 0
		.amdhsa_next_free_vgpr 1
		.amdhsa_next_free_sgpr 0
		.amdhsa_accum_offset 4
		.amdhsa_reserve_vcc 0
		.amdhsa_float_round_mode_32 0
		.amdhsa_float_round_mode_16_64 0
		.amdhsa_float_denorm_mode_32 3
		.amdhsa_float_denorm_mode_16_64 3
		.amdhsa_dx10_clamp 1
		.amdhsa_ieee_mode 1
		.amdhsa_fp16_overflow 0
		.amdhsa_tg_split 0
		.amdhsa_exception_fp_ieee_invalid_op 0
		.amdhsa_exception_fp_denorm_src 0
		.amdhsa_exception_fp_ieee_div_zero 0
		.amdhsa_exception_fp_ieee_overflow 0
		.amdhsa_exception_fp_ieee_underflow 0
		.amdhsa_exception_fp_ieee_inexact 0
		.amdhsa_exception_int_div_zero 0
	.end_amdhsa_kernel
	.section	.text._ZN7rocprim17ROCPRIM_400000_NS6detail17trampoline_kernelINS0_14default_configENS1_35adjacent_difference_config_selectorILb0EtEEZNS1_24adjacent_difference_implIS3_Lb0ELb0EPtS7_N6thrust23THRUST_200600_302600_NS5minusItEEEE10hipError_tPvRmT2_T3_mT4_P12ihipStream_tbEUlT_E_NS1_11comp_targetILNS1_3genE9ELNS1_11target_archE1100ELNS1_3gpuE3ELNS1_3repE0EEENS1_30default_config_static_selectorELNS0_4arch9wavefront6targetE1EEEvT1_,"axG",@progbits,_ZN7rocprim17ROCPRIM_400000_NS6detail17trampoline_kernelINS0_14default_configENS1_35adjacent_difference_config_selectorILb0EtEEZNS1_24adjacent_difference_implIS3_Lb0ELb0EPtS7_N6thrust23THRUST_200600_302600_NS5minusItEEEE10hipError_tPvRmT2_T3_mT4_P12ihipStream_tbEUlT_E_NS1_11comp_targetILNS1_3genE9ELNS1_11target_archE1100ELNS1_3gpuE3ELNS1_3repE0EEENS1_30default_config_static_selectorELNS0_4arch9wavefront6targetE1EEEvT1_,comdat
.Lfunc_end320:
	.size	_ZN7rocprim17ROCPRIM_400000_NS6detail17trampoline_kernelINS0_14default_configENS1_35adjacent_difference_config_selectorILb0EtEEZNS1_24adjacent_difference_implIS3_Lb0ELb0EPtS7_N6thrust23THRUST_200600_302600_NS5minusItEEEE10hipError_tPvRmT2_T3_mT4_P12ihipStream_tbEUlT_E_NS1_11comp_targetILNS1_3genE9ELNS1_11target_archE1100ELNS1_3gpuE3ELNS1_3repE0EEENS1_30default_config_static_selectorELNS0_4arch9wavefront6targetE1EEEvT1_, .Lfunc_end320-_ZN7rocprim17ROCPRIM_400000_NS6detail17trampoline_kernelINS0_14default_configENS1_35adjacent_difference_config_selectorILb0EtEEZNS1_24adjacent_difference_implIS3_Lb0ELb0EPtS7_N6thrust23THRUST_200600_302600_NS5minusItEEEE10hipError_tPvRmT2_T3_mT4_P12ihipStream_tbEUlT_E_NS1_11comp_targetILNS1_3genE9ELNS1_11target_archE1100ELNS1_3gpuE3ELNS1_3repE0EEENS1_30default_config_static_selectorELNS0_4arch9wavefront6targetE1EEEvT1_
                                        ; -- End function
	.section	.AMDGPU.csdata,"",@progbits
; Kernel info:
; codeLenInByte = 0
; NumSgprs: 6
; NumVgprs: 0
; NumAgprs: 0
; TotalNumVgprs: 0
; ScratchSize: 0
; MemoryBound: 0
; FloatMode: 240
; IeeeMode: 1
; LDSByteSize: 0 bytes/workgroup (compile time only)
; SGPRBlocks: 0
; VGPRBlocks: 0
; NumSGPRsForWavesPerEU: 6
; NumVGPRsForWavesPerEU: 1
; AccumOffset: 4
; Occupancy: 8
; WaveLimiterHint : 0
; COMPUTE_PGM_RSRC2:SCRATCH_EN: 0
; COMPUTE_PGM_RSRC2:USER_SGPR: 2
; COMPUTE_PGM_RSRC2:TRAP_HANDLER: 0
; COMPUTE_PGM_RSRC2:TGID_X_EN: 1
; COMPUTE_PGM_RSRC2:TGID_Y_EN: 0
; COMPUTE_PGM_RSRC2:TGID_Z_EN: 0
; COMPUTE_PGM_RSRC2:TIDIG_COMP_CNT: 0
; COMPUTE_PGM_RSRC3_GFX90A:ACCUM_OFFSET: 0
; COMPUTE_PGM_RSRC3_GFX90A:TG_SPLIT: 0
	.section	.text._ZN7rocprim17ROCPRIM_400000_NS6detail17trampoline_kernelINS0_14default_configENS1_35adjacent_difference_config_selectorILb0EtEEZNS1_24adjacent_difference_implIS3_Lb0ELb0EPtS7_N6thrust23THRUST_200600_302600_NS5minusItEEEE10hipError_tPvRmT2_T3_mT4_P12ihipStream_tbEUlT_E_NS1_11comp_targetILNS1_3genE8ELNS1_11target_archE1030ELNS1_3gpuE2ELNS1_3repE0EEENS1_30default_config_static_selectorELNS0_4arch9wavefront6targetE1EEEvT1_,"axG",@progbits,_ZN7rocprim17ROCPRIM_400000_NS6detail17trampoline_kernelINS0_14default_configENS1_35adjacent_difference_config_selectorILb0EtEEZNS1_24adjacent_difference_implIS3_Lb0ELb0EPtS7_N6thrust23THRUST_200600_302600_NS5minusItEEEE10hipError_tPvRmT2_T3_mT4_P12ihipStream_tbEUlT_E_NS1_11comp_targetILNS1_3genE8ELNS1_11target_archE1030ELNS1_3gpuE2ELNS1_3repE0EEENS1_30default_config_static_selectorELNS0_4arch9wavefront6targetE1EEEvT1_,comdat
	.protected	_ZN7rocprim17ROCPRIM_400000_NS6detail17trampoline_kernelINS0_14default_configENS1_35adjacent_difference_config_selectorILb0EtEEZNS1_24adjacent_difference_implIS3_Lb0ELb0EPtS7_N6thrust23THRUST_200600_302600_NS5minusItEEEE10hipError_tPvRmT2_T3_mT4_P12ihipStream_tbEUlT_E_NS1_11comp_targetILNS1_3genE8ELNS1_11target_archE1030ELNS1_3gpuE2ELNS1_3repE0EEENS1_30default_config_static_selectorELNS0_4arch9wavefront6targetE1EEEvT1_ ; -- Begin function _ZN7rocprim17ROCPRIM_400000_NS6detail17trampoline_kernelINS0_14default_configENS1_35adjacent_difference_config_selectorILb0EtEEZNS1_24adjacent_difference_implIS3_Lb0ELb0EPtS7_N6thrust23THRUST_200600_302600_NS5minusItEEEE10hipError_tPvRmT2_T3_mT4_P12ihipStream_tbEUlT_E_NS1_11comp_targetILNS1_3genE8ELNS1_11target_archE1030ELNS1_3gpuE2ELNS1_3repE0EEENS1_30default_config_static_selectorELNS0_4arch9wavefront6targetE1EEEvT1_
	.globl	_ZN7rocprim17ROCPRIM_400000_NS6detail17trampoline_kernelINS0_14default_configENS1_35adjacent_difference_config_selectorILb0EtEEZNS1_24adjacent_difference_implIS3_Lb0ELb0EPtS7_N6thrust23THRUST_200600_302600_NS5minusItEEEE10hipError_tPvRmT2_T3_mT4_P12ihipStream_tbEUlT_E_NS1_11comp_targetILNS1_3genE8ELNS1_11target_archE1030ELNS1_3gpuE2ELNS1_3repE0EEENS1_30default_config_static_selectorELNS0_4arch9wavefront6targetE1EEEvT1_
	.p2align	8
	.type	_ZN7rocprim17ROCPRIM_400000_NS6detail17trampoline_kernelINS0_14default_configENS1_35adjacent_difference_config_selectorILb0EtEEZNS1_24adjacent_difference_implIS3_Lb0ELb0EPtS7_N6thrust23THRUST_200600_302600_NS5minusItEEEE10hipError_tPvRmT2_T3_mT4_P12ihipStream_tbEUlT_E_NS1_11comp_targetILNS1_3genE8ELNS1_11target_archE1030ELNS1_3gpuE2ELNS1_3repE0EEENS1_30default_config_static_selectorELNS0_4arch9wavefront6targetE1EEEvT1_,@function
_ZN7rocprim17ROCPRIM_400000_NS6detail17trampoline_kernelINS0_14default_configENS1_35adjacent_difference_config_selectorILb0EtEEZNS1_24adjacent_difference_implIS3_Lb0ELb0EPtS7_N6thrust23THRUST_200600_302600_NS5minusItEEEE10hipError_tPvRmT2_T3_mT4_P12ihipStream_tbEUlT_E_NS1_11comp_targetILNS1_3genE8ELNS1_11target_archE1030ELNS1_3gpuE2ELNS1_3repE0EEENS1_30default_config_static_selectorELNS0_4arch9wavefront6targetE1EEEvT1_: ; @_ZN7rocprim17ROCPRIM_400000_NS6detail17trampoline_kernelINS0_14default_configENS1_35adjacent_difference_config_selectorILb0EtEEZNS1_24adjacent_difference_implIS3_Lb0ELb0EPtS7_N6thrust23THRUST_200600_302600_NS5minusItEEEE10hipError_tPvRmT2_T3_mT4_P12ihipStream_tbEUlT_E_NS1_11comp_targetILNS1_3genE8ELNS1_11target_archE1030ELNS1_3gpuE2ELNS1_3repE0EEENS1_30default_config_static_selectorELNS0_4arch9wavefront6targetE1EEEvT1_
; %bb.0:
	.section	.rodata,"a",@progbits
	.p2align	6, 0x0
	.amdhsa_kernel _ZN7rocprim17ROCPRIM_400000_NS6detail17trampoline_kernelINS0_14default_configENS1_35adjacent_difference_config_selectorILb0EtEEZNS1_24adjacent_difference_implIS3_Lb0ELb0EPtS7_N6thrust23THRUST_200600_302600_NS5minusItEEEE10hipError_tPvRmT2_T3_mT4_P12ihipStream_tbEUlT_E_NS1_11comp_targetILNS1_3genE8ELNS1_11target_archE1030ELNS1_3gpuE2ELNS1_3repE0EEENS1_30default_config_static_selectorELNS0_4arch9wavefront6targetE1EEEvT1_
		.amdhsa_group_segment_fixed_size 0
		.amdhsa_private_segment_fixed_size 0
		.amdhsa_kernarg_size 56
		.amdhsa_user_sgpr_count 2
		.amdhsa_user_sgpr_dispatch_ptr 0
		.amdhsa_user_sgpr_queue_ptr 0
		.amdhsa_user_sgpr_kernarg_segment_ptr 1
		.amdhsa_user_sgpr_dispatch_id 0
		.amdhsa_user_sgpr_kernarg_preload_length 0
		.amdhsa_user_sgpr_kernarg_preload_offset 0
		.amdhsa_user_sgpr_private_segment_size 0
		.amdhsa_uses_dynamic_stack 0
		.amdhsa_enable_private_segment 0
		.amdhsa_system_sgpr_workgroup_id_x 1
		.amdhsa_system_sgpr_workgroup_id_y 0
		.amdhsa_system_sgpr_workgroup_id_z 0
		.amdhsa_system_sgpr_workgroup_info 0
		.amdhsa_system_vgpr_workitem_id 0
		.amdhsa_next_free_vgpr 1
		.amdhsa_next_free_sgpr 0
		.amdhsa_accum_offset 4
		.amdhsa_reserve_vcc 0
		.amdhsa_float_round_mode_32 0
		.amdhsa_float_round_mode_16_64 0
		.amdhsa_float_denorm_mode_32 3
		.amdhsa_float_denorm_mode_16_64 3
		.amdhsa_dx10_clamp 1
		.amdhsa_ieee_mode 1
		.amdhsa_fp16_overflow 0
		.amdhsa_tg_split 0
		.amdhsa_exception_fp_ieee_invalid_op 0
		.amdhsa_exception_fp_denorm_src 0
		.amdhsa_exception_fp_ieee_div_zero 0
		.amdhsa_exception_fp_ieee_overflow 0
		.amdhsa_exception_fp_ieee_underflow 0
		.amdhsa_exception_fp_ieee_inexact 0
		.amdhsa_exception_int_div_zero 0
	.end_amdhsa_kernel
	.section	.text._ZN7rocprim17ROCPRIM_400000_NS6detail17trampoline_kernelINS0_14default_configENS1_35adjacent_difference_config_selectorILb0EtEEZNS1_24adjacent_difference_implIS3_Lb0ELb0EPtS7_N6thrust23THRUST_200600_302600_NS5minusItEEEE10hipError_tPvRmT2_T3_mT4_P12ihipStream_tbEUlT_E_NS1_11comp_targetILNS1_3genE8ELNS1_11target_archE1030ELNS1_3gpuE2ELNS1_3repE0EEENS1_30default_config_static_selectorELNS0_4arch9wavefront6targetE1EEEvT1_,"axG",@progbits,_ZN7rocprim17ROCPRIM_400000_NS6detail17trampoline_kernelINS0_14default_configENS1_35adjacent_difference_config_selectorILb0EtEEZNS1_24adjacent_difference_implIS3_Lb0ELb0EPtS7_N6thrust23THRUST_200600_302600_NS5minusItEEEE10hipError_tPvRmT2_T3_mT4_P12ihipStream_tbEUlT_E_NS1_11comp_targetILNS1_3genE8ELNS1_11target_archE1030ELNS1_3gpuE2ELNS1_3repE0EEENS1_30default_config_static_selectorELNS0_4arch9wavefront6targetE1EEEvT1_,comdat
.Lfunc_end321:
	.size	_ZN7rocprim17ROCPRIM_400000_NS6detail17trampoline_kernelINS0_14default_configENS1_35adjacent_difference_config_selectorILb0EtEEZNS1_24adjacent_difference_implIS3_Lb0ELb0EPtS7_N6thrust23THRUST_200600_302600_NS5minusItEEEE10hipError_tPvRmT2_T3_mT4_P12ihipStream_tbEUlT_E_NS1_11comp_targetILNS1_3genE8ELNS1_11target_archE1030ELNS1_3gpuE2ELNS1_3repE0EEENS1_30default_config_static_selectorELNS0_4arch9wavefront6targetE1EEEvT1_, .Lfunc_end321-_ZN7rocprim17ROCPRIM_400000_NS6detail17trampoline_kernelINS0_14default_configENS1_35adjacent_difference_config_selectorILb0EtEEZNS1_24adjacent_difference_implIS3_Lb0ELb0EPtS7_N6thrust23THRUST_200600_302600_NS5minusItEEEE10hipError_tPvRmT2_T3_mT4_P12ihipStream_tbEUlT_E_NS1_11comp_targetILNS1_3genE8ELNS1_11target_archE1030ELNS1_3gpuE2ELNS1_3repE0EEENS1_30default_config_static_selectorELNS0_4arch9wavefront6targetE1EEEvT1_
                                        ; -- End function
	.section	.AMDGPU.csdata,"",@progbits
; Kernel info:
; codeLenInByte = 0
; NumSgprs: 6
; NumVgprs: 0
; NumAgprs: 0
; TotalNumVgprs: 0
; ScratchSize: 0
; MemoryBound: 0
; FloatMode: 240
; IeeeMode: 1
; LDSByteSize: 0 bytes/workgroup (compile time only)
; SGPRBlocks: 0
; VGPRBlocks: 0
; NumSGPRsForWavesPerEU: 6
; NumVGPRsForWavesPerEU: 1
; AccumOffset: 4
; Occupancy: 8
; WaveLimiterHint : 0
; COMPUTE_PGM_RSRC2:SCRATCH_EN: 0
; COMPUTE_PGM_RSRC2:USER_SGPR: 2
; COMPUTE_PGM_RSRC2:TRAP_HANDLER: 0
; COMPUTE_PGM_RSRC2:TGID_X_EN: 1
; COMPUTE_PGM_RSRC2:TGID_Y_EN: 0
; COMPUTE_PGM_RSRC2:TGID_Z_EN: 0
; COMPUTE_PGM_RSRC2:TIDIG_COMP_CNT: 0
; COMPUTE_PGM_RSRC3_GFX90A:ACCUM_OFFSET: 0
; COMPUTE_PGM_RSRC3_GFX90A:TG_SPLIT: 0
	.section	.text._ZN7rocprim17ROCPRIM_400000_NS6detail17trampoline_kernelINS0_14default_configENS1_25transform_config_selectorItLb0EEEZNS1_14transform_implILb0ES3_S5_NS0_18transform_iteratorINS0_17counting_iteratorImlEEZNS1_24adjacent_difference_implIS3_Lb1ELb0EPtSB_N6thrust23THRUST_200600_302600_NS5minusItEEEE10hipError_tPvRmT2_T3_mT4_P12ihipStream_tbEUlmE_tEESB_NS0_8identityIvEEEESG_SJ_SK_mSL_SN_bEUlT_E_NS1_11comp_targetILNS1_3genE0ELNS1_11target_archE4294967295ELNS1_3gpuE0ELNS1_3repE0EEENS1_30default_config_static_selectorELNS0_4arch9wavefront6targetE1EEEvT1_,"axG",@progbits,_ZN7rocprim17ROCPRIM_400000_NS6detail17trampoline_kernelINS0_14default_configENS1_25transform_config_selectorItLb0EEEZNS1_14transform_implILb0ES3_S5_NS0_18transform_iteratorINS0_17counting_iteratorImlEEZNS1_24adjacent_difference_implIS3_Lb1ELb0EPtSB_N6thrust23THRUST_200600_302600_NS5minusItEEEE10hipError_tPvRmT2_T3_mT4_P12ihipStream_tbEUlmE_tEESB_NS0_8identityIvEEEESG_SJ_SK_mSL_SN_bEUlT_E_NS1_11comp_targetILNS1_3genE0ELNS1_11target_archE4294967295ELNS1_3gpuE0ELNS1_3repE0EEENS1_30default_config_static_selectorELNS0_4arch9wavefront6targetE1EEEvT1_,comdat
	.protected	_ZN7rocprim17ROCPRIM_400000_NS6detail17trampoline_kernelINS0_14default_configENS1_25transform_config_selectorItLb0EEEZNS1_14transform_implILb0ES3_S5_NS0_18transform_iteratorINS0_17counting_iteratorImlEEZNS1_24adjacent_difference_implIS3_Lb1ELb0EPtSB_N6thrust23THRUST_200600_302600_NS5minusItEEEE10hipError_tPvRmT2_T3_mT4_P12ihipStream_tbEUlmE_tEESB_NS0_8identityIvEEEESG_SJ_SK_mSL_SN_bEUlT_E_NS1_11comp_targetILNS1_3genE0ELNS1_11target_archE4294967295ELNS1_3gpuE0ELNS1_3repE0EEENS1_30default_config_static_selectorELNS0_4arch9wavefront6targetE1EEEvT1_ ; -- Begin function _ZN7rocprim17ROCPRIM_400000_NS6detail17trampoline_kernelINS0_14default_configENS1_25transform_config_selectorItLb0EEEZNS1_14transform_implILb0ES3_S5_NS0_18transform_iteratorINS0_17counting_iteratorImlEEZNS1_24adjacent_difference_implIS3_Lb1ELb0EPtSB_N6thrust23THRUST_200600_302600_NS5minusItEEEE10hipError_tPvRmT2_T3_mT4_P12ihipStream_tbEUlmE_tEESB_NS0_8identityIvEEEESG_SJ_SK_mSL_SN_bEUlT_E_NS1_11comp_targetILNS1_3genE0ELNS1_11target_archE4294967295ELNS1_3gpuE0ELNS1_3repE0EEENS1_30default_config_static_selectorELNS0_4arch9wavefront6targetE1EEEvT1_
	.globl	_ZN7rocprim17ROCPRIM_400000_NS6detail17trampoline_kernelINS0_14default_configENS1_25transform_config_selectorItLb0EEEZNS1_14transform_implILb0ES3_S5_NS0_18transform_iteratorINS0_17counting_iteratorImlEEZNS1_24adjacent_difference_implIS3_Lb1ELb0EPtSB_N6thrust23THRUST_200600_302600_NS5minusItEEEE10hipError_tPvRmT2_T3_mT4_P12ihipStream_tbEUlmE_tEESB_NS0_8identityIvEEEESG_SJ_SK_mSL_SN_bEUlT_E_NS1_11comp_targetILNS1_3genE0ELNS1_11target_archE4294967295ELNS1_3gpuE0ELNS1_3repE0EEENS1_30default_config_static_selectorELNS0_4arch9wavefront6targetE1EEEvT1_
	.p2align	8
	.type	_ZN7rocprim17ROCPRIM_400000_NS6detail17trampoline_kernelINS0_14default_configENS1_25transform_config_selectorItLb0EEEZNS1_14transform_implILb0ES3_S5_NS0_18transform_iteratorINS0_17counting_iteratorImlEEZNS1_24adjacent_difference_implIS3_Lb1ELb0EPtSB_N6thrust23THRUST_200600_302600_NS5minusItEEEE10hipError_tPvRmT2_T3_mT4_P12ihipStream_tbEUlmE_tEESB_NS0_8identityIvEEEESG_SJ_SK_mSL_SN_bEUlT_E_NS1_11comp_targetILNS1_3genE0ELNS1_11target_archE4294967295ELNS1_3gpuE0ELNS1_3repE0EEENS1_30default_config_static_selectorELNS0_4arch9wavefront6targetE1EEEvT1_,@function
_ZN7rocprim17ROCPRIM_400000_NS6detail17trampoline_kernelINS0_14default_configENS1_25transform_config_selectorItLb0EEEZNS1_14transform_implILb0ES3_S5_NS0_18transform_iteratorINS0_17counting_iteratorImlEEZNS1_24adjacent_difference_implIS3_Lb1ELb0EPtSB_N6thrust23THRUST_200600_302600_NS5minusItEEEE10hipError_tPvRmT2_T3_mT4_P12ihipStream_tbEUlmE_tEESB_NS0_8identityIvEEEESG_SJ_SK_mSL_SN_bEUlT_E_NS1_11comp_targetILNS1_3genE0ELNS1_11target_archE4294967295ELNS1_3gpuE0ELNS1_3repE0EEENS1_30default_config_static_selectorELNS0_4arch9wavefront6targetE1EEEvT1_: ; @_ZN7rocprim17ROCPRIM_400000_NS6detail17trampoline_kernelINS0_14default_configENS1_25transform_config_selectorItLb0EEEZNS1_14transform_implILb0ES3_S5_NS0_18transform_iteratorINS0_17counting_iteratorImlEEZNS1_24adjacent_difference_implIS3_Lb1ELb0EPtSB_N6thrust23THRUST_200600_302600_NS5minusItEEEE10hipError_tPvRmT2_T3_mT4_P12ihipStream_tbEUlmE_tEESB_NS0_8identityIvEEEESG_SJ_SK_mSL_SN_bEUlT_E_NS1_11comp_targetILNS1_3genE0ELNS1_11target_archE4294967295ELNS1_3gpuE0ELNS1_3repE0EEENS1_30default_config_static_selectorELNS0_4arch9wavefront6targetE1EEEvT1_
; %bb.0:
	.section	.rodata,"a",@progbits
	.p2align	6, 0x0
	.amdhsa_kernel _ZN7rocprim17ROCPRIM_400000_NS6detail17trampoline_kernelINS0_14default_configENS1_25transform_config_selectorItLb0EEEZNS1_14transform_implILb0ES3_S5_NS0_18transform_iteratorINS0_17counting_iteratorImlEEZNS1_24adjacent_difference_implIS3_Lb1ELb0EPtSB_N6thrust23THRUST_200600_302600_NS5minusItEEEE10hipError_tPvRmT2_T3_mT4_P12ihipStream_tbEUlmE_tEESB_NS0_8identityIvEEEESG_SJ_SK_mSL_SN_bEUlT_E_NS1_11comp_targetILNS1_3genE0ELNS1_11target_archE4294967295ELNS1_3gpuE0ELNS1_3repE0EEENS1_30default_config_static_selectorELNS0_4arch9wavefront6targetE1EEEvT1_
		.amdhsa_group_segment_fixed_size 0
		.amdhsa_private_segment_fixed_size 0
		.amdhsa_kernarg_size 56
		.amdhsa_user_sgpr_count 2
		.amdhsa_user_sgpr_dispatch_ptr 0
		.amdhsa_user_sgpr_queue_ptr 0
		.amdhsa_user_sgpr_kernarg_segment_ptr 1
		.amdhsa_user_sgpr_dispatch_id 0
		.amdhsa_user_sgpr_kernarg_preload_length 0
		.amdhsa_user_sgpr_kernarg_preload_offset 0
		.amdhsa_user_sgpr_private_segment_size 0
		.amdhsa_uses_dynamic_stack 0
		.amdhsa_enable_private_segment 0
		.amdhsa_system_sgpr_workgroup_id_x 1
		.amdhsa_system_sgpr_workgroup_id_y 0
		.amdhsa_system_sgpr_workgroup_id_z 0
		.amdhsa_system_sgpr_workgroup_info 0
		.amdhsa_system_vgpr_workitem_id 0
		.amdhsa_next_free_vgpr 1
		.amdhsa_next_free_sgpr 0
		.amdhsa_accum_offset 4
		.amdhsa_reserve_vcc 0
		.amdhsa_float_round_mode_32 0
		.amdhsa_float_round_mode_16_64 0
		.amdhsa_float_denorm_mode_32 3
		.amdhsa_float_denorm_mode_16_64 3
		.amdhsa_dx10_clamp 1
		.amdhsa_ieee_mode 1
		.amdhsa_fp16_overflow 0
		.amdhsa_tg_split 0
		.amdhsa_exception_fp_ieee_invalid_op 0
		.amdhsa_exception_fp_denorm_src 0
		.amdhsa_exception_fp_ieee_div_zero 0
		.amdhsa_exception_fp_ieee_overflow 0
		.amdhsa_exception_fp_ieee_underflow 0
		.amdhsa_exception_fp_ieee_inexact 0
		.amdhsa_exception_int_div_zero 0
	.end_amdhsa_kernel
	.section	.text._ZN7rocprim17ROCPRIM_400000_NS6detail17trampoline_kernelINS0_14default_configENS1_25transform_config_selectorItLb0EEEZNS1_14transform_implILb0ES3_S5_NS0_18transform_iteratorINS0_17counting_iteratorImlEEZNS1_24adjacent_difference_implIS3_Lb1ELb0EPtSB_N6thrust23THRUST_200600_302600_NS5minusItEEEE10hipError_tPvRmT2_T3_mT4_P12ihipStream_tbEUlmE_tEESB_NS0_8identityIvEEEESG_SJ_SK_mSL_SN_bEUlT_E_NS1_11comp_targetILNS1_3genE0ELNS1_11target_archE4294967295ELNS1_3gpuE0ELNS1_3repE0EEENS1_30default_config_static_selectorELNS0_4arch9wavefront6targetE1EEEvT1_,"axG",@progbits,_ZN7rocprim17ROCPRIM_400000_NS6detail17trampoline_kernelINS0_14default_configENS1_25transform_config_selectorItLb0EEEZNS1_14transform_implILb0ES3_S5_NS0_18transform_iteratorINS0_17counting_iteratorImlEEZNS1_24adjacent_difference_implIS3_Lb1ELb0EPtSB_N6thrust23THRUST_200600_302600_NS5minusItEEEE10hipError_tPvRmT2_T3_mT4_P12ihipStream_tbEUlmE_tEESB_NS0_8identityIvEEEESG_SJ_SK_mSL_SN_bEUlT_E_NS1_11comp_targetILNS1_3genE0ELNS1_11target_archE4294967295ELNS1_3gpuE0ELNS1_3repE0EEENS1_30default_config_static_selectorELNS0_4arch9wavefront6targetE1EEEvT1_,comdat
.Lfunc_end322:
	.size	_ZN7rocprim17ROCPRIM_400000_NS6detail17trampoline_kernelINS0_14default_configENS1_25transform_config_selectorItLb0EEEZNS1_14transform_implILb0ES3_S5_NS0_18transform_iteratorINS0_17counting_iteratorImlEEZNS1_24adjacent_difference_implIS3_Lb1ELb0EPtSB_N6thrust23THRUST_200600_302600_NS5minusItEEEE10hipError_tPvRmT2_T3_mT4_P12ihipStream_tbEUlmE_tEESB_NS0_8identityIvEEEESG_SJ_SK_mSL_SN_bEUlT_E_NS1_11comp_targetILNS1_3genE0ELNS1_11target_archE4294967295ELNS1_3gpuE0ELNS1_3repE0EEENS1_30default_config_static_selectorELNS0_4arch9wavefront6targetE1EEEvT1_, .Lfunc_end322-_ZN7rocprim17ROCPRIM_400000_NS6detail17trampoline_kernelINS0_14default_configENS1_25transform_config_selectorItLb0EEEZNS1_14transform_implILb0ES3_S5_NS0_18transform_iteratorINS0_17counting_iteratorImlEEZNS1_24adjacent_difference_implIS3_Lb1ELb0EPtSB_N6thrust23THRUST_200600_302600_NS5minusItEEEE10hipError_tPvRmT2_T3_mT4_P12ihipStream_tbEUlmE_tEESB_NS0_8identityIvEEEESG_SJ_SK_mSL_SN_bEUlT_E_NS1_11comp_targetILNS1_3genE0ELNS1_11target_archE4294967295ELNS1_3gpuE0ELNS1_3repE0EEENS1_30default_config_static_selectorELNS0_4arch9wavefront6targetE1EEEvT1_
                                        ; -- End function
	.section	.AMDGPU.csdata,"",@progbits
; Kernel info:
; codeLenInByte = 0
; NumSgprs: 6
; NumVgprs: 0
; NumAgprs: 0
; TotalNumVgprs: 0
; ScratchSize: 0
; MemoryBound: 0
; FloatMode: 240
; IeeeMode: 1
; LDSByteSize: 0 bytes/workgroup (compile time only)
; SGPRBlocks: 0
; VGPRBlocks: 0
; NumSGPRsForWavesPerEU: 6
; NumVGPRsForWavesPerEU: 1
; AccumOffset: 4
; Occupancy: 8
; WaveLimiterHint : 0
; COMPUTE_PGM_RSRC2:SCRATCH_EN: 0
; COMPUTE_PGM_RSRC2:USER_SGPR: 2
; COMPUTE_PGM_RSRC2:TRAP_HANDLER: 0
; COMPUTE_PGM_RSRC2:TGID_X_EN: 1
; COMPUTE_PGM_RSRC2:TGID_Y_EN: 0
; COMPUTE_PGM_RSRC2:TGID_Z_EN: 0
; COMPUTE_PGM_RSRC2:TIDIG_COMP_CNT: 0
; COMPUTE_PGM_RSRC3_GFX90A:ACCUM_OFFSET: 0
; COMPUTE_PGM_RSRC3_GFX90A:TG_SPLIT: 0
	.section	.text._ZN7rocprim17ROCPRIM_400000_NS6detail17trampoline_kernelINS0_14default_configENS1_25transform_config_selectorItLb0EEEZNS1_14transform_implILb0ES3_S5_NS0_18transform_iteratorINS0_17counting_iteratorImlEEZNS1_24adjacent_difference_implIS3_Lb1ELb0EPtSB_N6thrust23THRUST_200600_302600_NS5minusItEEEE10hipError_tPvRmT2_T3_mT4_P12ihipStream_tbEUlmE_tEESB_NS0_8identityIvEEEESG_SJ_SK_mSL_SN_bEUlT_E_NS1_11comp_targetILNS1_3genE5ELNS1_11target_archE942ELNS1_3gpuE9ELNS1_3repE0EEENS1_30default_config_static_selectorELNS0_4arch9wavefront6targetE1EEEvT1_,"axG",@progbits,_ZN7rocprim17ROCPRIM_400000_NS6detail17trampoline_kernelINS0_14default_configENS1_25transform_config_selectorItLb0EEEZNS1_14transform_implILb0ES3_S5_NS0_18transform_iteratorINS0_17counting_iteratorImlEEZNS1_24adjacent_difference_implIS3_Lb1ELb0EPtSB_N6thrust23THRUST_200600_302600_NS5minusItEEEE10hipError_tPvRmT2_T3_mT4_P12ihipStream_tbEUlmE_tEESB_NS0_8identityIvEEEESG_SJ_SK_mSL_SN_bEUlT_E_NS1_11comp_targetILNS1_3genE5ELNS1_11target_archE942ELNS1_3gpuE9ELNS1_3repE0EEENS1_30default_config_static_selectorELNS0_4arch9wavefront6targetE1EEEvT1_,comdat
	.protected	_ZN7rocprim17ROCPRIM_400000_NS6detail17trampoline_kernelINS0_14default_configENS1_25transform_config_selectorItLb0EEEZNS1_14transform_implILb0ES3_S5_NS0_18transform_iteratorINS0_17counting_iteratorImlEEZNS1_24adjacent_difference_implIS3_Lb1ELb0EPtSB_N6thrust23THRUST_200600_302600_NS5minusItEEEE10hipError_tPvRmT2_T3_mT4_P12ihipStream_tbEUlmE_tEESB_NS0_8identityIvEEEESG_SJ_SK_mSL_SN_bEUlT_E_NS1_11comp_targetILNS1_3genE5ELNS1_11target_archE942ELNS1_3gpuE9ELNS1_3repE0EEENS1_30default_config_static_selectorELNS0_4arch9wavefront6targetE1EEEvT1_ ; -- Begin function _ZN7rocprim17ROCPRIM_400000_NS6detail17trampoline_kernelINS0_14default_configENS1_25transform_config_selectorItLb0EEEZNS1_14transform_implILb0ES3_S5_NS0_18transform_iteratorINS0_17counting_iteratorImlEEZNS1_24adjacent_difference_implIS3_Lb1ELb0EPtSB_N6thrust23THRUST_200600_302600_NS5minusItEEEE10hipError_tPvRmT2_T3_mT4_P12ihipStream_tbEUlmE_tEESB_NS0_8identityIvEEEESG_SJ_SK_mSL_SN_bEUlT_E_NS1_11comp_targetILNS1_3genE5ELNS1_11target_archE942ELNS1_3gpuE9ELNS1_3repE0EEENS1_30default_config_static_selectorELNS0_4arch9wavefront6targetE1EEEvT1_
	.globl	_ZN7rocprim17ROCPRIM_400000_NS6detail17trampoline_kernelINS0_14default_configENS1_25transform_config_selectorItLb0EEEZNS1_14transform_implILb0ES3_S5_NS0_18transform_iteratorINS0_17counting_iteratorImlEEZNS1_24adjacent_difference_implIS3_Lb1ELb0EPtSB_N6thrust23THRUST_200600_302600_NS5minusItEEEE10hipError_tPvRmT2_T3_mT4_P12ihipStream_tbEUlmE_tEESB_NS0_8identityIvEEEESG_SJ_SK_mSL_SN_bEUlT_E_NS1_11comp_targetILNS1_3genE5ELNS1_11target_archE942ELNS1_3gpuE9ELNS1_3repE0EEENS1_30default_config_static_selectorELNS0_4arch9wavefront6targetE1EEEvT1_
	.p2align	8
	.type	_ZN7rocprim17ROCPRIM_400000_NS6detail17trampoline_kernelINS0_14default_configENS1_25transform_config_selectorItLb0EEEZNS1_14transform_implILb0ES3_S5_NS0_18transform_iteratorINS0_17counting_iteratorImlEEZNS1_24adjacent_difference_implIS3_Lb1ELb0EPtSB_N6thrust23THRUST_200600_302600_NS5minusItEEEE10hipError_tPvRmT2_T3_mT4_P12ihipStream_tbEUlmE_tEESB_NS0_8identityIvEEEESG_SJ_SK_mSL_SN_bEUlT_E_NS1_11comp_targetILNS1_3genE5ELNS1_11target_archE942ELNS1_3gpuE9ELNS1_3repE0EEENS1_30default_config_static_selectorELNS0_4arch9wavefront6targetE1EEEvT1_,@function
_ZN7rocprim17ROCPRIM_400000_NS6detail17trampoline_kernelINS0_14default_configENS1_25transform_config_selectorItLb0EEEZNS1_14transform_implILb0ES3_S5_NS0_18transform_iteratorINS0_17counting_iteratorImlEEZNS1_24adjacent_difference_implIS3_Lb1ELb0EPtSB_N6thrust23THRUST_200600_302600_NS5minusItEEEE10hipError_tPvRmT2_T3_mT4_P12ihipStream_tbEUlmE_tEESB_NS0_8identityIvEEEESG_SJ_SK_mSL_SN_bEUlT_E_NS1_11comp_targetILNS1_3genE5ELNS1_11target_archE942ELNS1_3gpuE9ELNS1_3repE0EEENS1_30default_config_static_selectorELNS0_4arch9wavefront6targetE1EEEvT1_: ; @_ZN7rocprim17ROCPRIM_400000_NS6detail17trampoline_kernelINS0_14default_configENS1_25transform_config_selectorItLb0EEEZNS1_14transform_implILb0ES3_S5_NS0_18transform_iteratorINS0_17counting_iteratorImlEEZNS1_24adjacent_difference_implIS3_Lb1ELb0EPtSB_N6thrust23THRUST_200600_302600_NS5minusItEEEE10hipError_tPvRmT2_T3_mT4_P12ihipStream_tbEUlmE_tEESB_NS0_8identityIvEEEESG_SJ_SK_mSL_SN_bEUlT_E_NS1_11comp_targetILNS1_3genE5ELNS1_11target_archE942ELNS1_3gpuE9ELNS1_3repE0EEENS1_30default_config_static_selectorELNS0_4arch9wavefront6targetE1EEEvT1_
; %bb.0:
	s_load_dwordx4 s[4:7], s[0:1], 0x18
	s_load_dwordx2 s[8:9], s[0:1], 0x28
	s_load_dwordx4 s[12:15], s[0:1], 0x0
	s_load_dword s20, s[0:1], 0x10
	s_load_dword s3, s[0:1], 0x38
	s_waitcnt lgkmcnt(0)
	s_lshl_b64 s[0:1], s[4:5], 1
	s_add_u32 s26, s8, s0
	s_addc_u32 s27, s9, s1
	s_lshl_b32 s18, s2, 11
	s_add_i32 s3, s3, -1
	s_add_u32 s0, s12, s18
	s_addc_u32 s1, s13, 0
	s_add_u32 s22, s0, s4
	s_addc_u32 s23, s1, s5
	s_mov_b32 s19, 0
	s_cmp_lg_u32 s2, s3
	v_lshlrev_b32_e32 v6, 1, v0
	s_cbranch_scc0 .LBB323_2
; %bb.1:
	v_mov_b32_e32 v1, 0
	v_lshl_add_u64 v[2:3], s[22:23], 0, v[0:1]
	v_mad_u64_u32 v[4:5], s[0:1], v2, s20, 0
	v_mov_b32_e32 v2, v5
	v_mad_u64_u32 v[2:3], s[0:1], v3, s20, v[2:3]
	s_mov_b32 s21, s19
	v_mov_b32_e32 v5, v2
	v_lshl_add_u64 v[2:3], v[4:5], 1, s[14:15]
	s_lshl_b64 s[0:1], s[20:21], 9
	v_lshl_add_u64 v[4:5], v[2:3], 0, s[0:1]
	v_lshl_add_u64 v[8:9], v[4:5], 0, s[0:1]
	;; [unrolled: 1-line block ×4, first 2 shown]
	global_load_ushort v14, v[2:3], off
	global_load_ushort v15, v[4:5], off
	;; [unrolled: 1-line block ×5, first 2 shown]
	v_lshl_add_u64 v[2:3], v[12:13], 0, s[0:1]
	global_load_ushort v4, v[2:3], off
	v_lshl_add_u64 v[2:3], v[2:3], 0, s[0:1]
	global_load_ushort v5, v[2:3], off
	;; [unrolled: 2-line block ×3, first 2 shown]
	s_lshl_b64 s[2:3], s[18:19], 1
	s_add_u32 s2, s26, s2
	v_mov_b32_e32 v7, v1
	s_addc_u32 s3, s27, s3
	v_lshl_add_u64 v[8:9], s[2:3], 0, v[6:7]
	s_mov_b64 s[16:17], -1
	s_waitcnt vmcnt(7)
	global_store_short v6, v14, s[2:3]
	s_waitcnt vmcnt(7)
	global_store_short v6, v15, s[2:3] offset:512
	s_waitcnt vmcnt(7)
	global_store_short v6, v16, s[2:3] offset:1024
	;; [unrolled: 2-line block ×6, first 2 shown]
	s_cbranch_execz .LBB323_3
	s_branch .LBB323_32
.LBB323_2:
	s_mov_b64 s[16:17], 0
                                        ; implicit-def: $vgpr2
                                        ; implicit-def: $vgpr8_vgpr9
.LBB323_3:
	s_sub_i32 s21, s6, s18
	v_cmp_gt_u32_e32 vcc, s21, v0
                                        ; implicit-def: $vgpr2_vgpr3_vgpr4_vgpr5
	s_and_saveexec_b64 s[0:1], vcc
	s_cbranch_execz .LBB323_5
; %bb.4:
	v_mov_b32_e32 v1, 0
	s_waitcnt vmcnt(7)
	v_lshl_add_u64 v[2:3], s[22:23], 0, v[0:1]
	v_mad_u64_u32 v[4:5], s[2:3], v2, s20, 0
	v_mov_b32_e32 v2, v5
	v_mad_u64_u32 v[2:3], s[2:3], v3, s20, v[2:3]
	v_mov_b32_e32 v5, v2
	v_lshl_add_u64 v[2:3], v[4:5], 1, s[14:15]
	global_load_ushort v2, v[2:3], off
.LBB323_5:
	s_or_b64 exec, exec, s[0:1]
	v_or_b32_e32 v8, 0x100, v0
	v_cmp_gt_u32_e64 s[0:1], s21, v8
	s_and_saveexec_b64 s[2:3], s[0:1]
	s_cbranch_execz .LBB323_7
; %bb.6:
	v_mov_b32_e32 v9, 0
	v_lshl_add_u64 v[8:9], s[22:23], 0, v[8:9]
	v_mad_u64_u32 v[10:11], s[4:5], v8, s20, 0
	v_mov_b32_e32 v8, v11
	v_mad_u64_u32 v[8:9], s[4:5], v9, s20, v[8:9]
	v_mov_b32_e32 v11, v8
	v_lshl_add_u64 v[8:9], v[10:11], 1, s[14:15]
	global_load_ushort v1, v[8:9], off
	s_mov_b32 s4, 0x5040100
	s_waitcnt vmcnt(0)
	v_perm_b32 v2, v1, v2, s4
.LBB323_7:
	s_or_b64 exec, exec, s[2:3]
	v_or_b32_e32 v8, 0x200, v0
	v_cmp_gt_u32_e64 s[2:3], s21, v8
	s_and_saveexec_b64 s[4:5], s[2:3]
	s_cbranch_execz .LBB323_9
; %bb.8:
	v_mov_b32_e32 v9, 0
	v_lshl_add_u64 v[8:9], s[22:23], 0, v[8:9]
	v_mad_u64_u32 v[10:11], s[6:7], v8, s20, 0
	v_mov_b32_e32 v8, v11
	v_mad_u64_u32 v[8:9], s[6:7], v9, s20, v[8:9]
	v_mov_b32_e32 v11, v8
	v_lshl_add_u64 v[8:9], v[10:11], 1, s[14:15]
	global_load_ushort v1, v[8:9], off
	s_mov_b32 s6, 0xffff
	s_waitcnt vmcnt(0)
	v_bfi_b32 v3, s6, v1, v3
.LBB323_9:
	s_or_b64 exec, exec, s[4:5]
	v_or_b32_e32 v8, 0x300, v0
	v_cmp_gt_u32_e64 s[4:5], s21, v8
	s_and_saveexec_b64 s[6:7], s[4:5]
	s_cbranch_execz .LBB323_11
; %bb.10:
	v_mov_b32_e32 v9, 0
	v_lshl_add_u64 v[8:9], s[22:23], 0, v[8:9]
	v_mad_u64_u32 v[10:11], s[8:9], v8, s20, 0
	v_mov_b32_e32 v8, v11
	v_mad_u64_u32 v[8:9], s[8:9], v9, s20, v[8:9]
	v_mov_b32_e32 v11, v8
	v_lshl_add_u64 v[8:9], v[10:11], 1, s[14:15]
	global_load_ushort v1, v[8:9], off
	s_mov_b32 s8, 0x5040100
	s_waitcnt vmcnt(0)
	v_perm_b32 v3, v1, v3, s8
.LBB323_11:
	s_or_b64 exec, exec, s[6:7]
	v_or_b32_e32 v8, 0x400, v0
	v_cmp_gt_u32_e64 s[6:7], s21, v8
	s_and_saveexec_b64 s[8:9], s[6:7]
	s_cbranch_execz .LBB323_13
; %bb.12:
	v_mov_b32_e32 v9, 0
	v_lshl_add_u64 v[8:9], s[22:23], 0, v[8:9]
	v_mad_u64_u32 v[10:11], s[10:11], v8, s20, 0
	v_mov_b32_e32 v8, v11
	v_mad_u64_u32 v[8:9], s[10:11], v9, s20, v[8:9]
	v_mov_b32_e32 v11, v8
	v_lshl_add_u64 v[8:9], v[10:11], 1, s[14:15]
	global_load_ushort v1, v[8:9], off
	s_mov_b32 s10, 0xffff
	s_waitcnt vmcnt(0)
	v_bfi_b32 v4, s10, v1, v4
.LBB323_13:
	;; [unrolled: 36-line block ×3, first 2 shown]
	s_or_b64 exec, exec, s[12:13]
	v_or_b32_e32 v0, 0x700, v0
	v_cmp_gt_u32_e64 s[12:13], s21, v0
	s_and_saveexec_b64 s[24:25], s[12:13]
	s_cbranch_execz .LBB323_19
; %bb.18:
	v_mov_b32_e32 v1, 0
	v_lshl_add_u64 v[0:1], s[22:23], 0, v[0:1]
	v_mad_u64_u32 v[8:9], s[22:23], v0, s20, 0
	v_mov_b32_e32 v0, v9
	v_mad_u64_u32 v[0:1], s[20:21], v1, s20, v[0:1]
	v_mov_b32_e32 v9, v0
	v_lshl_add_u64 v[0:1], v[8:9], 1, s[14:15]
	global_load_ushort v0, v[0:1], off
	s_mov_b32 s14, 0x5040100
	s_waitcnt vmcnt(0)
	v_perm_b32 v5, v0, v5, s14
.LBB323_19:
	s_or_b64 exec, exec, s[24:25]
	s_lshl_b64 s[14:15], s[18:19], 1
	s_add_u32 s14, s26, s14
	s_addc_u32 s15, s27, s15
	v_mov_b32_e32 v7, 0
	v_lshl_add_u64 v[8:9], s[14:15], 0, v[6:7]
	s_and_saveexec_b64 s[14:15], vcc
	s_cbranch_execnz .LBB323_35
; %bb.20:
	s_or_b64 exec, exec, s[14:15]
	s_and_saveexec_b64 s[14:15], s[0:1]
	s_cbranch_execnz .LBB323_36
.LBB323_21:
	s_or_b64 exec, exec, s[14:15]
	s_mov_b32 s14, 0xffff
	s_and_saveexec_b64 s[0:1], s[2:3]
	s_cbranch_execz .LBB323_23
.LBB323_22:
	global_store_short v[8:9], v3, off offset:1024
.LBB323_23:
	s_or_b64 exec, exec, s[0:1]
	v_bfi_b32 v0, s14, v3, v3
	v_cndmask_b32_e64 v0, v0, v3, s[4:5]
	s_and_saveexec_b64 s[0:1], s[4:5]
	s_cbranch_execz .LBB323_25
; %bb.24:
	global_store_short_d16_hi v[8:9], v0, off offset:1536
.LBB323_25:
	s_or_b64 exec, exec, s[0:1]
	s_mov_b32 s2, 0xffff
	v_cndmask_b32_e64 v0, v4, v4, s[6:7]
	s_and_saveexec_b64 s[0:1], s[6:7]
	s_cbranch_execz .LBB323_27
; %bb.26:
	global_store_short v[8:9], v0, off offset:2048
.LBB323_27:
	s_or_b64 exec, exec, s[0:1]
	v_bfi_b32 v0, s2, v0, v4
	v_cndmask_b32_e64 v0, v0, v4, s[8:9]
	s_and_saveexec_b64 s[0:1], s[8:9]
	s_cbranch_execnz .LBB323_37
; %bb.28:
	s_or_b64 exec, exec, s[0:1]
	s_and_saveexec_b64 s[0:1], s[10:11]
	s_cbranch_execnz .LBB323_38
.LBB323_29:
	s_or_b64 exec, exec, s[0:1]
                                        ; implicit-def: $vgpr2
	s_and_saveexec_b64 s[0:1], s[12:13]
	s_cbranch_execz .LBB323_31
.LBB323_30:
	v_cndmask_b32_e64 v0, v5, v5, s[12:13]
	s_waitcnt vmcnt(0)
	v_lshrrev_b32_e32 v2, 16, v0
	s_or_b64 s[16:17], s[16:17], exec
.LBB323_31:
	s_or_b64 exec, exec, s[0:1]
.LBB323_32:
	s_and_saveexec_b64 s[0:1], s[16:17]
	s_cbranch_execnz .LBB323_34
; %bb.33:
	s_endpgm
.LBB323_34:
	s_waitcnt vmcnt(0)
	global_store_short v[8:9], v2, off offset:3584
	s_endpgm
.LBB323_35:
	s_waitcnt vmcnt(0)
	global_store_short v[8:9], v2, off
	s_or_b64 exec, exec, s[14:15]
	s_and_saveexec_b64 s[14:15], s[0:1]
	s_cbranch_execz .LBB323_21
.LBB323_36:
	s_waitcnt vmcnt(0)
	global_store_short_d16_hi v[8:9], v2, off offset:512
	s_or_b64 exec, exec, s[14:15]
	s_mov_b32 s14, 0xffff
	s_and_saveexec_b64 s[0:1], s[2:3]
	s_cbranch_execnz .LBB323_22
	s_branch .LBB323_23
.LBB323_37:
	global_store_short_d16_hi v[8:9], v0, off offset:2560
	s_or_b64 exec, exec, s[0:1]
	s_and_saveexec_b64 s[0:1], s[10:11]
	s_cbranch_execz .LBB323_29
.LBB323_38:
	v_cndmask_b32_e64 v0, v5, v5, s[10:11]
	global_store_short v[8:9], v0, off offset:3072
	s_or_b64 exec, exec, s[0:1]
                                        ; implicit-def: $vgpr2
	s_and_saveexec_b64 s[0:1], s[12:13]
	s_cbranch_execnz .LBB323_30
	s_branch .LBB323_31
	.section	.rodata,"a",@progbits
	.p2align	6, 0x0
	.amdhsa_kernel _ZN7rocprim17ROCPRIM_400000_NS6detail17trampoline_kernelINS0_14default_configENS1_25transform_config_selectorItLb0EEEZNS1_14transform_implILb0ES3_S5_NS0_18transform_iteratorINS0_17counting_iteratorImlEEZNS1_24adjacent_difference_implIS3_Lb1ELb0EPtSB_N6thrust23THRUST_200600_302600_NS5minusItEEEE10hipError_tPvRmT2_T3_mT4_P12ihipStream_tbEUlmE_tEESB_NS0_8identityIvEEEESG_SJ_SK_mSL_SN_bEUlT_E_NS1_11comp_targetILNS1_3genE5ELNS1_11target_archE942ELNS1_3gpuE9ELNS1_3repE0EEENS1_30default_config_static_selectorELNS0_4arch9wavefront6targetE1EEEvT1_
		.amdhsa_group_segment_fixed_size 0
		.amdhsa_private_segment_fixed_size 0
		.amdhsa_kernarg_size 312
		.amdhsa_user_sgpr_count 2
		.amdhsa_user_sgpr_dispatch_ptr 0
		.amdhsa_user_sgpr_queue_ptr 0
		.amdhsa_user_sgpr_kernarg_segment_ptr 1
		.amdhsa_user_sgpr_dispatch_id 0
		.amdhsa_user_sgpr_kernarg_preload_length 0
		.amdhsa_user_sgpr_kernarg_preload_offset 0
		.amdhsa_user_sgpr_private_segment_size 0
		.amdhsa_uses_dynamic_stack 0
		.amdhsa_enable_private_segment 0
		.amdhsa_system_sgpr_workgroup_id_x 1
		.amdhsa_system_sgpr_workgroup_id_y 0
		.amdhsa_system_sgpr_workgroup_id_z 0
		.amdhsa_system_sgpr_workgroup_info 0
		.amdhsa_system_vgpr_workitem_id 0
		.amdhsa_next_free_vgpr 19
		.amdhsa_next_free_sgpr 28
		.amdhsa_accum_offset 20
		.amdhsa_reserve_vcc 1
		.amdhsa_float_round_mode_32 0
		.amdhsa_float_round_mode_16_64 0
		.amdhsa_float_denorm_mode_32 3
		.amdhsa_float_denorm_mode_16_64 3
		.amdhsa_dx10_clamp 1
		.amdhsa_ieee_mode 1
		.amdhsa_fp16_overflow 0
		.amdhsa_tg_split 0
		.amdhsa_exception_fp_ieee_invalid_op 0
		.amdhsa_exception_fp_denorm_src 0
		.amdhsa_exception_fp_ieee_div_zero 0
		.amdhsa_exception_fp_ieee_overflow 0
		.amdhsa_exception_fp_ieee_underflow 0
		.amdhsa_exception_fp_ieee_inexact 0
		.amdhsa_exception_int_div_zero 0
	.end_amdhsa_kernel
	.section	.text._ZN7rocprim17ROCPRIM_400000_NS6detail17trampoline_kernelINS0_14default_configENS1_25transform_config_selectorItLb0EEEZNS1_14transform_implILb0ES3_S5_NS0_18transform_iteratorINS0_17counting_iteratorImlEEZNS1_24adjacent_difference_implIS3_Lb1ELb0EPtSB_N6thrust23THRUST_200600_302600_NS5minusItEEEE10hipError_tPvRmT2_T3_mT4_P12ihipStream_tbEUlmE_tEESB_NS0_8identityIvEEEESG_SJ_SK_mSL_SN_bEUlT_E_NS1_11comp_targetILNS1_3genE5ELNS1_11target_archE942ELNS1_3gpuE9ELNS1_3repE0EEENS1_30default_config_static_selectorELNS0_4arch9wavefront6targetE1EEEvT1_,"axG",@progbits,_ZN7rocprim17ROCPRIM_400000_NS6detail17trampoline_kernelINS0_14default_configENS1_25transform_config_selectorItLb0EEEZNS1_14transform_implILb0ES3_S5_NS0_18transform_iteratorINS0_17counting_iteratorImlEEZNS1_24adjacent_difference_implIS3_Lb1ELb0EPtSB_N6thrust23THRUST_200600_302600_NS5minusItEEEE10hipError_tPvRmT2_T3_mT4_P12ihipStream_tbEUlmE_tEESB_NS0_8identityIvEEEESG_SJ_SK_mSL_SN_bEUlT_E_NS1_11comp_targetILNS1_3genE5ELNS1_11target_archE942ELNS1_3gpuE9ELNS1_3repE0EEENS1_30default_config_static_selectorELNS0_4arch9wavefront6targetE1EEEvT1_,comdat
.Lfunc_end323:
	.size	_ZN7rocprim17ROCPRIM_400000_NS6detail17trampoline_kernelINS0_14default_configENS1_25transform_config_selectorItLb0EEEZNS1_14transform_implILb0ES3_S5_NS0_18transform_iteratorINS0_17counting_iteratorImlEEZNS1_24adjacent_difference_implIS3_Lb1ELb0EPtSB_N6thrust23THRUST_200600_302600_NS5minusItEEEE10hipError_tPvRmT2_T3_mT4_P12ihipStream_tbEUlmE_tEESB_NS0_8identityIvEEEESG_SJ_SK_mSL_SN_bEUlT_E_NS1_11comp_targetILNS1_3genE5ELNS1_11target_archE942ELNS1_3gpuE9ELNS1_3repE0EEENS1_30default_config_static_selectorELNS0_4arch9wavefront6targetE1EEEvT1_, .Lfunc_end323-_ZN7rocprim17ROCPRIM_400000_NS6detail17trampoline_kernelINS0_14default_configENS1_25transform_config_selectorItLb0EEEZNS1_14transform_implILb0ES3_S5_NS0_18transform_iteratorINS0_17counting_iteratorImlEEZNS1_24adjacent_difference_implIS3_Lb1ELb0EPtSB_N6thrust23THRUST_200600_302600_NS5minusItEEEE10hipError_tPvRmT2_T3_mT4_P12ihipStream_tbEUlmE_tEESB_NS0_8identityIvEEEESG_SJ_SK_mSL_SN_bEUlT_E_NS1_11comp_targetILNS1_3genE5ELNS1_11target_archE942ELNS1_3gpuE9ELNS1_3repE0EEENS1_30default_config_static_selectorELNS0_4arch9wavefront6targetE1EEEvT1_
                                        ; -- End function
	.section	.AMDGPU.csdata,"",@progbits
; Kernel info:
; codeLenInByte = 1528
; NumSgprs: 34
; NumVgprs: 19
; NumAgprs: 0
; TotalNumVgprs: 19
; ScratchSize: 0
; MemoryBound: 0
; FloatMode: 240
; IeeeMode: 1
; LDSByteSize: 0 bytes/workgroup (compile time only)
; SGPRBlocks: 4
; VGPRBlocks: 2
; NumSGPRsForWavesPerEU: 34
; NumVGPRsForWavesPerEU: 19
; AccumOffset: 20
; Occupancy: 8
; WaveLimiterHint : 1
; COMPUTE_PGM_RSRC2:SCRATCH_EN: 0
; COMPUTE_PGM_RSRC2:USER_SGPR: 2
; COMPUTE_PGM_RSRC2:TRAP_HANDLER: 0
; COMPUTE_PGM_RSRC2:TGID_X_EN: 1
; COMPUTE_PGM_RSRC2:TGID_Y_EN: 0
; COMPUTE_PGM_RSRC2:TGID_Z_EN: 0
; COMPUTE_PGM_RSRC2:TIDIG_COMP_CNT: 0
; COMPUTE_PGM_RSRC3_GFX90A:ACCUM_OFFSET: 4
; COMPUTE_PGM_RSRC3_GFX90A:TG_SPLIT: 0
	.section	.text._ZN7rocprim17ROCPRIM_400000_NS6detail17trampoline_kernelINS0_14default_configENS1_25transform_config_selectorItLb0EEEZNS1_14transform_implILb0ES3_S5_NS0_18transform_iteratorINS0_17counting_iteratorImlEEZNS1_24adjacent_difference_implIS3_Lb1ELb0EPtSB_N6thrust23THRUST_200600_302600_NS5minusItEEEE10hipError_tPvRmT2_T3_mT4_P12ihipStream_tbEUlmE_tEESB_NS0_8identityIvEEEESG_SJ_SK_mSL_SN_bEUlT_E_NS1_11comp_targetILNS1_3genE4ELNS1_11target_archE910ELNS1_3gpuE8ELNS1_3repE0EEENS1_30default_config_static_selectorELNS0_4arch9wavefront6targetE1EEEvT1_,"axG",@progbits,_ZN7rocprim17ROCPRIM_400000_NS6detail17trampoline_kernelINS0_14default_configENS1_25transform_config_selectorItLb0EEEZNS1_14transform_implILb0ES3_S5_NS0_18transform_iteratorINS0_17counting_iteratorImlEEZNS1_24adjacent_difference_implIS3_Lb1ELb0EPtSB_N6thrust23THRUST_200600_302600_NS5minusItEEEE10hipError_tPvRmT2_T3_mT4_P12ihipStream_tbEUlmE_tEESB_NS0_8identityIvEEEESG_SJ_SK_mSL_SN_bEUlT_E_NS1_11comp_targetILNS1_3genE4ELNS1_11target_archE910ELNS1_3gpuE8ELNS1_3repE0EEENS1_30default_config_static_selectorELNS0_4arch9wavefront6targetE1EEEvT1_,comdat
	.protected	_ZN7rocprim17ROCPRIM_400000_NS6detail17trampoline_kernelINS0_14default_configENS1_25transform_config_selectorItLb0EEEZNS1_14transform_implILb0ES3_S5_NS0_18transform_iteratorINS0_17counting_iteratorImlEEZNS1_24adjacent_difference_implIS3_Lb1ELb0EPtSB_N6thrust23THRUST_200600_302600_NS5minusItEEEE10hipError_tPvRmT2_T3_mT4_P12ihipStream_tbEUlmE_tEESB_NS0_8identityIvEEEESG_SJ_SK_mSL_SN_bEUlT_E_NS1_11comp_targetILNS1_3genE4ELNS1_11target_archE910ELNS1_3gpuE8ELNS1_3repE0EEENS1_30default_config_static_selectorELNS0_4arch9wavefront6targetE1EEEvT1_ ; -- Begin function _ZN7rocprim17ROCPRIM_400000_NS6detail17trampoline_kernelINS0_14default_configENS1_25transform_config_selectorItLb0EEEZNS1_14transform_implILb0ES3_S5_NS0_18transform_iteratorINS0_17counting_iteratorImlEEZNS1_24adjacent_difference_implIS3_Lb1ELb0EPtSB_N6thrust23THRUST_200600_302600_NS5minusItEEEE10hipError_tPvRmT2_T3_mT4_P12ihipStream_tbEUlmE_tEESB_NS0_8identityIvEEEESG_SJ_SK_mSL_SN_bEUlT_E_NS1_11comp_targetILNS1_3genE4ELNS1_11target_archE910ELNS1_3gpuE8ELNS1_3repE0EEENS1_30default_config_static_selectorELNS0_4arch9wavefront6targetE1EEEvT1_
	.globl	_ZN7rocprim17ROCPRIM_400000_NS6detail17trampoline_kernelINS0_14default_configENS1_25transform_config_selectorItLb0EEEZNS1_14transform_implILb0ES3_S5_NS0_18transform_iteratorINS0_17counting_iteratorImlEEZNS1_24adjacent_difference_implIS3_Lb1ELb0EPtSB_N6thrust23THRUST_200600_302600_NS5minusItEEEE10hipError_tPvRmT2_T3_mT4_P12ihipStream_tbEUlmE_tEESB_NS0_8identityIvEEEESG_SJ_SK_mSL_SN_bEUlT_E_NS1_11comp_targetILNS1_3genE4ELNS1_11target_archE910ELNS1_3gpuE8ELNS1_3repE0EEENS1_30default_config_static_selectorELNS0_4arch9wavefront6targetE1EEEvT1_
	.p2align	8
	.type	_ZN7rocprim17ROCPRIM_400000_NS6detail17trampoline_kernelINS0_14default_configENS1_25transform_config_selectorItLb0EEEZNS1_14transform_implILb0ES3_S5_NS0_18transform_iteratorINS0_17counting_iteratorImlEEZNS1_24adjacent_difference_implIS3_Lb1ELb0EPtSB_N6thrust23THRUST_200600_302600_NS5minusItEEEE10hipError_tPvRmT2_T3_mT4_P12ihipStream_tbEUlmE_tEESB_NS0_8identityIvEEEESG_SJ_SK_mSL_SN_bEUlT_E_NS1_11comp_targetILNS1_3genE4ELNS1_11target_archE910ELNS1_3gpuE8ELNS1_3repE0EEENS1_30default_config_static_selectorELNS0_4arch9wavefront6targetE1EEEvT1_,@function
_ZN7rocprim17ROCPRIM_400000_NS6detail17trampoline_kernelINS0_14default_configENS1_25transform_config_selectorItLb0EEEZNS1_14transform_implILb0ES3_S5_NS0_18transform_iteratorINS0_17counting_iteratorImlEEZNS1_24adjacent_difference_implIS3_Lb1ELb0EPtSB_N6thrust23THRUST_200600_302600_NS5minusItEEEE10hipError_tPvRmT2_T3_mT4_P12ihipStream_tbEUlmE_tEESB_NS0_8identityIvEEEESG_SJ_SK_mSL_SN_bEUlT_E_NS1_11comp_targetILNS1_3genE4ELNS1_11target_archE910ELNS1_3gpuE8ELNS1_3repE0EEENS1_30default_config_static_selectorELNS0_4arch9wavefront6targetE1EEEvT1_: ; @_ZN7rocprim17ROCPRIM_400000_NS6detail17trampoline_kernelINS0_14default_configENS1_25transform_config_selectorItLb0EEEZNS1_14transform_implILb0ES3_S5_NS0_18transform_iteratorINS0_17counting_iteratorImlEEZNS1_24adjacent_difference_implIS3_Lb1ELb0EPtSB_N6thrust23THRUST_200600_302600_NS5minusItEEEE10hipError_tPvRmT2_T3_mT4_P12ihipStream_tbEUlmE_tEESB_NS0_8identityIvEEEESG_SJ_SK_mSL_SN_bEUlT_E_NS1_11comp_targetILNS1_3genE4ELNS1_11target_archE910ELNS1_3gpuE8ELNS1_3repE0EEENS1_30default_config_static_selectorELNS0_4arch9wavefront6targetE1EEEvT1_
; %bb.0:
	.section	.rodata,"a",@progbits
	.p2align	6, 0x0
	.amdhsa_kernel _ZN7rocprim17ROCPRIM_400000_NS6detail17trampoline_kernelINS0_14default_configENS1_25transform_config_selectorItLb0EEEZNS1_14transform_implILb0ES3_S5_NS0_18transform_iteratorINS0_17counting_iteratorImlEEZNS1_24adjacent_difference_implIS3_Lb1ELb0EPtSB_N6thrust23THRUST_200600_302600_NS5minusItEEEE10hipError_tPvRmT2_T3_mT4_P12ihipStream_tbEUlmE_tEESB_NS0_8identityIvEEEESG_SJ_SK_mSL_SN_bEUlT_E_NS1_11comp_targetILNS1_3genE4ELNS1_11target_archE910ELNS1_3gpuE8ELNS1_3repE0EEENS1_30default_config_static_selectorELNS0_4arch9wavefront6targetE1EEEvT1_
		.amdhsa_group_segment_fixed_size 0
		.amdhsa_private_segment_fixed_size 0
		.amdhsa_kernarg_size 56
		.amdhsa_user_sgpr_count 2
		.amdhsa_user_sgpr_dispatch_ptr 0
		.amdhsa_user_sgpr_queue_ptr 0
		.amdhsa_user_sgpr_kernarg_segment_ptr 1
		.amdhsa_user_sgpr_dispatch_id 0
		.amdhsa_user_sgpr_kernarg_preload_length 0
		.amdhsa_user_sgpr_kernarg_preload_offset 0
		.amdhsa_user_sgpr_private_segment_size 0
		.amdhsa_uses_dynamic_stack 0
		.amdhsa_enable_private_segment 0
		.amdhsa_system_sgpr_workgroup_id_x 1
		.amdhsa_system_sgpr_workgroup_id_y 0
		.amdhsa_system_sgpr_workgroup_id_z 0
		.amdhsa_system_sgpr_workgroup_info 0
		.amdhsa_system_vgpr_workitem_id 0
		.amdhsa_next_free_vgpr 1
		.amdhsa_next_free_sgpr 0
		.amdhsa_accum_offset 4
		.amdhsa_reserve_vcc 0
		.amdhsa_float_round_mode_32 0
		.amdhsa_float_round_mode_16_64 0
		.amdhsa_float_denorm_mode_32 3
		.amdhsa_float_denorm_mode_16_64 3
		.amdhsa_dx10_clamp 1
		.amdhsa_ieee_mode 1
		.amdhsa_fp16_overflow 0
		.amdhsa_tg_split 0
		.amdhsa_exception_fp_ieee_invalid_op 0
		.amdhsa_exception_fp_denorm_src 0
		.amdhsa_exception_fp_ieee_div_zero 0
		.amdhsa_exception_fp_ieee_overflow 0
		.amdhsa_exception_fp_ieee_underflow 0
		.amdhsa_exception_fp_ieee_inexact 0
		.amdhsa_exception_int_div_zero 0
	.end_amdhsa_kernel
	.section	.text._ZN7rocprim17ROCPRIM_400000_NS6detail17trampoline_kernelINS0_14default_configENS1_25transform_config_selectorItLb0EEEZNS1_14transform_implILb0ES3_S5_NS0_18transform_iteratorINS0_17counting_iteratorImlEEZNS1_24adjacent_difference_implIS3_Lb1ELb0EPtSB_N6thrust23THRUST_200600_302600_NS5minusItEEEE10hipError_tPvRmT2_T3_mT4_P12ihipStream_tbEUlmE_tEESB_NS0_8identityIvEEEESG_SJ_SK_mSL_SN_bEUlT_E_NS1_11comp_targetILNS1_3genE4ELNS1_11target_archE910ELNS1_3gpuE8ELNS1_3repE0EEENS1_30default_config_static_selectorELNS0_4arch9wavefront6targetE1EEEvT1_,"axG",@progbits,_ZN7rocprim17ROCPRIM_400000_NS6detail17trampoline_kernelINS0_14default_configENS1_25transform_config_selectorItLb0EEEZNS1_14transform_implILb0ES3_S5_NS0_18transform_iteratorINS0_17counting_iteratorImlEEZNS1_24adjacent_difference_implIS3_Lb1ELb0EPtSB_N6thrust23THRUST_200600_302600_NS5minusItEEEE10hipError_tPvRmT2_T3_mT4_P12ihipStream_tbEUlmE_tEESB_NS0_8identityIvEEEESG_SJ_SK_mSL_SN_bEUlT_E_NS1_11comp_targetILNS1_3genE4ELNS1_11target_archE910ELNS1_3gpuE8ELNS1_3repE0EEENS1_30default_config_static_selectorELNS0_4arch9wavefront6targetE1EEEvT1_,comdat
.Lfunc_end324:
	.size	_ZN7rocprim17ROCPRIM_400000_NS6detail17trampoline_kernelINS0_14default_configENS1_25transform_config_selectorItLb0EEEZNS1_14transform_implILb0ES3_S5_NS0_18transform_iteratorINS0_17counting_iteratorImlEEZNS1_24adjacent_difference_implIS3_Lb1ELb0EPtSB_N6thrust23THRUST_200600_302600_NS5minusItEEEE10hipError_tPvRmT2_T3_mT4_P12ihipStream_tbEUlmE_tEESB_NS0_8identityIvEEEESG_SJ_SK_mSL_SN_bEUlT_E_NS1_11comp_targetILNS1_3genE4ELNS1_11target_archE910ELNS1_3gpuE8ELNS1_3repE0EEENS1_30default_config_static_selectorELNS0_4arch9wavefront6targetE1EEEvT1_, .Lfunc_end324-_ZN7rocprim17ROCPRIM_400000_NS6detail17trampoline_kernelINS0_14default_configENS1_25transform_config_selectorItLb0EEEZNS1_14transform_implILb0ES3_S5_NS0_18transform_iteratorINS0_17counting_iteratorImlEEZNS1_24adjacent_difference_implIS3_Lb1ELb0EPtSB_N6thrust23THRUST_200600_302600_NS5minusItEEEE10hipError_tPvRmT2_T3_mT4_P12ihipStream_tbEUlmE_tEESB_NS0_8identityIvEEEESG_SJ_SK_mSL_SN_bEUlT_E_NS1_11comp_targetILNS1_3genE4ELNS1_11target_archE910ELNS1_3gpuE8ELNS1_3repE0EEENS1_30default_config_static_selectorELNS0_4arch9wavefront6targetE1EEEvT1_
                                        ; -- End function
	.section	.AMDGPU.csdata,"",@progbits
; Kernel info:
; codeLenInByte = 0
; NumSgprs: 6
; NumVgprs: 0
; NumAgprs: 0
; TotalNumVgprs: 0
; ScratchSize: 0
; MemoryBound: 0
; FloatMode: 240
; IeeeMode: 1
; LDSByteSize: 0 bytes/workgroup (compile time only)
; SGPRBlocks: 0
; VGPRBlocks: 0
; NumSGPRsForWavesPerEU: 6
; NumVGPRsForWavesPerEU: 1
; AccumOffset: 4
; Occupancy: 8
; WaveLimiterHint : 0
; COMPUTE_PGM_RSRC2:SCRATCH_EN: 0
; COMPUTE_PGM_RSRC2:USER_SGPR: 2
; COMPUTE_PGM_RSRC2:TRAP_HANDLER: 0
; COMPUTE_PGM_RSRC2:TGID_X_EN: 1
; COMPUTE_PGM_RSRC2:TGID_Y_EN: 0
; COMPUTE_PGM_RSRC2:TGID_Z_EN: 0
; COMPUTE_PGM_RSRC2:TIDIG_COMP_CNT: 0
; COMPUTE_PGM_RSRC3_GFX90A:ACCUM_OFFSET: 0
; COMPUTE_PGM_RSRC3_GFX90A:TG_SPLIT: 0
	.section	.text._ZN7rocprim17ROCPRIM_400000_NS6detail17trampoline_kernelINS0_14default_configENS1_25transform_config_selectorItLb0EEEZNS1_14transform_implILb0ES3_S5_NS0_18transform_iteratorINS0_17counting_iteratorImlEEZNS1_24adjacent_difference_implIS3_Lb1ELb0EPtSB_N6thrust23THRUST_200600_302600_NS5minusItEEEE10hipError_tPvRmT2_T3_mT4_P12ihipStream_tbEUlmE_tEESB_NS0_8identityIvEEEESG_SJ_SK_mSL_SN_bEUlT_E_NS1_11comp_targetILNS1_3genE3ELNS1_11target_archE908ELNS1_3gpuE7ELNS1_3repE0EEENS1_30default_config_static_selectorELNS0_4arch9wavefront6targetE1EEEvT1_,"axG",@progbits,_ZN7rocprim17ROCPRIM_400000_NS6detail17trampoline_kernelINS0_14default_configENS1_25transform_config_selectorItLb0EEEZNS1_14transform_implILb0ES3_S5_NS0_18transform_iteratorINS0_17counting_iteratorImlEEZNS1_24adjacent_difference_implIS3_Lb1ELb0EPtSB_N6thrust23THRUST_200600_302600_NS5minusItEEEE10hipError_tPvRmT2_T3_mT4_P12ihipStream_tbEUlmE_tEESB_NS0_8identityIvEEEESG_SJ_SK_mSL_SN_bEUlT_E_NS1_11comp_targetILNS1_3genE3ELNS1_11target_archE908ELNS1_3gpuE7ELNS1_3repE0EEENS1_30default_config_static_selectorELNS0_4arch9wavefront6targetE1EEEvT1_,comdat
	.protected	_ZN7rocprim17ROCPRIM_400000_NS6detail17trampoline_kernelINS0_14default_configENS1_25transform_config_selectorItLb0EEEZNS1_14transform_implILb0ES3_S5_NS0_18transform_iteratorINS0_17counting_iteratorImlEEZNS1_24adjacent_difference_implIS3_Lb1ELb0EPtSB_N6thrust23THRUST_200600_302600_NS5minusItEEEE10hipError_tPvRmT2_T3_mT4_P12ihipStream_tbEUlmE_tEESB_NS0_8identityIvEEEESG_SJ_SK_mSL_SN_bEUlT_E_NS1_11comp_targetILNS1_3genE3ELNS1_11target_archE908ELNS1_3gpuE7ELNS1_3repE0EEENS1_30default_config_static_selectorELNS0_4arch9wavefront6targetE1EEEvT1_ ; -- Begin function _ZN7rocprim17ROCPRIM_400000_NS6detail17trampoline_kernelINS0_14default_configENS1_25transform_config_selectorItLb0EEEZNS1_14transform_implILb0ES3_S5_NS0_18transform_iteratorINS0_17counting_iteratorImlEEZNS1_24adjacent_difference_implIS3_Lb1ELb0EPtSB_N6thrust23THRUST_200600_302600_NS5minusItEEEE10hipError_tPvRmT2_T3_mT4_P12ihipStream_tbEUlmE_tEESB_NS0_8identityIvEEEESG_SJ_SK_mSL_SN_bEUlT_E_NS1_11comp_targetILNS1_3genE3ELNS1_11target_archE908ELNS1_3gpuE7ELNS1_3repE0EEENS1_30default_config_static_selectorELNS0_4arch9wavefront6targetE1EEEvT1_
	.globl	_ZN7rocprim17ROCPRIM_400000_NS6detail17trampoline_kernelINS0_14default_configENS1_25transform_config_selectorItLb0EEEZNS1_14transform_implILb0ES3_S5_NS0_18transform_iteratorINS0_17counting_iteratorImlEEZNS1_24adjacent_difference_implIS3_Lb1ELb0EPtSB_N6thrust23THRUST_200600_302600_NS5minusItEEEE10hipError_tPvRmT2_T3_mT4_P12ihipStream_tbEUlmE_tEESB_NS0_8identityIvEEEESG_SJ_SK_mSL_SN_bEUlT_E_NS1_11comp_targetILNS1_3genE3ELNS1_11target_archE908ELNS1_3gpuE7ELNS1_3repE0EEENS1_30default_config_static_selectorELNS0_4arch9wavefront6targetE1EEEvT1_
	.p2align	8
	.type	_ZN7rocprim17ROCPRIM_400000_NS6detail17trampoline_kernelINS0_14default_configENS1_25transform_config_selectorItLb0EEEZNS1_14transform_implILb0ES3_S5_NS0_18transform_iteratorINS0_17counting_iteratorImlEEZNS1_24adjacent_difference_implIS3_Lb1ELb0EPtSB_N6thrust23THRUST_200600_302600_NS5minusItEEEE10hipError_tPvRmT2_T3_mT4_P12ihipStream_tbEUlmE_tEESB_NS0_8identityIvEEEESG_SJ_SK_mSL_SN_bEUlT_E_NS1_11comp_targetILNS1_3genE3ELNS1_11target_archE908ELNS1_3gpuE7ELNS1_3repE0EEENS1_30default_config_static_selectorELNS0_4arch9wavefront6targetE1EEEvT1_,@function
_ZN7rocprim17ROCPRIM_400000_NS6detail17trampoline_kernelINS0_14default_configENS1_25transform_config_selectorItLb0EEEZNS1_14transform_implILb0ES3_S5_NS0_18transform_iteratorINS0_17counting_iteratorImlEEZNS1_24adjacent_difference_implIS3_Lb1ELb0EPtSB_N6thrust23THRUST_200600_302600_NS5minusItEEEE10hipError_tPvRmT2_T3_mT4_P12ihipStream_tbEUlmE_tEESB_NS0_8identityIvEEEESG_SJ_SK_mSL_SN_bEUlT_E_NS1_11comp_targetILNS1_3genE3ELNS1_11target_archE908ELNS1_3gpuE7ELNS1_3repE0EEENS1_30default_config_static_selectorELNS0_4arch9wavefront6targetE1EEEvT1_: ; @_ZN7rocprim17ROCPRIM_400000_NS6detail17trampoline_kernelINS0_14default_configENS1_25transform_config_selectorItLb0EEEZNS1_14transform_implILb0ES3_S5_NS0_18transform_iteratorINS0_17counting_iteratorImlEEZNS1_24adjacent_difference_implIS3_Lb1ELb0EPtSB_N6thrust23THRUST_200600_302600_NS5minusItEEEE10hipError_tPvRmT2_T3_mT4_P12ihipStream_tbEUlmE_tEESB_NS0_8identityIvEEEESG_SJ_SK_mSL_SN_bEUlT_E_NS1_11comp_targetILNS1_3genE3ELNS1_11target_archE908ELNS1_3gpuE7ELNS1_3repE0EEENS1_30default_config_static_selectorELNS0_4arch9wavefront6targetE1EEEvT1_
; %bb.0:
	.section	.rodata,"a",@progbits
	.p2align	6, 0x0
	.amdhsa_kernel _ZN7rocprim17ROCPRIM_400000_NS6detail17trampoline_kernelINS0_14default_configENS1_25transform_config_selectorItLb0EEEZNS1_14transform_implILb0ES3_S5_NS0_18transform_iteratorINS0_17counting_iteratorImlEEZNS1_24adjacent_difference_implIS3_Lb1ELb0EPtSB_N6thrust23THRUST_200600_302600_NS5minusItEEEE10hipError_tPvRmT2_T3_mT4_P12ihipStream_tbEUlmE_tEESB_NS0_8identityIvEEEESG_SJ_SK_mSL_SN_bEUlT_E_NS1_11comp_targetILNS1_3genE3ELNS1_11target_archE908ELNS1_3gpuE7ELNS1_3repE0EEENS1_30default_config_static_selectorELNS0_4arch9wavefront6targetE1EEEvT1_
		.amdhsa_group_segment_fixed_size 0
		.amdhsa_private_segment_fixed_size 0
		.amdhsa_kernarg_size 56
		.amdhsa_user_sgpr_count 2
		.amdhsa_user_sgpr_dispatch_ptr 0
		.amdhsa_user_sgpr_queue_ptr 0
		.amdhsa_user_sgpr_kernarg_segment_ptr 1
		.amdhsa_user_sgpr_dispatch_id 0
		.amdhsa_user_sgpr_kernarg_preload_length 0
		.amdhsa_user_sgpr_kernarg_preload_offset 0
		.amdhsa_user_sgpr_private_segment_size 0
		.amdhsa_uses_dynamic_stack 0
		.amdhsa_enable_private_segment 0
		.amdhsa_system_sgpr_workgroup_id_x 1
		.amdhsa_system_sgpr_workgroup_id_y 0
		.amdhsa_system_sgpr_workgroup_id_z 0
		.amdhsa_system_sgpr_workgroup_info 0
		.amdhsa_system_vgpr_workitem_id 0
		.amdhsa_next_free_vgpr 1
		.amdhsa_next_free_sgpr 0
		.amdhsa_accum_offset 4
		.amdhsa_reserve_vcc 0
		.amdhsa_float_round_mode_32 0
		.amdhsa_float_round_mode_16_64 0
		.amdhsa_float_denorm_mode_32 3
		.amdhsa_float_denorm_mode_16_64 3
		.amdhsa_dx10_clamp 1
		.amdhsa_ieee_mode 1
		.amdhsa_fp16_overflow 0
		.amdhsa_tg_split 0
		.amdhsa_exception_fp_ieee_invalid_op 0
		.amdhsa_exception_fp_denorm_src 0
		.amdhsa_exception_fp_ieee_div_zero 0
		.amdhsa_exception_fp_ieee_overflow 0
		.amdhsa_exception_fp_ieee_underflow 0
		.amdhsa_exception_fp_ieee_inexact 0
		.amdhsa_exception_int_div_zero 0
	.end_amdhsa_kernel
	.section	.text._ZN7rocprim17ROCPRIM_400000_NS6detail17trampoline_kernelINS0_14default_configENS1_25transform_config_selectorItLb0EEEZNS1_14transform_implILb0ES3_S5_NS0_18transform_iteratorINS0_17counting_iteratorImlEEZNS1_24adjacent_difference_implIS3_Lb1ELb0EPtSB_N6thrust23THRUST_200600_302600_NS5minusItEEEE10hipError_tPvRmT2_T3_mT4_P12ihipStream_tbEUlmE_tEESB_NS0_8identityIvEEEESG_SJ_SK_mSL_SN_bEUlT_E_NS1_11comp_targetILNS1_3genE3ELNS1_11target_archE908ELNS1_3gpuE7ELNS1_3repE0EEENS1_30default_config_static_selectorELNS0_4arch9wavefront6targetE1EEEvT1_,"axG",@progbits,_ZN7rocprim17ROCPRIM_400000_NS6detail17trampoline_kernelINS0_14default_configENS1_25transform_config_selectorItLb0EEEZNS1_14transform_implILb0ES3_S5_NS0_18transform_iteratorINS0_17counting_iteratorImlEEZNS1_24adjacent_difference_implIS3_Lb1ELb0EPtSB_N6thrust23THRUST_200600_302600_NS5minusItEEEE10hipError_tPvRmT2_T3_mT4_P12ihipStream_tbEUlmE_tEESB_NS0_8identityIvEEEESG_SJ_SK_mSL_SN_bEUlT_E_NS1_11comp_targetILNS1_3genE3ELNS1_11target_archE908ELNS1_3gpuE7ELNS1_3repE0EEENS1_30default_config_static_selectorELNS0_4arch9wavefront6targetE1EEEvT1_,comdat
.Lfunc_end325:
	.size	_ZN7rocprim17ROCPRIM_400000_NS6detail17trampoline_kernelINS0_14default_configENS1_25transform_config_selectorItLb0EEEZNS1_14transform_implILb0ES3_S5_NS0_18transform_iteratorINS0_17counting_iteratorImlEEZNS1_24adjacent_difference_implIS3_Lb1ELb0EPtSB_N6thrust23THRUST_200600_302600_NS5minusItEEEE10hipError_tPvRmT2_T3_mT4_P12ihipStream_tbEUlmE_tEESB_NS0_8identityIvEEEESG_SJ_SK_mSL_SN_bEUlT_E_NS1_11comp_targetILNS1_3genE3ELNS1_11target_archE908ELNS1_3gpuE7ELNS1_3repE0EEENS1_30default_config_static_selectorELNS0_4arch9wavefront6targetE1EEEvT1_, .Lfunc_end325-_ZN7rocprim17ROCPRIM_400000_NS6detail17trampoline_kernelINS0_14default_configENS1_25transform_config_selectorItLb0EEEZNS1_14transform_implILb0ES3_S5_NS0_18transform_iteratorINS0_17counting_iteratorImlEEZNS1_24adjacent_difference_implIS3_Lb1ELb0EPtSB_N6thrust23THRUST_200600_302600_NS5minusItEEEE10hipError_tPvRmT2_T3_mT4_P12ihipStream_tbEUlmE_tEESB_NS0_8identityIvEEEESG_SJ_SK_mSL_SN_bEUlT_E_NS1_11comp_targetILNS1_3genE3ELNS1_11target_archE908ELNS1_3gpuE7ELNS1_3repE0EEENS1_30default_config_static_selectorELNS0_4arch9wavefront6targetE1EEEvT1_
                                        ; -- End function
	.section	.AMDGPU.csdata,"",@progbits
; Kernel info:
; codeLenInByte = 0
; NumSgprs: 6
; NumVgprs: 0
; NumAgprs: 0
; TotalNumVgprs: 0
; ScratchSize: 0
; MemoryBound: 0
; FloatMode: 240
; IeeeMode: 1
; LDSByteSize: 0 bytes/workgroup (compile time only)
; SGPRBlocks: 0
; VGPRBlocks: 0
; NumSGPRsForWavesPerEU: 6
; NumVGPRsForWavesPerEU: 1
; AccumOffset: 4
; Occupancy: 8
; WaveLimiterHint : 0
; COMPUTE_PGM_RSRC2:SCRATCH_EN: 0
; COMPUTE_PGM_RSRC2:USER_SGPR: 2
; COMPUTE_PGM_RSRC2:TRAP_HANDLER: 0
; COMPUTE_PGM_RSRC2:TGID_X_EN: 1
; COMPUTE_PGM_RSRC2:TGID_Y_EN: 0
; COMPUTE_PGM_RSRC2:TGID_Z_EN: 0
; COMPUTE_PGM_RSRC2:TIDIG_COMP_CNT: 0
; COMPUTE_PGM_RSRC3_GFX90A:ACCUM_OFFSET: 0
; COMPUTE_PGM_RSRC3_GFX90A:TG_SPLIT: 0
	.section	.text._ZN7rocprim17ROCPRIM_400000_NS6detail17trampoline_kernelINS0_14default_configENS1_25transform_config_selectorItLb0EEEZNS1_14transform_implILb0ES3_S5_NS0_18transform_iteratorINS0_17counting_iteratorImlEEZNS1_24adjacent_difference_implIS3_Lb1ELb0EPtSB_N6thrust23THRUST_200600_302600_NS5minusItEEEE10hipError_tPvRmT2_T3_mT4_P12ihipStream_tbEUlmE_tEESB_NS0_8identityIvEEEESG_SJ_SK_mSL_SN_bEUlT_E_NS1_11comp_targetILNS1_3genE2ELNS1_11target_archE906ELNS1_3gpuE6ELNS1_3repE0EEENS1_30default_config_static_selectorELNS0_4arch9wavefront6targetE1EEEvT1_,"axG",@progbits,_ZN7rocprim17ROCPRIM_400000_NS6detail17trampoline_kernelINS0_14default_configENS1_25transform_config_selectorItLb0EEEZNS1_14transform_implILb0ES3_S5_NS0_18transform_iteratorINS0_17counting_iteratorImlEEZNS1_24adjacent_difference_implIS3_Lb1ELb0EPtSB_N6thrust23THRUST_200600_302600_NS5minusItEEEE10hipError_tPvRmT2_T3_mT4_P12ihipStream_tbEUlmE_tEESB_NS0_8identityIvEEEESG_SJ_SK_mSL_SN_bEUlT_E_NS1_11comp_targetILNS1_3genE2ELNS1_11target_archE906ELNS1_3gpuE6ELNS1_3repE0EEENS1_30default_config_static_selectorELNS0_4arch9wavefront6targetE1EEEvT1_,comdat
	.protected	_ZN7rocprim17ROCPRIM_400000_NS6detail17trampoline_kernelINS0_14default_configENS1_25transform_config_selectorItLb0EEEZNS1_14transform_implILb0ES3_S5_NS0_18transform_iteratorINS0_17counting_iteratorImlEEZNS1_24adjacent_difference_implIS3_Lb1ELb0EPtSB_N6thrust23THRUST_200600_302600_NS5minusItEEEE10hipError_tPvRmT2_T3_mT4_P12ihipStream_tbEUlmE_tEESB_NS0_8identityIvEEEESG_SJ_SK_mSL_SN_bEUlT_E_NS1_11comp_targetILNS1_3genE2ELNS1_11target_archE906ELNS1_3gpuE6ELNS1_3repE0EEENS1_30default_config_static_selectorELNS0_4arch9wavefront6targetE1EEEvT1_ ; -- Begin function _ZN7rocprim17ROCPRIM_400000_NS6detail17trampoline_kernelINS0_14default_configENS1_25transform_config_selectorItLb0EEEZNS1_14transform_implILb0ES3_S5_NS0_18transform_iteratorINS0_17counting_iteratorImlEEZNS1_24adjacent_difference_implIS3_Lb1ELb0EPtSB_N6thrust23THRUST_200600_302600_NS5minusItEEEE10hipError_tPvRmT2_T3_mT4_P12ihipStream_tbEUlmE_tEESB_NS0_8identityIvEEEESG_SJ_SK_mSL_SN_bEUlT_E_NS1_11comp_targetILNS1_3genE2ELNS1_11target_archE906ELNS1_3gpuE6ELNS1_3repE0EEENS1_30default_config_static_selectorELNS0_4arch9wavefront6targetE1EEEvT1_
	.globl	_ZN7rocprim17ROCPRIM_400000_NS6detail17trampoline_kernelINS0_14default_configENS1_25transform_config_selectorItLb0EEEZNS1_14transform_implILb0ES3_S5_NS0_18transform_iteratorINS0_17counting_iteratorImlEEZNS1_24adjacent_difference_implIS3_Lb1ELb0EPtSB_N6thrust23THRUST_200600_302600_NS5minusItEEEE10hipError_tPvRmT2_T3_mT4_P12ihipStream_tbEUlmE_tEESB_NS0_8identityIvEEEESG_SJ_SK_mSL_SN_bEUlT_E_NS1_11comp_targetILNS1_3genE2ELNS1_11target_archE906ELNS1_3gpuE6ELNS1_3repE0EEENS1_30default_config_static_selectorELNS0_4arch9wavefront6targetE1EEEvT1_
	.p2align	8
	.type	_ZN7rocprim17ROCPRIM_400000_NS6detail17trampoline_kernelINS0_14default_configENS1_25transform_config_selectorItLb0EEEZNS1_14transform_implILb0ES3_S5_NS0_18transform_iteratorINS0_17counting_iteratorImlEEZNS1_24adjacent_difference_implIS3_Lb1ELb0EPtSB_N6thrust23THRUST_200600_302600_NS5minusItEEEE10hipError_tPvRmT2_T3_mT4_P12ihipStream_tbEUlmE_tEESB_NS0_8identityIvEEEESG_SJ_SK_mSL_SN_bEUlT_E_NS1_11comp_targetILNS1_3genE2ELNS1_11target_archE906ELNS1_3gpuE6ELNS1_3repE0EEENS1_30default_config_static_selectorELNS0_4arch9wavefront6targetE1EEEvT1_,@function
_ZN7rocprim17ROCPRIM_400000_NS6detail17trampoline_kernelINS0_14default_configENS1_25transform_config_selectorItLb0EEEZNS1_14transform_implILb0ES3_S5_NS0_18transform_iteratorINS0_17counting_iteratorImlEEZNS1_24adjacent_difference_implIS3_Lb1ELb0EPtSB_N6thrust23THRUST_200600_302600_NS5minusItEEEE10hipError_tPvRmT2_T3_mT4_P12ihipStream_tbEUlmE_tEESB_NS0_8identityIvEEEESG_SJ_SK_mSL_SN_bEUlT_E_NS1_11comp_targetILNS1_3genE2ELNS1_11target_archE906ELNS1_3gpuE6ELNS1_3repE0EEENS1_30default_config_static_selectorELNS0_4arch9wavefront6targetE1EEEvT1_: ; @_ZN7rocprim17ROCPRIM_400000_NS6detail17trampoline_kernelINS0_14default_configENS1_25transform_config_selectorItLb0EEEZNS1_14transform_implILb0ES3_S5_NS0_18transform_iteratorINS0_17counting_iteratorImlEEZNS1_24adjacent_difference_implIS3_Lb1ELb0EPtSB_N6thrust23THRUST_200600_302600_NS5minusItEEEE10hipError_tPvRmT2_T3_mT4_P12ihipStream_tbEUlmE_tEESB_NS0_8identityIvEEEESG_SJ_SK_mSL_SN_bEUlT_E_NS1_11comp_targetILNS1_3genE2ELNS1_11target_archE906ELNS1_3gpuE6ELNS1_3repE0EEENS1_30default_config_static_selectorELNS0_4arch9wavefront6targetE1EEEvT1_
; %bb.0:
	.section	.rodata,"a",@progbits
	.p2align	6, 0x0
	.amdhsa_kernel _ZN7rocprim17ROCPRIM_400000_NS6detail17trampoline_kernelINS0_14default_configENS1_25transform_config_selectorItLb0EEEZNS1_14transform_implILb0ES3_S5_NS0_18transform_iteratorINS0_17counting_iteratorImlEEZNS1_24adjacent_difference_implIS3_Lb1ELb0EPtSB_N6thrust23THRUST_200600_302600_NS5minusItEEEE10hipError_tPvRmT2_T3_mT4_P12ihipStream_tbEUlmE_tEESB_NS0_8identityIvEEEESG_SJ_SK_mSL_SN_bEUlT_E_NS1_11comp_targetILNS1_3genE2ELNS1_11target_archE906ELNS1_3gpuE6ELNS1_3repE0EEENS1_30default_config_static_selectorELNS0_4arch9wavefront6targetE1EEEvT1_
		.amdhsa_group_segment_fixed_size 0
		.amdhsa_private_segment_fixed_size 0
		.amdhsa_kernarg_size 56
		.amdhsa_user_sgpr_count 2
		.amdhsa_user_sgpr_dispatch_ptr 0
		.amdhsa_user_sgpr_queue_ptr 0
		.amdhsa_user_sgpr_kernarg_segment_ptr 1
		.amdhsa_user_sgpr_dispatch_id 0
		.amdhsa_user_sgpr_kernarg_preload_length 0
		.amdhsa_user_sgpr_kernarg_preload_offset 0
		.amdhsa_user_sgpr_private_segment_size 0
		.amdhsa_uses_dynamic_stack 0
		.amdhsa_enable_private_segment 0
		.amdhsa_system_sgpr_workgroup_id_x 1
		.amdhsa_system_sgpr_workgroup_id_y 0
		.amdhsa_system_sgpr_workgroup_id_z 0
		.amdhsa_system_sgpr_workgroup_info 0
		.amdhsa_system_vgpr_workitem_id 0
		.amdhsa_next_free_vgpr 1
		.amdhsa_next_free_sgpr 0
		.amdhsa_accum_offset 4
		.amdhsa_reserve_vcc 0
		.amdhsa_float_round_mode_32 0
		.amdhsa_float_round_mode_16_64 0
		.amdhsa_float_denorm_mode_32 3
		.amdhsa_float_denorm_mode_16_64 3
		.amdhsa_dx10_clamp 1
		.amdhsa_ieee_mode 1
		.amdhsa_fp16_overflow 0
		.amdhsa_tg_split 0
		.amdhsa_exception_fp_ieee_invalid_op 0
		.amdhsa_exception_fp_denorm_src 0
		.amdhsa_exception_fp_ieee_div_zero 0
		.amdhsa_exception_fp_ieee_overflow 0
		.amdhsa_exception_fp_ieee_underflow 0
		.amdhsa_exception_fp_ieee_inexact 0
		.amdhsa_exception_int_div_zero 0
	.end_amdhsa_kernel
	.section	.text._ZN7rocprim17ROCPRIM_400000_NS6detail17trampoline_kernelINS0_14default_configENS1_25transform_config_selectorItLb0EEEZNS1_14transform_implILb0ES3_S5_NS0_18transform_iteratorINS0_17counting_iteratorImlEEZNS1_24adjacent_difference_implIS3_Lb1ELb0EPtSB_N6thrust23THRUST_200600_302600_NS5minusItEEEE10hipError_tPvRmT2_T3_mT4_P12ihipStream_tbEUlmE_tEESB_NS0_8identityIvEEEESG_SJ_SK_mSL_SN_bEUlT_E_NS1_11comp_targetILNS1_3genE2ELNS1_11target_archE906ELNS1_3gpuE6ELNS1_3repE0EEENS1_30default_config_static_selectorELNS0_4arch9wavefront6targetE1EEEvT1_,"axG",@progbits,_ZN7rocprim17ROCPRIM_400000_NS6detail17trampoline_kernelINS0_14default_configENS1_25transform_config_selectorItLb0EEEZNS1_14transform_implILb0ES3_S5_NS0_18transform_iteratorINS0_17counting_iteratorImlEEZNS1_24adjacent_difference_implIS3_Lb1ELb0EPtSB_N6thrust23THRUST_200600_302600_NS5minusItEEEE10hipError_tPvRmT2_T3_mT4_P12ihipStream_tbEUlmE_tEESB_NS0_8identityIvEEEESG_SJ_SK_mSL_SN_bEUlT_E_NS1_11comp_targetILNS1_3genE2ELNS1_11target_archE906ELNS1_3gpuE6ELNS1_3repE0EEENS1_30default_config_static_selectorELNS0_4arch9wavefront6targetE1EEEvT1_,comdat
.Lfunc_end326:
	.size	_ZN7rocprim17ROCPRIM_400000_NS6detail17trampoline_kernelINS0_14default_configENS1_25transform_config_selectorItLb0EEEZNS1_14transform_implILb0ES3_S5_NS0_18transform_iteratorINS0_17counting_iteratorImlEEZNS1_24adjacent_difference_implIS3_Lb1ELb0EPtSB_N6thrust23THRUST_200600_302600_NS5minusItEEEE10hipError_tPvRmT2_T3_mT4_P12ihipStream_tbEUlmE_tEESB_NS0_8identityIvEEEESG_SJ_SK_mSL_SN_bEUlT_E_NS1_11comp_targetILNS1_3genE2ELNS1_11target_archE906ELNS1_3gpuE6ELNS1_3repE0EEENS1_30default_config_static_selectorELNS0_4arch9wavefront6targetE1EEEvT1_, .Lfunc_end326-_ZN7rocprim17ROCPRIM_400000_NS6detail17trampoline_kernelINS0_14default_configENS1_25transform_config_selectorItLb0EEEZNS1_14transform_implILb0ES3_S5_NS0_18transform_iteratorINS0_17counting_iteratorImlEEZNS1_24adjacent_difference_implIS3_Lb1ELb0EPtSB_N6thrust23THRUST_200600_302600_NS5minusItEEEE10hipError_tPvRmT2_T3_mT4_P12ihipStream_tbEUlmE_tEESB_NS0_8identityIvEEEESG_SJ_SK_mSL_SN_bEUlT_E_NS1_11comp_targetILNS1_3genE2ELNS1_11target_archE906ELNS1_3gpuE6ELNS1_3repE0EEENS1_30default_config_static_selectorELNS0_4arch9wavefront6targetE1EEEvT1_
                                        ; -- End function
	.section	.AMDGPU.csdata,"",@progbits
; Kernel info:
; codeLenInByte = 0
; NumSgprs: 6
; NumVgprs: 0
; NumAgprs: 0
; TotalNumVgprs: 0
; ScratchSize: 0
; MemoryBound: 0
; FloatMode: 240
; IeeeMode: 1
; LDSByteSize: 0 bytes/workgroup (compile time only)
; SGPRBlocks: 0
; VGPRBlocks: 0
; NumSGPRsForWavesPerEU: 6
; NumVGPRsForWavesPerEU: 1
; AccumOffset: 4
; Occupancy: 8
; WaveLimiterHint : 0
; COMPUTE_PGM_RSRC2:SCRATCH_EN: 0
; COMPUTE_PGM_RSRC2:USER_SGPR: 2
; COMPUTE_PGM_RSRC2:TRAP_HANDLER: 0
; COMPUTE_PGM_RSRC2:TGID_X_EN: 1
; COMPUTE_PGM_RSRC2:TGID_Y_EN: 0
; COMPUTE_PGM_RSRC2:TGID_Z_EN: 0
; COMPUTE_PGM_RSRC2:TIDIG_COMP_CNT: 0
; COMPUTE_PGM_RSRC3_GFX90A:ACCUM_OFFSET: 0
; COMPUTE_PGM_RSRC3_GFX90A:TG_SPLIT: 0
	.section	.text._ZN7rocprim17ROCPRIM_400000_NS6detail17trampoline_kernelINS0_14default_configENS1_25transform_config_selectorItLb0EEEZNS1_14transform_implILb0ES3_S5_NS0_18transform_iteratorINS0_17counting_iteratorImlEEZNS1_24adjacent_difference_implIS3_Lb1ELb0EPtSB_N6thrust23THRUST_200600_302600_NS5minusItEEEE10hipError_tPvRmT2_T3_mT4_P12ihipStream_tbEUlmE_tEESB_NS0_8identityIvEEEESG_SJ_SK_mSL_SN_bEUlT_E_NS1_11comp_targetILNS1_3genE10ELNS1_11target_archE1201ELNS1_3gpuE5ELNS1_3repE0EEENS1_30default_config_static_selectorELNS0_4arch9wavefront6targetE1EEEvT1_,"axG",@progbits,_ZN7rocprim17ROCPRIM_400000_NS6detail17trampoline_kernelINS0_14default_configENS1_25transform_config_selectorItLb0EEEZNS1_14transform_implILb0ES3_S5_NS0_18transform_iteratorINS0_17counting_iteratorImlEEZNS1_24adjacent_difference_implIS3_Lb1ELb0EPtSB_N6thrust23THRUST_200600_302600_NS5minusItEEEE10hipError_tPvRmT2_T3_mT4_P12ihipStream_tbEUlmE_tEESB_NS0_8identityIvEEEESG_SJ_SK_mSL_SN_bEUlT_E_NS1_11comp_targetILNS1_3genE10ELNS1_11target_archE1201ELNS1_3gpuE5ELNS1_3repE0EEENS1_30default_config_static_selectorELNS0_4arch9wavefront6targetE1EEEvT1_,comdat
	.protected	_ZN7rocprim17ROCPRIM_400000_NS6detail17trampoline_kernelINS0_14default_configENS1_25transform_config_selectorItLb0EEEZNS1_14transform_implILb0ES3_S5_NS0_18transform_iteratorINS0_17counting_iteratorImlEEZNS1_24adjacent_difference_implIS3_Lb1ELb0EPtSB_N6thrust23THRUST_200600_302600_NS5minusItEEEE10hipError_tPvRmT2_T3_mT4_P12ihipStream_tbEUlmE_tEESB_NS0_8identityIvEEEESG_SJ_SK_mSL_SN_bEUlT_E_NS1_11comp_targetILNS1_3genE10ELNS1_11target_archE1201ELNS1_3gpuE5ELNS1_3repE0EEENS1_30default_config_static_selectorELNS0_4arch9wavefront6targetE1EEEvT1_ ; -- Begin function _ZN7rocprim17ROCPRIM_400000_NS6detail17trampoline_kernelINS0_14default_configENS1_25transform_config_selectorItLb0EEEZNS1_14transform_implILb0ES3_S5_NS0_18transform_iteratorINS0_17counting_iteratorImlEEZNS1_24adjacent_difference_implIS3_Lb1ELb0EPtSB_N6thrust23THRUST_200600_302600_NS5minusItEEEE10hipError_tPvRmT2_T3_mT4_P12ihipStream_tbEUlmE_tEESB_NS0_8identityIvEEEESG_SJ_SK_mSL_SN_bEUlT_E_NS1_11comp_targetILNS1_3genE10ELNS1_11target_archE1201ELNS1_3gpuE5ELNS1_3repE0EEENS1_30default_config_static_selectorELNS0_4arch9wavefront6targetE1EEEvT1_
	.globl	_ZN7rocprim17ROCPRIM_400000_NS6detail17trampoline_kernelINS0_14default_configENS1_25transform_config_selectorItLb0EEEZNS1_14transform_implILb0ES3_S5_NS0_18transform_iteratorINS0_17counting_iteratorImlEEZNS1_24adjacent_difference_implIS3_Lb1ELb0EPtSB_N6thrust23THRUST_200600_302600_NS5minusItEEEE10hipError_tPvRmT2_T3_mT4_P12ihipStream_tbEUlmE_tEESB_NS0_8identityIvEEEESG_SJ_SK_mSL_SN_bEUlT_E_NS1_11comp_targetILNS1_3genE10ELNS1_11target_archE1201ELNS1_3gpuE5ELNS1_3repE0EEENS1_30default_config_static_selectorELNS0_4arch9wavefront6targetE1EEEvT1_
	.p2align	8
	.type	_ZN7rocprim17ROCPRIM_400000_NS6detail17trampoline_kernelINS0_14default_configENS1_25transform_config_selectorItLb0EEEZNS1_14transform_implILb0ES3_S5_NS0_18transform_iteratorINS0_17counting_iteratorImlEEZNS1_24adjacent_difference_implIS3_Lb1ELb0EPtSB_N6thrust23THRUST_200600_302600_NS5minusItEEEE10hipError_tPvRmT2_T3_mT4_P12ihipStream_tbEUlmE_tEESB_NS0_8identityIvEEEESG_SJ_SK_mSL_SN_bEUlT_E_NS1_11comp_targetILNS1_3genE10ELNS1_11target_archE1201ELNS1_3gpuE5ELNS1_3repE0EEENS1_30default_config_static_selectorELNS0_4arch9wavefront6targetE1EEEvT1_,@function
_ZN7rocprim17ROCPRIM_400000_NS6detail17trampoline_kernelINS0_14default_configENS1_25transform_config_selectorItLb0EEEZNS1_14transform_implILb0ES3_S5_NS0_18transform_iteratorINS0_17counting_iteratorImlEEZNS1_24adjacent_difference_implIS3_Lb1ELb0EPtSB_N6thrust23THRUST_200600_302600_NS5minusItEEEE10hipError_tPvRmT2_T3_mT4_P12ihipStream_tbEUlmE_tEESB_NS0_8identityIvEEEESG_SJ_SK_mSL_SN_bEUlT_E_NS1_11comp_targetILNS1_3genE10ELNS1_11target_archE1201ELNS1_3gpuE5ELNS1_3repE0EEENS1_30default_config_static_selectorELNS0_4arch9wavefront6targetE1EEEvT1_: ; @_ZN7rocprim17ROCPRIM_400000_NS6detail17trampoline_kernelINS0_14default_configENS1_25transform_config_selectorItLb0EEEZNS1_14transform_implILb0ES3_S5_NS0_18transform_iteratorINS0_17counting_iteratorImlEEZNS1_24adjacent_difference_implIS3_Lb1ELb0EPtSB_N6thrust23THRUST_200600_302600_NS5minusItEEEE10hipError_tPvRmT2_T3_mT4_P12ihipStream_tbEUlmE_tEESB_NS0_8identityIvEEEESG_SJ_SK_mSL_SN_bEUlT_E_NS1_11comp_targetILNS1_3genE10ELNS1_11target_archE1201ELNS1_3gpuE5ELNS1_3repE0EEENS1_30default_config_static_selectorELNS0_4arch9wavefront6targetE1EEEvT1_
; %bb.0:
	.section	.rodata,"a",@progbits
	.p2align	6, 0x0
	.amdhsa_kernel _ZN7rocprim17ROCPRIM_400000_NS6detail17trampoline_kernelINS0_14default_configENS1_25transform_config_selectorItLb0EEEZNS1_14transform_implILb0ES3_S5_NS0_18transform_iteratorINS0_17counting_iteratorImlEEZNS1_24adjacent_difference_implIS3_Lb1ELb0EPtSB_N6thrust23THRUST_200600_302600_NS5minusItEEEE10hipError_tPvRmT2_T3_mT4_P12ihipStream_tbEUlmE_tEESB_NS0_8identityIvEEEESG_SJ_SK_mSL_SN_bEUlT_E_NS1_11comp_targetILNS1_3genE10ELNS1_11target_archE1201ELNS1_3gpuE5ELNS1_3repE0EEENS1_30default_config_static_selectorELNS0_4arch9wavefront6targetE1EEEvT1_
		.amdhsa_group_segment_fixed_size 0
		.amdhsa_private_segment_fixed_size 0
		.amdhsa_kernarg_size 56
		.amdhsa_user_sgpr_count 2
		.amdhsa_user_sgpr_dispatch_ptr 0
		.amdhsa_user_sgpr_queue_ptr 0
		.amdhsa_user_sgpr_kernarg_segment_ptr 1
		.amdhsa_user_sgpr_dispatch_id 0
		.amdhsa_user_sgpr_kernarg_preload_length 0
		.amdhsa_user_sgpr_kernarg_preload_offset 0
		.amdhsa_user_sgpr_private_segment_size 0
		.amdhsa_uses_dynamic_stack 0
		.amdhsa_enable_private_segment 0
		.amdhsa_system_sgpr_workgroup_id_x 1
		.amdhsa_system_sgpr_workgroup_id_y 0
		.amdhsa_system_sgpr_workgroup_id_z 0
		.amdhsa_system_sgpr_workgroup_info 0
		.amdhsa_system_vgpr_workitem_id 0
		.amdhsa_next_free_vgpr 1
		.amdhsa_next_free_sgpr 0
		.amdhsa_accum_offset 4
		.amdhsa_reserve_vcc 0
		.amdhsa_float_round_mode_32 0
		.amdhsa_float_round_mode_16_64 0
		.amdhsa_float_denorm_mode_32 3
		.amdhsa_float_denorm_mode_16_64 3
		.amdhsa_dx10_clamp 1
		.amdhsa_ieee_mode 1
		.amdhsa_fp16_overflow 0
		.amdhsa_tg_split 0
		.amdhsa_exception_fp_ieee_invalid_op 0
		.amdhsa_exception_fp_denorm_src 0
		.amdhsa_exception_fp_ieee_div_zero 0
		.amdhsa_exception_fp_ieee_overflow 0
		.amdhsa_exception_fp_ieee_underflow 0
		.amdhsa_exception_fp_ieee_inexact 0
		.amdhsa_exception_int_div_zero 0
	.end_amdhsa_kernel
	.section	.text._ZN7rocprim17ROCPRIM_400000_NS6detail17trampoline_kernelINS0_14default_configENS1_25transform_config_selectorItLb0EEEZNS1_14transform_implILb0ES3_S5_NS0_18transform_iteratorINS0_17counting_iteratorImlEEZNS1_24adjacent_difference_implIS3_Lb1ELb0EPtSB_N6thrust23THRUST_200600_302600_NS5minusItEEEE10hipError_tPvRmT2_T3_mT4_P12ihipStream_tbEUlmE_tEESB_NS0_8identityIvEEEESG_SJ_SK_mSL_SN_bEUlT_E_NS1_11comp_targetILNS1_3genE10ELNS1_11target_archE1201ELNS1_3gpuE5ELNS1_3repE0EEENS1_30default_config_static_selectorELNS0_4arch9wavefront6targetE1EEEvT1_,"axG",@progbits,_ZN7rocprim17ROCPRIM_400000_NS6detail17trampoline_kernelINS0_14default_configENS1_25transform_config_selectorItLb0EEEZNS1_14transform_implILb0ES3_S5_NS0_18transform_iteratorINS0_17counting_iteratorImlEEZNS1_24adjacent_difference_implIS3_Lb1ELb0EPtSB_N6thrust23THRUST_200600_302600_NS5minusItEEEE10hipError_tPvRmT2_T3_mT4_P12ihipStream_tbEUlmE_tEESB_NS0_8identityIvEEEESG_SJ_SK_mSL_SN_bEUlT_E_NS1_11comp_targetILNS1_3genE10ELNS1_11target_archE1201ELNS1_3gpuE5ELNS1_3repE0EEENS1_30default_config_static_selectorELNS0_4arch9wavefront6targetE1EEEvT1_,comdat
.Lfunc_end327:
	.size	_ZN7rocprim17ROCPRIM_400000_NS6detail17trampoline_kernelINS0_14default_configENS1_25transform_config_selectorItLb0EEEZNS1_14transform_implILb0ES3_S5_NS0_18transform_iteratorINS0_17counting_iteratorImlEEZNS1_24adjacent_difference_implIS3_Lb1ELb0EPtSB_N6thrust23THRUST_200600_302600_NS5minusItEEEE10hipError_tPvRmT2_T3_mT4_P12ihipStream_tbEUlmE_tEESB_NS0_8identityIvEEEESG_SJ_SK_mSL_SN_bEUlT_E_NS1_11comp_targetILNS1_3genE10ELNS1_11target_archE1201ELNS1_3gpuE5ELNS1_3repE0EEENS1_30default_config_static_selectorELNS0_4arch9wavefront6targetE1EEEvT1_, .Lfunc_end327-_ZN7rocprim17ROCPRIM_400000_NS6detail17trampoline_kernelINS0_14default_configENS1_25transform_config_selectorItLb0EEEZNS1_14transform_implILb0ES3_S5_NS0_18transform_iteratorINS0_17counting_iteratorImlEEZNS1_24adjacent_difference_implIS3_Lb1ELb0EPtSB_N6thrust23THRUST_200600_302600_NS5minusItEEEE10hipError_tPvRmT2_T3_mT4_P12ihipStream_tbEUlmE_tEESB_NS0_8identityIvEEEESG_SJ_SK_mSL_SN_bEUlT_E_NS1_11comp_targetILNS1_3genE10ELNS1_11target_archE1201ELNS1_3gpuE5ELNS1_3repE0EEENS1_30default_config_static_selectorELNS0_4arch9wavefront6targetE1EEEvT1_
                                        ; -- End function
	.section	.AMDGPU.csdata,"",@progbits
; Kernel info:
; codeLenInByte = 0
; NumSgprs: 6
; NumVgprs: 0
; NumAgprs: 0
; TotalNumVgprs: 0
; ScratchSize: 0
; MemoryBound: 0
; FloatMode: 240
; IeeeMode: 1
; LDSByteSize: 0 bytes/workgroup (compile time only)
; SGPRBlocks: 0
; VGPRBlocks: 0
; NumSGPRsForWavesPerEU: 6
; NumVGPRsForWavesPerEU: 1
; AccumOffset: 4
; Occupancy: 8
; WaveLimiterHint : 0
; COMPUTE_PGM_RSRC2:SCRATCH_EN: 0
; COMPUTE_PGM_RSRC2:USER_SGPR: 2
; COMPUTE_PGM_RSRC2:TRAP_HANDLER: 0
; COMPUTE_PGM_RSRC2:TGID_X_EN: 1
; COMPUTE_PGM_RSRC2:TGID_Y_EN: 0
; COMPUTE_PGM_RSRC2:TGID_Z_EN: 0
; COMPUTE_PGM_RSRC2:TIDIG_COMP_CNT: 0
; COMPUTE_PGM_RSRC3_GFX90A:ACCUM_OFFSET: 0
; COMPUTE_PGM_RSRC3_GFX90A:TG_SPLIT: 0
	.section	.text._ZN7rocprim17ROCPRIM_400000_NS6detail17trampoline_kernelINS0_14default_configENS1_25transform_config_selectorItLb0EEEZNS1_14transform_implILb0ES3_S5_NS0_18transform_iteratorINS0_17counting_iteratorImlEEZNS1_24adjacent_difference_implIS3_Lb1ELb0EPtSB_N6thrust23THRUST_200600_302600_NS5minusItEEEE10hipError_tPvRmT2_T3_mT4_P12ihipStream_tbEUlmE_tEESB_NS0_8identityIvEEEESG_SJ_SK_mSL_SN_bEUlT_E_NS1_11comp_targetILNS1_3genE10ELNS1_11target_archE1200ELNS1_3gpuE4ELNS1_3repE0EEENS1_30default_config_static_selectorELNS0_4arch9wavefront6targetE1EEEvT1_,"axG",@progbits,_ZN7rocprim17ROCPRIM_400000_NS6detail17trampoline_kernelINS0_14default_configENS1_25transform_config_selectorItLb0EEEZNS1_14transform_implILb0ES3_S5_NS0_18transform_iteratorINS0_17counting_iteratorImlEEZNS1_24adjacent_difference_implIS3_Lb1ELb0EPtSB_N6thrust23THRUST_200600_302600_NS5minusItEEEE10hipError_tPvRmT2_T3_mT4_P12ihipStream_tbEUlmE_tEESB_NS0_8identityIvEEEESG_SJ_SK_mSL_SN_bEUlT_E_NS1_11comp_targetILNS1_3genE10ELNS1_11target_archE1200ELNS1_3gpuE4ELNS1_3repE0EEENS1_30default_config_static_selectorELNS0_4arch9wavefront6targetE1EEEvT1_,comdat
	.protected	_ZN7rocprim17ROCPRIM_400000_NS6detail17trampoline_kernelINS0_14default_configENS1_25transform_config_selectorItLb0EEEZNS1_14transform_implILb0ES3_S5_NS0_18transform_iteratorINS0_17counting_iteratorImlEEZNS1_24adjacent_difference_implIS3_Lb1ELb0EPtSB_N6thrust23THRUST_200600_302600_NS5minusItEEEE10hipError_tPvRmT2_T3_mT4_P12ihipStream_tbEUlmE_tEESB_NS0_8identityIvEEEESG_SJ_SK_mSL_SN_bEUlT_E_NS1_11comp_targetILNS1_3genE10ELNS1_11target_archE1200ELNS1_3gpuE4ELNS1_3repE0EEENS1_30default_config_static_selectorELNS0_4arch9wavefront6targetE1EEEvT1_ ; -- Begin function _ZN7rocprim17ROCPRIM_400000_NS6detail17trampoline_kernelINS0_14default_configENS1_25transform_config_selectorItLb0EEEZNS1_14transform_implILb0ES3_S5_NS0_18transform_iteratorINS0_17counting_iteratorImlEEZNS1_24adjacent_difference_implIS3_Lb1ELb0EPtSB_N6thrust23THRUST_200600_302600_NS5minusItEEEE10hipError_tPvRmT2_T3_mT4_P12ihipStream_tbEUlmE_tEESB_NS0_8identityIvEEEESG_SJ_SK_mSL_SN_bEUlT_E_NS1_11comp_targetILNS1_3genE10ELNS1_11target_archE1200ELNS1_3gpuE4ELNS1_3repE0EEENS1_30default_config_static_selectorELNS0_4arch9wavefront6targetE1EEEvT1_
	.globl	_ZN7rocprim17ROCPRIM_400000_NS6detail17trampoline_kernelINS0_14default_configENS1_25transform_config_selectorItLb0EEEZNS1_14transform_implILb0ES3_S5_NS0_18transform_iteratorINS0_17counting_iteratorImlEEZNS1_24adjacent_difference_implIS3_Lb1ELb0EPtSB_N6thrust23THRUST_200600_302600_NS5minusItEEEE10hipError_tPvRmT2_T3_mT4_P12ihipStream_tbEUlmE_tEESB_NS0_8identityIvEEEESG_SJ_SK_mSL_SN_bEUlT_E_NS1_11comp_targetILNS1_3genE10ELNS1_11target_archE1200ELNS1_3gpuE4ELNS1_3repE0EEENS1_30default_config_static_selectorELNS0_4arch9wavefront6targetE1EEEvT1_
	.p2align	8
	.type	_ZN7rocprim17ROCPRIM_400000_NS6detail17trampoline_kernelINS0_14default_configENS1_25transform_config_selectorItLb0EEEZNS1_14transform_implILb0ES3_S5_NS0_18transform_iteratorINS0_17counting_iteratorImlEEZNS1_24adjacent_difference_implIS3_Lb1ELb0EPtSB_N6thrust23THRUST_200600_302600_NS5minusItEEEE10hipError_tPvRmT2_T3_mT4_P12ihipStream_tbEUlmE_tEESB_NS0_8identityIvEEEESG_SJ_SK_mSL_SN_bEUlT_E_NS1_11comp_targetILNS1_3genE10ELNS1_11target_archE1200ELNS1_3gpuE4ELNS1_3repE0EEENS1_30default_config_static_selectorELNS0_4arch9wavefront6targetE1EEEvT1_,@function
_ZN7rocprim17ROCPRIM_400000_NS6detail17trampoline_kernelINS0_14default_configENS1_25transform_config_selectorItLb0EEEZNS1_14transform_implILb0ES3_S5_NS0_18transform_iteratorINS0_17counting_iteratorImlEEZNS1_24adjacent_difference_implIS3_Lb1ELb0EPtSB_N6thrust23THRUST_200600_302600_NS5minusItEEEE10hipError_tPvRmT2_T3_mT4_P12ihipStream_tbEUlmE_tEESB_NS0_8identityIvEEEESG_SJ_SK_mSL_SN_bEUlT_E_NS1_11comp_targetILNS1_3genE10ELNS1_11target_archE1200ELNS1_3gpuE4ELNS1_3repE0EEENS1_30default_config_static_selectorELNS0_4arch9wavefront6targetE1EEEvT1_: ; @_ZN7rocprim17ROCPRIM_400000_NS6detail17trampoline_kernelINS0_14default_configENS1_25transform_config_selectorItLb0EEEZNS1_14transform_implILb0ES3_S5_NS0_18transform_iteratorINS0_17counting_iteratorImlEEZNS1_24adjacent_difference_implIS3_Lb1ELb0EPtSB_N6thrust23THRUST_200600_302600_NS5minusItEEEE10hipError_tPvRmT2_T3_mT4_P12ihipStream_tbEUlmE_tEESB_NS0_8identityIvEEEESG_SJ_SK_mSL_SN_bEUlT_E_NS1_11comp_targetILNS1_3genE10ELNS1_11target_archE1200ELNS1_3gpuE4ELNS1_3repE0EEENS1_30default_config_static_selectorELNS0_4arch9wavefront6targetE1EEEvT1_
; %bb.0:
	.section	.rodata,"a",@progbits
	.p2align	6, 0x0
	.amdhsa_kernel _ZN7rocprim17ROCPRIM_400000_NS6detail17trampoline_kernelINS0_14default_configENS1_25transform_config_selectorItLb0EEEZNS1_14transform_implILb0ES3_S5_NS0_18transform_iteratorINS0_17counting_iteratorImlEEZNS1_24adjacent_difference_implIS3_Lb1ELb0EPtSB_N6thrust23THRUST_200600_302600_NS5minusItEEEE10hipError_tPvRmT2_T3_mT4_P12ihipStream_tbEUlmE_tEESB_NS0_8identityIvEEEESG_SJ_SK_mSL_SN_bEUlT_E_NS1_11comp_targetILNS1_3genE10ELNS1_11target_archE1200ELNS1_3gpuE4ELNS1_3repE0EEENS1_30default_config_static_selectorELNS0_4arch9wavefront6targetE1EEEvT1_
		.amdhsa_group_segment_fixed_size 0
		.amdhsa_private_segment_fixed_size 0
		.amdhsa_kernarg_size 56
		.amdhsa_user_sgpr_count 2
		.amdhsa_user_sgpr_dispatch_ptr 0
		.amdhsa_user_sgpr_queue_ptr 0
		.amdhsa_user_sgpr_kernarg_segment_ptr 1
		.amdhsa_user_sgpr_dispatch_id 0
		.amdhsa_user_sgpr_kernarg_preload_length 0
		.amdhsa_user_sgpr_kernarg_preload_offset 0
		.amdhsa_user_sgpr_private_segment_size 0
		.amdhsa_uses_dynamic_stack 0
		.amdhsa_enable_private_segment 0
		.amdhsa_system_sgpr_workgroup_id_x 1
		.amdhsa_system_sgpr_workgroup_id_y 0
		.amdhsa_system_sgpr_workgroup_id_z 0
		.amdhsa_system_sgpr_workgroup_info 0
		.amdhsa_system_vgpr_workitem_id 0
		.amdhsa_next_free_vgpr 1
		.amdhsa_next_free_sgpr 0
		.amdhsa_accum_offset 4
		.amdhsa_reserve_vcc 0
		.amdhsa_float_round_mode_32 0
		.amdhsa_float_round_mode_16_64 0
		.amdhsa_float_denorm_mode_32 3
		.amdhsa_float_denorm_mode_16_64 3
		.amdhsa_dx10_clamp 1
		.amdhsa_ieee_mode 1
		.amdhsa_fp16_overflow 0
		.amdhsa_tg_split 0
		.amdhsa_exception_fp_ieee_invalid_op 0
		.amdhsa_exception_fp_denorm_src 0
		.amdhsa_exception_fp_ieee_div_zero 0
		.amdhsa_exception_fp_ieee_overflow 0
		.amdhsa_exception_fp_ieee_underflow 0
		.amdhsa_exception_fp_ieee_inexact 0
		.amdhsa_exception_int_div_zero 0
	.end_amdhsa_kernel
	.section	.text._ZN7rocprim17ROCPRIM_400000_NS6detail17trampoline_kernelINS0_14default_configENS1_25transform_config_selectorItLb0EEEZNS1_14transform_implILb0ES3_S5_NS0_18transform_iteratorINS0_17counting_iteratorImlEEZNS1_24adjacent_difference_implIS3_Lb1ELb0EPtSB_N6thrust23THRUST_200600_302600_NS5minusItEEEE10hipError_tPvRmT2_T3_mT4_P12ihipStream_tbEUlmE_tEESB_NS0_8identityIvEEEESG_SJ_SK_mSL_SN_bEUlT_E_NS1_11comp_targetILNS1_3genE10ELNS1_11target_archE1200ELNS1_3gpuE4ELNS1_3repE0EEENS1_30default_config_static_selectorELNS0_4arch9wavefront6targetE1EEEvT1_,"axG",@progbits,_ZN7rocprim17ROCPRIM_400000_NS6detail17trampoline_kernelINS0_14default_configENS1_25transform_config_selectorItLb0EEEZNS1_14transform_implILb0ES3_S5_NS0_18transform_iteratorINS0_17counting_iteratorImlEEZNS1_24adjacent_difference_implIS3_Lb1ELb0EPtSB_N6thrust23THRUST_200600_302600_NS5minusItEEEE10hipError_tPvRmT2_T3_mT4_P12ihipStream_tbEUlmE_tEESB_NS0_8identityIvEEEESG_SJ_SK_mSL_SN_bEUlT_E_NS1_11comp_targetILNS1_3genE10ELNS1_11target_archE1200ELNS1_3gpuE4ELNS1_3repE0EEENS1_30default_config_static_selectorELNS0_4arch9wavefront6targetE1EEEvT1_,comdat
.Lfunc_end328:
	.size	_ZN7rocprim17ROCPRIM_400000_NS6detail17trampoline_kernelINS0_14default_configENS1_25transform_config_selectorItLb0EEEZNS1_14transform_implILb0ES3_S5_NS0_18transform_iteratorINS0_17counting_iteratorImlEEZNS1_24adjacent_difference_implIS3_Lb1ELb0EPtSB_N6thrust23THRUST_200600_302600_NS5minusItEEEE10hipError_tPvRmT2_T3_mT4_P12ihipStream_tbEUlmE_tEESB_NS0_8identityIvEEEESG_SJ_SK_mSL_SN_bEUlT_E_NS1_11comp_targetILNS1_3genE10ELNS1_11target_archE1200ELNS1_3gpuE4ELNS1_3repE0EEENS1_30default_config_static_selectorELNS0_4arch9wavefront6targetE1EEEvT1_, .Lfunc_end328-_ZN7rocprim17ROCPRIM_400000_NS6detail17trampoline_kernelINS0_14default_configENS1_25transform_config_selectorItLb0EEEZNS1_14transform_implILb0ES3_S5_NS0_18transform_iteratorINS0_17counting_iteratorImlEEZNS1_24adjacent_difference_implIS3_Lb1ELb0EPtSB_N6thrust23THRUST_200600_302600_NS5minusItEEEE10hipError_tPvRmT2_T3_mT4_P12ihipStream_tbEUlmE_tEESB_NS0_8identityIvEEEESG_SJ_SK_mSL_SN_bEUlT_E_NS1_11comp_targetILNS1_3genE10ELNS1_11target_archE1200ELNS1_3gpuE4ELNS1_3repE0EEENS1_30default_config_static_selectorELNS0_4arch9wavefront6targetE1EEEvT1_
                                        ; -- End function
	.section	.AMDGPU.csdata,"",@progbits
; Kernel info:
; codeLenInByte = 0
; NumSgprs: 6
; NumVgprs: 0
; NumAgprs: 0
; TotalNumVgprs: 0
; ScratchSize: 0
; MemoryBound: 0
; FloatMode: 240
; IeeeMode: 1
; LDSByteSize: 0 bytes/workgroup (compile time only)
; SGPRBlocks: 0
; VGPRBlocks: 0
; NumSGPRsForWavesPerEU: 6
; NumVGPRsForWavesPerEU: 1
; AccumOffset: 4
; Occupancy: 8
; WaveLimiterHint : 0
; COMPUTE_PGM_RSRC2:SCRATCH_EN: 0
; COMPUTE_PGM_RSRC2:USER_SGPR: 2
; COMPUTE_PGM_RSRC2:TRAP_HANDLER: 0
; COMPUTE_PGM_RSRC2:TGID_X_EN: 1
; COMPUTE_PGM_RSRC2:TGID_Y_EN: 0
; COMPUTE_PGM_RSRC2:TGID_Z_EN: 0
; COMPUTE_PGM_RSRC2:TIDIG_COMP_CNT: 0
; COMPUTE_PGM_RSRC3_GFX90A:ACCUM_OFFSET: 0
; COMPUTE_PGM_RSRC3_GFX90A:TG_SPLIT: 0
	.section	.text._ZN7rocprim17ROCPRIM_400000_NS6detail17trampoline_kernelINS0_14default_configENS1_25transform_config_selectorItLb0EEEZNS1_14transform_implILb0ES3_S5_NS0_18transform_iteratorINS0_17counting_iteratorImlEEZNS1_24adjacent_difference_implIS3_Lb1ELb0EPtSB_N6thrust23THRUST_200600_302600_NS5minusItEEEE10hipError_tPvRmT2_T3_mT4_P12ihipStream_tbEUlmE_tEESB_NS0_8identityIvEEEESG_SJ_SK_mSL_SN_bEUlT_E_NS1_11comp_targetILNS1_3genE9ELNS1_11target_archE1100ELNS1_3gpuE3ELNS1_3repE0EEENS1_30default_config_static_selectorELNS0_4arch9wavefront6targetE1EEEvT1_,"axG",@progbits,_ZN7rocprim17ROCPRIM_400000_NS6detail17trampoline_kernelINS0_14default_configENS1_25transform_config_selectorItLb0EEEZNS1_14transform_implILb0ES3_S5_NS0_18transform_iteratorINS0_17counting_iteratorImlEEZNS1_24adjacent_difference_implIS3_Lb1ELb0EPtSB_N6thrust23THRUST_200600_302600_NS5minusItEEEE10hipError_tPvRmT2_T3_mT4_P12ihipStream_tbEUlmE_tEESB_NS0_8identityIvEEEESG_SJ_SK_mSL_SN_bEUlT_E_NS1_11comp_targetILNS1_3genE9ELNS1_11target_archE1100ELNS1_3gpuE3ELNS1_3repE0EEENS1_30default_config_static_selectorELNS0_4arch9wavefront6targetE1EEEvT1_,comdat
	.protected	_ZN7rocprim17ROCPRIM_400000_NS6detail17trampoline_kernelINS0_14default_configENS1_25transform_config_selectorItLb0EEEZNS1_14transform_implILb0ES3_S5_NS0_18transform_iteratorINS0_17counting_iteratorImlEEZNS1_24adjacent_difference_implIS3_Lb1ELb0EPtSB_N6thrust23THRUST_200600_302600_NS5minusItEEEE10hipError_tPvRmT2_T3_mT4_P12ihipStream_tbEUlmE_tEESB_NS0_8identityIvEEEESG_SJ_SK_mSL_SN_bEUlT_E_NS1_11comp_targetILNS1_3genE9ELNS1_11target_archE1100ELNS1_3gpuE3ELNS1_3repE0EEENS1_30default_config_static_selectorELNS0_4arch9wavefront6targetE1EEEvT1_ ; -- Begin function _ZN7rocprim17ROCPRIM_400000_NS6detail17trampoline_kernelINS0_14default_configENS1_25transform_config_selectorItLb0EEEZNS1_14transform_implILb0ES3_S5_NS0_18transform_iteratorINS0_17counting_iteratorImlEEZNS1_24adjacent_difference_implIS3_Lb1ELb0EPtSB_N6thrust23THRUST_200600_302600_NS5minusItEEEE10hipError_tPvRmT2_T3_mT4_P12ihipStream_tbEUlmE_tEESB_NS0_8identityIvEEEESG_SJ_SK_mSL_SN_bEUlT_E_NS1_11comp_targetILNS1_3genE9ELNS1_11target_archE1100ELNS1_3gpuE3ELNS1_3repE0EEENS1_30default_config_static_selectorELNS0_4arch9wavefront6targetE1EEEvT1_
	.globl	_ZN7rocprim17ROCPRIM_400000_NS6detail17trampoline_kernelINS0_14default_configENS1_25transform_config_selectorItLb0EEEZNS1_14transform_implILb0ES3_S5_NS0_18transform_iteratorINS0_17counting_iteratorImlEEZNS1_24adjacent_difference_implIS3_Lb1ELb0EPtSB_N6thrust23THRUST_200600_302600_NS5minusItEEEE10hipError_tPvRmT2_T3_mT4_P12ihipStream_tbEUlmE_tEESB_NS0_8identityIvEEEESG_SJ_SK_mSL_SN_bEUlT_E_NS1_11comp_targetILNS1_3genE9ELNS1_11target_archE1100ELNS1_3gpuE3ELNS1_3repE0EEENS1_30default_config_static_selectorELNS0_4arch9wavefront6targetE1EEEvT1_
	.p2align	8
	.type	_ZN7rocprim17ROCPRIM_400000_NS6detail17trampoline_kernelINS0_14default_configENS1_25transform_config_selectorItLb0EEEZNS1_14transform_implILb0ES3_S5_NS0_18transform_iteratorINS0_17counting_iteratorImlEEZNS1_24adjacent_difference_implIS3_Lb1ELb0EPtSB_N6thrust23THRUST_200600_302600_NS5minusItEEEE10hipError_tPvRmT2_T3_mT4_P12ihipStream_tbEUlmE_tEESB_NS0_8identityIvEEEESG_SJ_SK_mSL_SN_bEUlT_E_NS1_11comp_targetILNS1_3genE9ELNS1_11target_archE1100ELNS1_3gpuE3ELNS1_3repE0EEENS1_30default_config_static_selectorELNS0_4arch9wavefront6targetE1EEEvT1_,@function
_ZN7rocprim17ROCPRIM_400000_NS6detail17trampoline_kernelINS0_14default_configENS1_25transform_config_selectorItLb0EEEZNS1_14transform_implILb0ES3_S5_NS0_18transform_iteratorINS0_17counting_iteratorImlEEZNS1_24adjacent_difference_implIS3_Lb1ELb0EPtSB_N6thrust23THRUST_200600_302600_NS5minusItEEEE10hipError_tPvRmT2_T3_mT4_P12ihipStream_tbEUlmE_tEESB_NS0_8identityIvEEEESG_SJ_SK_mSL_SN_bEUlT_E_NS1_11comp_targetILNS1_3genE9ELNS1_11target_archE1100ELNS1_3gpuE3ELNS1_3repE0EEENS1_30default_config_static_selectorELNS0_4arch9wavefront6targetE1EEEvT1_: ; @_ZN7rocprim17ROCPRIM_400000_NS6detail17trampoline_kernelINS0_14default_configENS1_25transform_config_selectorItLb0EEEZNS1_14transform_implILb0ES3_S5_NS0_18transform_iteratorINS0_17counting_iteratorImlEEZNS1_24adjacent_difference_implIS3_Lb1ELb0EPtSB_N6thrust23THRUST_200600_302600_NS5minusItEEEE10hipError_tPvRmT2_T3_mT4_P12ihipStream_tbEUlmE_tEESB_NS0_8identityIvEEEESG_SJ_SK_mSL_SN_bEUlT_E_NS1_11comp_targetILNS1_3genE9ELNS1_11target_archE1100ELNS1_3gpuE3ELNS1_3repE0EEENS1_30default_config_static_selectorELNS0_4arch9wavefront6targetE1EEEvT1_
; %bb.0:
	.section	.rodata,"a",@progbits
	.p2align	6, 0x0
	.amdhsa_kernel _ZN7rocprim17ROCPRIM_400000_NS6detail17trampoline_kernelINS0_14default_configENS1_25transform_config_selectorItLb0EEEZNS1_14transform_implILb0ES3_S5_NS0_18transform_iteratorINS0_17counting_iteratorImlEEZNS1_24adjacent_difference_implIS3_Lb1ELb0EPtSB_N6thrust23THRUST_200600_302600_NS5minusItEEEE10hipError_tPvRmT2_T3_mT4_P12ihipStream_tbEUlmE_tEESB_NS0_8identityIvEEEESG_SJ_SK_mSL_SN_bEUlT_E_NS1_11comp_targetILNS1_3genE9ELNS1_11target_archE1100ELNS1_3gpuE3ELNS1_3repE0EEENS1_30default_config_static_selectorELNS0_4arch9wavefront6targetE1EEEvT1_
		.amdhsa_group_segment_fixed_size 0
		.amdhsa_private_segment_fixed_size 0
		.amdhsa_kernarg_size 56
		.amdhsa_user_sgpr_count 2
		.amdhsa_user_sgpr_dispatch_ptr 0
		.amdhsa_user_sgpr_queue_ptr 0
		.amdhsa_user_sgpr_kernarg_segment_ptr 1
		.amdhsa_user_sgpr_dispatch_id 0
		.amdhsa_user_sgpr_kernarg_preload_length 0
		.amdhsa_user_sgpr_kernarg_preload_offset 0
		.amdhsa_user_sgpr_private_segment_size 0
		.amdhsa_uses_dynamic_stack 0
		.amdhsa_enable_private_segment 0
		.amdhsa_system_sgpr_workgroup_id_x 1
		.amdhsa_system_sgpr_workgroup_id_y 0
		.amdhsa_system_sgpr_workgroup_id_z 0
		.amdhsa_system_sgpr_workgroup_info 0
		.amdhsa_system_vgpr_workitem_id 0
		.amdhsa_next_free_vgpr 1
		.amdhsa_next_free_sgpr 0
		.amdhsa_accum_offset 4
		.amdhsa_reserve_vcc 0
		.amdhsa_float_round_mode_32 0
		.amdhsa_float_round_mode_16_64 0
		.amdhsa_float_denorm_mode_32 3
		.amdhsa_float_denorm_mode_16_64 3
		.amdhsa_dx10_clamp 1
		.amdhsa_ieee_mode 1
		.amdhsa_fp16_overflow 0
		.amdhsa_tg_split 0
		.amdhsa_exception_fp_ieee_invalid_op 0
		.amdhsa_exception_fp_denorm_src 0
		.amdhsa_exception_fp_ieee_div_zero 0
		.amdhsa_exception_fp_ieee_overflow 0
		.amdhsa_exception_fp_ieee_underflow 0
		.amdhsa_exception_fp_ieee_inexact 0
		.amdhsa_exception_int_div_zero 0
	.end_amdhsa_kernel
	.section	.text._ZN7rocprim17ROCPRIM_400000_NS6detail17trampoline_kernelINS0_14default_configENS1_25transform_config_selectorItLb0EEEZNS1_14transform_implILb0ES3_S5_NS0_18transform_iteratorINS0_17counting_iteratorImlEEZNS1_24adjacent_difference_implIS3_Lb1ELb0EPtSB_N6thrust23THRUST_200600_302600_NS5minusItEEEE10hipError_tPvRmT2_T3_mT4_P12ihipStream_tbEUlmE_tEESB_NS0_8identityIvEEEESG_SJ_SK_mSL_SN_bEUlT_E_NS1_11comp_targetILNS1_3genE9ELNS1_11target_archE1100ELNS1_3gpuE3ELNS1_3repE0EEENS1_30default_config_static_selectorELNS0_4arch9wavefront6targetE1EEEvT1_,"axG",@progbits,_ZN7rocprim17ROCPRIM_400000_NS6detail17trampoline_kernelINS0_14default_configENS1_25transform_config_selectorItLb0EEEZNS1_14transform_implILb0ES3_S5_NS0_18transform_iteratorINS0_17counting_iteratorImlEEZNS1_24adjacent_difference_implIS3_Lb1ELb0EPtSB_N6thrust23THRUST_200600_302600_NS5minusItEEEE10hipError_tPvRmT2_T3_mT4_P12ihipStream_tbEUlmE_tEESB_NS0_8identityIvEEEESG_SJ_SK_mSL_SN_bEUlT_E_NS1_11comp_targetILNS1_3genE9ELNS1_11target_archE1100ELNS1_3gpuE3ELNS1_3repE0EEENS1_30default_config_static_selectorELNS0_4arch9wavefront6targetE1EEEvT1_,comdat
.Lfunc_end329:
	.size	_ZN7rocprim17ROCPRIM_400000_NS6detail17trampoline_kernelINS0_14default_configENS1_25transform_config_selectorItLb0EEEZNS1_14transform_implILb0ES3_S5_NS0_18transform_iteratorINS0_17counting_iteratorImlEEZNS1_24adjacent_difference_implIS3_Lb1ELb0EPtSB_N6thrust23THRUST_200600_302600_NS5minusItEEEE10hipError_tPvRmT2_T3_mT4_P12ihipStream_tbEUlmE_tEESB_NS0_8identityIvEEEESG_SJ_SK_mSL_SN_bEUlT_E_NS1_11comp_targetILNS1_3genE9ELNS1_11target_archE1100ELNS1_3gpuE3ELNS1_3repE0EEENS1_30default_config_static_selectorELNS0_4arch9wavefront6targetE1EEEvT1_, .Lfunc_end329-_ZN7rocprim17ROCPRIM_400000_NS6detail17trampoline_kernelINS0_14default_configENS1_25transform_config_selectorItLb0EEEZNS1_14transform_implILb0ES3_S5_NS0_18transform_iteratorINS0_17counting_iteratorImlEEZNS1_24adjacent_difference_implIS3_Lb1ELb0EPtSB_N6thrust23THRUST_200600_302600_NS5minusItEEEE10hipError_tPvRmT2_T3_mT4_P12ihipStream_tbEUlmE_tEESB_NS0_8identityIvEEEESG_SJ_SK_mSL_SN_bEUlT_E_NS1_11comp_targetILNS1_3genE9ELNS1_11target_archE1100ELNS1_3gpuE3ELNS1_3repE0EEENS1_30default_config_static_selectorELNS0_4arch9wavefront6targetE1EEEvT1_
                                        ; -- End function
	.section	.AMDGPU.csdata,"",@progbits
; Kernel info:
; codeLenInByte = 0
; NumSgprs: 6
; NumVgprs: 0
; NumAgprs: 0
; TotalNumVgprs: 0
; ScratchSize: 0
; MemoryBound: 0
; FloatMode: 240
; IeeeMode: 1
; LDSByteSize: 0 bytes/workgroup (compile time only)
; SGPRBlocks: 0
; VGPRBlocks: 0
; NumSGPRsForWavesPerEU: 6
; NumVGPRsForWavesPerEU: 1
; AccumOffset: 4
; Occupancy: 8
; WaveLimiterHint : 0
; COMPUTE_PGM_RSRC2:SCRATCH_EN: 0
; COMPUTE_PGM_RSRC2:USER_SGPR: 2
; COMPUTE_PGM_RSRC2:TRAP_HANDLER: 0
; COMPUTE_PGM_RSRC2:TGID_X_EN: 1
; COMPUTE_PGM_RSRC2:TGID_Y_EN: 0
; COMPUTE_PGM_RSRC2:TGID_Z_EN: 0
; COMPUTE_PGM_RSRC2:TIDIG_COMP_CNT: 0
; COMPUTE_PGM_RSRC3_GFX90A:ACCUM_OFFSET: 0
; COMPUTE_PGM_RSRC3_GFX90A:TG_SPLIT: 0
	.section	.text._ZN7rocprim17ROCPRIM_400000_NS6detail17trampoline_kernelINS0_14default_configENS1_25transform_config_selectorItLb0EEEZNS1_14transform_implILb0ES3_S5_NS0_18transform_iteratorINS0_17counting_iteratorImlEEZNS1_24adjacent_difference_implIS3_Lb1ELb0EPtSB_N6thrust23THRUST_200600_302600_NS5minusItEEEE10hipError_tPvRmT2_T3_mT4_P12ihipStream_tbEUlmE_tEESB_NS0_8identityIvEEEESG_SJ_SK_mSL_SN_bEUlT_E_NS1_11comp_targetILNS1_3genE8ELNS1_11target_archE1030ELNS1_3gpuE2ELNS1_3repE0EEENS1_30default_config_static_selectorELNS0_4arch9wavefront6targetE1EEEvT1_,"axG",@progbits,_ZN7rocprim17ROCPRIM_400000_NS6detail17trampoline_kernelINS0_14default_configENS1_25transform_config_selectorItLb0EEEZNS1_14transform_implILb0ES3_S5_NS0_18transform_iteratorINS0_17counting_iteratorImlEEZNS1_24adjacent_difference_implIS3_Lb1ELb0EPtSB_N6thrust23THRUST_200600_302600_NS5minusItEEEE10hipError_tPvRmT2_T3_mT4_P12ihipStream_tbEUlmE_tEESB_NS0_8identityIvEEEESG_SJ_SK_mSL_SN_bEUlT_E_NS1_11comp_targetILNS1_3genE8ELNS1_11target_archE1030ELNS1_3gpuE2ELNS1_3repE0EEENS1_30default_config_static_selectorELNS0_4arch9wavefront6targetE1EEEvT1_,comdat
	.protected	_ZN7rocprim17ROCPRIM_400000_NS6detail17trampoline_kernelINS0_14default_configENS1_25transform_config_selectorItLb0EEEZNS1_14transform_implILb0ES3_S5_NS0_18transform_iteratorINS0_17counting_iteratorImlEEZNS1_24adjacent_difference_implIS3_Lb1ELb0EPtSB_N6thrust23THRUST_200600_302600_NS5minusItEEEE10hipError_tPvRmT2_T3_mT4_P12ihipStream_tbEUlmE_tEESB_NS0_8identityIvEEEESG_SJ_SK_mSL_SN_bEUlT_E_NS1_11comp_targetILNS1_3genE8ELNS1_11target_archE1030ELNS1_3gpuE2ELNS1_3repE0EEENS1_30default_config_static_selectorELNS0_4arch9wavefront6targetE1EEEvT1_ ; -- Begin function _ZN7rocprim17ROCPRIM_400000_NS6detail17trampoline_kernelINS0_14default_configENS1_25transform_config_selectorItLb0EEEZNS1_14transform_implILb0ES3_S5_NS0_18transform_iteratorINS0_17counting_iteratorImlEEZNS1_24adjacent_difference_implIS3_Lb1ELb0EPtSB_N6thrust23THRUST_200600_302600_NS5minusItEEEE10hipError_tPvRmT2_T3_mT4_P12ihipStream_tbEUlmE_tEESB_NS0_8identityIvEEEESG_SJ_SK_mSL_SN_bEUlT_E_NS1_11comp_targetILNS1_3genE8ELNS1_11target_archE1030ELNS1_3gpuE2ELNS1_3repE0EEENS1_30default_config_static_selectorELNS0_4arch9wavefront6targetE1EEEvT1_
	.globl	_ZN7rocprim17ROCPRIM_400000_NS6detail17trampoline_kernelINS0_14default_configENS1_25transform_config_selectorItLb0EEEZNS1_14transform_implILb0ES3_S5_NS0_18transform_iteratorINS0_17counting_iteratorImlEEZNS1_24adjacent_difference_implIS3_Lb1ELb0EPtSB_N6thrust23THRUST_200600_302600_NS5minusItEEEE10hipError_tPvRmT2_T3_mT4_P12ihipStream_tbEUlmE_tEESB_NS0_8identityIvEEEESG_SJ_SK_mSL_SN_bEUlT_E_NS1_11comp_targetILNS1_3genE8ELNS1_11target_archE1030ELNS1_3gpuE2ELNS1_3repE0EEENS1_30default_config_static_selectorELNS0_4arch9wavefront6targetE1EEEvT1_
	.p2align	8
	.type	_ZN7rocprim17ROCPRIM_400000_NS6detail17trampoline_kernelINS0_14default_configENS1_25transform_config_selectorItLb0EEEZNS1_14transform_implILb0ES3_S5_NS0_18transform_iteratorINS0_17counting_iteratorImlEEZNS1_24adjacent_difference_implIS3_Lb1ELb0EPtSB_N6thrust23THRUST_200600_302600_NS5minusItEEEE10hipError_tPvRmT2_T3_mT4_P12ihipStream_tbEUlmE_tEESB_NS0_8identityIvEEEESG_SJ_SK_mSL_SN_bEUlT_E_NS1_11comp_targetILNS1_3genE8ELNS1_11target_archE1030ELNS1_3gpuE2ELNS1_3repE0EEENS1_30default_config_static_selectorELNS0_4arch9wavefront6targetE1EEEvT1_,@function
_ZN7rocprim17ROCPRIM_400000_NS6detail17trampoline_kernelINS0_14default_configENS1_25transform_config_selectorItLb0EEEZNS1_14transform_implILb0ES3_S5_NS0_18transform_iteratorINS0_17counting_iteratorImlEEZNS1_24adjacent_difference_implIS3_Lb1ELb0EPtSB_N6thrust23THRUST_200600_302600_NS5minusItEEEE10hipError_tPvRmT2_T3_mT4_P12ihipStream_tbEUlmE_tEESB_NS0_8identityIvEEEESG_SJ_SK_mSL_SN_bEUlT_E_NS1_11comp_targetILNS1_3genE8ELNS1_11target_archE1030ELNS1_3gpuE2ELNS1_3repE0EEENS1_30default_config_static_selectorELNS0_4arch9wavefront6targetE1EEEvT1_: ; @_ZN7rocprim17ROCPRIM_400000_NS6detail17trampoline_kernelINS0_14default_configENS1_25transform_config_selectorItLb0EEEZNS1_14transform_implILb0ES3_S5_NS0_18transform_iteratorINS0_17counting_iteratorImlEEZNS1_24adjacent_difference_implIS3_Lb1ELb0EPtSB_N6thrust23THRUST_200600_302600_NS5minusItEEEE10hipError_tPvRmT2_T3_mT4_P12ihipStream_tbEUlmE_tEESB_NS0_8identityIvEEEESG_SJ_SK_mSL_SN_bEUlT_E_NS1_11comp_targetILNS1_3genE8ELNS1_11target_archE1030ELNS1_3gpuE2ELNS1_3repE0EEENS1_30default_config_static_selectorELNS0_4arch9wavefront6targetE1EEEvT1_
; %bb.0:
	.section	.rodata,"a",@progbits
	.p2align	6, 0x0
	.amdhsa_kernel _ZN7rocprim17ROCPRIM_400000_NS6detail17trampoline_kernelINS0_14default_configENS1_25transform_config_selectorItLb0EEEZNS1_14transform_implILb0ES3_S5_NS0_18transform_iteratorINS0_17counting_iteratorImlEEZNS1_24adjacent_difference_implIS3_Lb1ELb0EPtSB_N6thrust23THRUST_200600_302600_NS5minusItEEEE10hipError_tPvRmT2_T3_mT4_P12ihipStream_tbEUlmE_tEESB_NS0_8identityIvEEEESG_SJ_SK_mSL_SN_bEUlT_E_NS1_11comp_targetILNS1_3genE8ELNS1_11target_archE1030ELNS1_3gpuE2ELNS1_3repE0EEENS1_30default_config_static_selectorELNS0_4arch9wavefront6targetE1EEEvT1_
		.amdhsa_group_segment_fixed_size 0
		.amdhsa_private_segment_fixed_size 0
		.amdhsa_kernarg_size 56
		.amdhsa_user_sgpr_count 2
		.amdhsa_user_sgpr_dispatch_ptr 0
		.amdhsa_user_sgpr_queue_ptr 0
		.amdhsa_user_sgpr_kernarg_segment_ptr 1
		.amdhsa_user_sgpr_dispatch_id 0
		.amdhsa_user_sgpr_kernarg_preload_length 0
		.amdhsa_user_sgpr_kernarg_preload_offset 0
		.amdhsa_user_sgpr_private_segment_size 0
		.amdhsa_uses_dynamic_stack 0
		.amdhsa_enable_private_segment 0
		.amdhsa_system_sgpr_workgroup_id_x 1
		.amdhsa_system_sgpr_workgroup_id_y 0
		.amdhsa_system_sgpr_workgroup_id_z 0
		.amdhsa_system_sgpr_workgroup_info 0
		.amdhsa_system_vgpr_workitem_id 0
		.amdhsa_next_free_vgpr 1
		.amdhsa_next_free_sgpr 0
		.amdhsa_accum_offset 4
		.amdhsa_reserve_vcc 0
		.amdhsa_float_round_mode_32 0
		.amdhsa_float_round_mode_16_64 0
		.amdhsa_float_denorm_mode_32 3
		.amdhsa_float_denorm_mode_16_64 3
		.amdhsa_dx10_clamp 1
		.amdhsa_ieee_mode 1
		.amdhsa_fp16_overflow 0
		.amdhsa_tg_split 0
		.amdhsa_exception_fp_ieee_invalid_op 0
		.amdhsa_exception_fp_denorm_src 0
		.amdhsa_exception_fp_ieee_div_zero 0
		.amdhsa_exception_fp_ieee_overflow 0
		.amdhsa_exception_fp_ieee_underflow 0
		.amdhsa_exception_fp_ieee_inexact 0
		.amdhsa_exception_int_div_zero 0
	.end_amdhsa_kernel
	.section	.text._ZN7rocprim17ROCPRIM_400000_NS6detail17trampoline_kernelINS0_14default_configENS1_25transform_config_selectorItLb0EEEZNS1_14transform_implILb0ES3_S5_NS0_18transform_iteratorINS0_17counting_iteratorImlEEZNS1_24adjacent_difference_implIS3_Lb1ELb0EPtSB_N6thrust23THRUST_200600_302600_NS5minusItEEEE10hipError_tPvRmT2_T3_mT4_P12ihipStream_tbEUlmE_tEESB_NS0_8identityIvEEEESG_SJ_SK_mSL_SN_bEUlT_E_NS1_11comp_targetILNS1_3genE8ELNS1_11target_archE1030ELNS1_3gpuE2ELNS1_3repE0EEENS1_30default_config_static_selectorELNS0_4arch9wavefront6targetE1EEEvT1_,"axG",@progbits,_ZN7rocprim17ROCPRIM_400000_NS6detail17trampoline_kernelINS0_14default_configENS1_25transform_config_selectorItLb0EEEZNS1_14transform_implILb0ES3_S5_NS0_18transform_iteratorINS0_17counting_iteratorImlEEZNS1_24adjacent_difference_implIS3_Lb1ELb0EPtSB_N6thrust23THRUST_200600_302600_NS5minusItEEEE10hipError_tPvRmT2_T3_mT4_P12ihipStream_tbEUlmE_tEESB_NS0_8identityIvEEEESG_SJ_SK_mSL_SN_bEUlT_E_NS1_11comp_targetILNS1_3genE8ELNS1_11target_archE1030ELNS1_3gpuE2ELNS1_3repE0EEENS1_30default_config_static_selectorELNS0_4arch9wavefront6targetE1EEEvT1_,comdat
.Lfunc_end330:
	.size	_ZN7rocprim17ROCPRIM_400000_NS6detail17trampoline_kernelINS0_14default_configENS1_25transform_config_selectorItLb0EEEZNS1_14transform_implILb0ES3_S5_NS0_18transform_iteratorINS0_17counting_iteratorImlEEZNS1_24adjacent_difference_implIS3_Lb1ELb0EPtSB_N6thrust23THRUST_200600_302600_NS5minusItEEEE10hipError_tPvRmT2_T3_mT4_P12ihipStream_tbEUlmE_tEESB_NS0_8identityIvEEEESG_SJ_SK_mSL_SN_bEUlT_E_NS1_11comp_targetILNS1_3genE8ELNS1_11target_archE1030ELNS1_3gpuE2ELNS1_3repE0EEENS1_30default_config_static_selectorELNS0_4arch9wavefront6targetE1EEEvT1_, .Lfunc_end330-_ZN7rocprim17ROCPRIM_400000_NS6detail17trampoline_kernelINS0_14default_configENS1_25transform_config_selectorItLb0EEEZNS1_14transform_implILb0ES3_S5_NS0_18transform_iteratorINS0_17counting_iteratorImlEEZNS1_24adjacent_difference_implIS3_Lb1ELb0EPtSB_N6thrust23THRUST_200600_302600_NS5minusItEEEE10hipError_tPvRmT2_T3_mT4_P12ihipStream_tbEUlmE_tEESB_NS0_8identityIvEEEESG_SJ_SK_mSL_SN_bEUlT_E_NS1_11comp_targetILNS1_3genE8ELNS1_11target_archE1030ELNS1_3gpuE2ELNS1_3repE0EEENS1_30default_config_static_selectorELNS0_4arch9wavefront6targetE1EEEvT1_
                                        ; -- End function
	.section	.AMDGPU.csdata,"",@progbits
; Kernel info:
; codeLenInByte = 0
; NumSgprs: 6
; NumVgprs: 0
; NumAgprs: 0
; TotalNumVgprs: 0
; ScratchSize: 0
; MemoryBound: 0
; FloatMode: 240
; IeeeMode: 1
; LDSByteSize: 0 bytes/workgroup (compile time only)
; SGPRBlocks: 0
; VGPRBlocks: 0
; NumSGPRsForWavesPerEU: 6
; NumVGPRsForWavesPerEU: 1
; AccumOffset: 4
; Occupancy: 8
; WaveLimiterHint : 0
; COMPUTE_PGM_RSRC2:SCRATCH_EN: 0
; COMPUTE_PGM_RSRC2:USER_SGPR: 2
; COMPUTE_PGM_RSRC2:TRAP_HANDLER: 0
; COMPUTE_PGM_RSRC2:TGID_X_EN: 1
; COMPUTE_PGM_RSRC2:TGID_Y_EN: 0
; COMPUTE_PGM_RSRC2:TGID_Z_EN: 0
; COMPUTE_PGM_RSRC2:TIDIG_COMP_CNT: 0
; COMPUTE_PGM_RSRC3_GFX90A:ACCUM_OFFSET: 0
; COMPUTE_PGM_RSRC3_GFX90A:TG_SPLIT: 0
	.section	.text._ZN7rocprim17ROCPRIM_400000_NS6detail17trampoline_kernelINS0_14default_configENS1_35adjacent_difference_config_selectorILb1EtEEZNS1_24adjacent_difference_implIS3_Lb1ELb0EPtS7_N6thrust23THRUST_200600_302600_NS5minusItEEEE10hipError_tPvRmT2_T3_mT4_P12ihipStream_tbEUlT_E_NS1_11comp_targetILNS1_3genE0ELNS1_11target_archE4294967295ELNS1_3gpuE0ELNS1_3repE0EEENS1_30default_config_static_selectorELNS0_4arch9wavefront6targetE1EEEvT1_,"axG",@progbits,_ZN7rocprim17ROCPRIM_400000_NS6detail17trampoline_kernelINS0_14default_configENS1_35adjacent_difference_config_selectorILb1EtEEZNS1_24adjacent_difference_implIS3_Lb1ELb0EPtS7_N6thrust23THRUST_200600_302600_NS5minusItEEEE10hipError_tPvRmT2_T3_mT4_P12ihipStream_tbEUlT_E_NS1_11comp_targetILNS1_3genE0ELNS1_11target_archE4294967295ELNS1_3gpuE0ELNS1_3repE0EEENS1_30default_config_static_selectorELNS0_4arch9wavefront6targetE1EEEvT1_,comdat
	.protected	_ZN7rocprim17ROCPRIM_400000_NS6detail17trampoline_kernelINS0_14default_configENS1_35adjacent_difference_config_selectorILb1EtEEZNS1_24adjacent_difference_implIS3_Lb1ELb0EPtS7_N6thrust23THRUST_200600_302600_NS5minusItEEEE10hipError_tPvRmT2_T3_mT4_P12ihipStream_tbEUlT_E_NS1_11comp_targetILNS1_3genE0ELNS1_11target_archE4294967295ELNS1_3gpuE0ELNS1_3repE0EEENS1_30default_config_static_selectorELNS0_4arch9wavefront6targetE1EEEvT1_ ; -- Begin function _ZN7rocprim17ROCPRIM_400000_NS6detail17trampoline_kernelINS0_14default_configENS1_35adjacent_difference_config_selectorILb1EtEEZNS1_24adjacent_difference_implIS3_Lb1ELb0EPtS7_N6thrust23THRUST_200600_302600_NS5minusItEEEE10hipError_tPvRmT2_T3_mT4_P12ihipStream_tbEUlT_E_NS1_11comp_targetILNS1_3genE0ELNS1_11target_archE4294967295ELNS1_3gpuE0ELNS1_3repE0EEENS1_30default_config_static_selectorELNS0_4arch9wavefront6targetE1EEEvT1_
	.globl	_ZN7rocprim17ROCPRIM_400000_NS6detail17trampoline_kernelINS0_14default_configENS1_35adjacent_difference_config_selectorILb1EtEEZNS1_24adjacent_difference_implIS3_Lb1ELb0EPtS7_N6thrust23THRUST_200600_302600_NS5minusItEEEE10hipError_tPvRmT2_T3_mT4_P12ihipStream_tbEUlT_E_NS1_11comp_targetILNS1_3genE0ELNS1_11target_archE4294967295ELNS1_3gpuE0ELNS1_3repE0EEENS1_30default_config_static_selectorELNS0_4arch9wavefront6targetE1EEEvT1_
	.p2align	8
	.type	_ZN7rocprim17ROCPRIM_400000_NS6detail17trampoline_kernelINS0_14default_configENS1_35adjacent_difference_config_selectorILb1EtEEZNS1_24adjacent_difference_implIS3_Lb1ELb0EPtS7_N6thrust23THRUST_200600_302600_NS5minusItEEEE10hipError_tPvRmT2_T3_mT4_P12ihipStream_tbEUlT_E_NS1_11comp_targetILNS1_3genE0ELNS1_11target_archE4294967295ELNS1_3gpuE0ELNS1_3repE0EEENS1_30default_config_static_selectorELNS0_4arch9wavefront6targetE1EEEvT1_,@function
_ZN7rocprim17ROCPRIM_400000_NS6detail17trampoline_kernelINS0_14default_configENS1_35adjacent_difference_config_selectorILb1EtEEZNS1_24adjacent_difference_implIS3_Lb1ELb0EPtS7_N6thrust23THRUST_200600_302600_NS5minusItEEEE10hipError_tPvRmT2_T3_mT4_P12ihipStream_tbEUlT_E_NS1_11comp_targetILNS1_3genE0ELNS1_11target_archE4294967295ELNS1_3gpuE0ELNS1_3repE0EEENS1_30default_config_static_selectorELNS0_4arch9wavefront6targetE1EEEvT1_: ; @_ZN7rocprim17ROCPRIM_400000_NS6detail17trampoline_kernelINS0_14default_configENS1_35adjacent_difference_config_selectorILb1EtEEZNS1_24adjacent_difference_implIS3_Lb1ELb0EPtS7_N6thrust23THRUST_200600_302600_NS5minusItEEEE10hipError_tPvRmT2_T3_mT4_P12ihipStream_tbEUlT_E_NS1_11comp_targetILNS1_3genE0ELNS1_11target_archE4294967295ELNS1_3gpuE0ELNS1_3repE0EEENS1_30default_config_static_selectorELNS0_4arch9wavefront6targetE1EEEvT1_
; %bb.0:
	.section	.rodata,"a",@progbits
	.p2align	6, 0x0
	.amdhsa_kernel _ZN7rocprim17ROCPRIM_400000_NS6detail17trampoline_kernelINS0_14default_configENS1_35adjacent_difference_config_selectorILb1EtEEZNS1_24adjacent_difference_implIS3_Lb1ELb0EPtS7_N6thrust23THRUST_200600_302600_NS5minusItEEEE10hipError_tPvRmT2_T3_mT4_P12ihipStream_tbEUlT_E_NS1_11comp_targetILNS1_3genE0ELNS1_11target_archE4294967295ELNS1_3gpuE0ELNS1_3repE0EEENS1_30default_config_static_selectorELNS0_4arch9wavefront6targetE1EEEvT1_
		.amdhsa_group_segment_fixed_size 0
		.amdhsa_private_segment_fixed_size 0
		.amdhsa_kernarg_size 56
		.amdhsa_user_sgpr_count 2
		.amdhsa_user_sgpr_dispatch_ptr 0
		.amdhsa_user_sgpr_queue_ptr 0
		.amdhsa_user_sgpr_kernarg_segment_ptr 1
		.amdhsa_user_sgpr_dispatch_id 0
		.amdhsa_user_sgpr_kernarg_preload_length 0
		.amdhsa_user_sgpr_kernarg_preload_offset 0
		.amdhsa_user_sgpr_private_segment_size 0
		.amdhsa_uses_dynamic_stack 0
		.amdhsa_enable_private_segment 0
		.amdhsa_system_sgpr_workgroup_id_x 1
		.amdhsa_system_sgpr_workgroup_id_y 0
		.amdhsa_system_sgpr_workgroup_id_z 0
		.amdhsa_system_sgpr_workgroup_info 0
		.amdhsa_system_vgpr_workitem_id 0
		.amdhsa_next_free_vgpr 1
		.amdhsa_next_free_sgpr 0
		.amdhsa_accum_offset 4
		.amdhsa_reserve_vcc 0
		.amdhsa_float_round_mode_32 0
		.amdhsa_float_round_mode_16_64 0
		.amdhsa_float_denorm_mode_32 3
		.amdhsa_float_denorm_mode_16_64 3
		.amdhsa_dx10_clamp 1
		.amdhsa_ieee_mode 1
		.amdhsa_fp16_overflow 0
		.amdhsa_tg_split 0
		.amdhsa_exception_fp_ieee_invalid_op 0
		.amdhsa_exception_fp_denorm_src 0
		.amdhsa_exception_fp_ieee_div_zero 0
		.amdhsa_exception_fp_ieee_overflow 0
		.amdhsa_exception_fp_ieee_underflow 0
		.amdhsa_exception_fp_ieee_inexact 0
		.amdhsa_exception_int_div_zero 0
	.end_amdhsa_kernel
	.section	.text._ZN7rocprim17ROCPRIM_400000_NS6detail17trampoline_kernelINS0_14default_configENS1_35adjacent_difference_config_selectorILb1EtEEZNS1_24adjacent_difference_implIS3_Lb1ELb0EPtS7_N6thrust23THRUST_200600_302600_NS5minusItEEEE10hipError_tPvRmT2_T3_mT4_P12ihipStream_tbEUlT_E_NS1_11comp_targetILNS1_3genE0ELNS1_11target_archE4294967295ELNS1_3gpuE0ELNS1_3repE0EEENS1_30default_config_static_selectorELNS0_4arch9wavefront6targetE1EEEvT1_,"axG",@progbits,_ZN7rocprim17ROCPRIM_400000_NS6detail17trampoline_kernelINS0_14default_configENS1_35adjacent_difference_config_selectorILb1EtEEZNS1_24adjacent_difference_implIS3_Lb1ELb0EPtS7_N6thrust23THRUST_200600_302600_NS5minusItEEEE10hipError_tPvRmT2_T3_mT4_P12ihipStream_tbEUlT_E_NS1_11comp_targetILNS1_3genE0ELNS1_11target_archE4294967295ELNS1_3gpuE0ELNS1_3repE0EEENS1_30default_config_static_selectorELNS0_4arch9wavefront6targetE1EEEvT1_,comdat
.Lfunc_end331:
	.size	_ZN7rocprim17ROCPRIM_400000_NS6detail17trampoline_kernelINS0_14default_configENS1_35adjacent_difference_config_selectorILb1EtEEZNS1_24adjacent_difference_implIS3_Lb1ELb0EPtS7_N6thrust23THRUST_200600_302600_NS5minusItEEEE10hipError_tPvRmT2_T3_mT4_P12ihipStream_tbEUlT_E_NS1_11comp_targetILNS1_3genE0ELNS1_11target_archE4294967295ELNS1_3gpuE0ELNS1_3repE0EEENS1_30default_config_static_selectorELNS0_4arch9wavefront6targetE1EEEvT1_, .Lfunc_end331-_ZN7rocprim17ROCPRIM_400000_NS6detail17trampoline_kernelINS0_14default_configENS1_35adjacent_difference_config_selectorILb1EtEEZNS1_24adjacent_difference_implIS3_Lb1ELb0EPtS7_N6thrust23THRUST_200600_302600_NS5minusItEEEE10hipError_tPvRmT2_T3_mT4_P12ihipStream_tbEUlT_E_NS1_11comp_targetILNS1_3genE0ELNS1_11target_archE4294967295ELNS1_3gpuE0ELNS1_3repE0EEENS1_30default_config_static_selectorELNS0_4arch9wavefront6targetE1EEEvT1_
                                        ; -- End function
	.section	.AMDGPU.csdata,"",@progbits
; Kernel info:
; codeLenInByte = 0
; NumSgprs: 6
; NumVgprs: 0
; NumAgprs: 0
; TotalNumVgprs: 0
; ScratchSize: 0
; MemoryBound: 0
; FloatMode: 240
; IeeeMode: 1
; LDSByteSize: 0 bytes/workgroup (compile time only)
; SGPRBlocks: 0
; VGPRBlocks: 0
; NumSGPRsForWavesPerEU: 6
; NumVGPRsForWavesPerEU: 1
; AccumOffset: 4
; Occupancy: 8
; WaveLimiterHint : 0
; COMPUTE_PGM_RSRC2:SCRATCH_EN: 0
; COMPUTE_PGM_RSRC2:USER_SGPR: 2
; COMPUTE_PGM_RSRC2:TRAP_HANDLER: 0
; COMPUTE_PGM_RSRC2:TGID_X_EN: 1
; COMPUTE_PGM_RSRC2:TGID_Y_EN: 0
; COMPUTE_PGM_RSRC2:TGID_Z_EN: 0
; COMPUTE_PGM_RSRC2:TIDIG_COMP_CNT: 0
; COMPUTE_PGM_RSRC3_GFX90A:ACCUM_OFFSET: 0
; COMPUTE_PGM_RSRC3_GFX90A:TG_SPLIT: 0
	.section	.text._ZN7rocprim17ROCPRIM_400000_NS6detail17trampoline_kernelINS0_14default_configENS1_35adjacent_difference_config_selectorILb1EtEEZNS1_24adjacent_difference_implIS3_Lb1ELb0EPtS7_N6thrust23THRUST_200600_302600_NS5minusItEEEE10hipError_tPvRmT2_T3_mT4_P12ihipStream_tbEUlT_E_NS1_11comp_targetILNS1_3genE10ELNS1_11target_archE1201ELNS1_3gpuE5ELNS1_3repE0EEENS1_30default_config_static_selectorELNS0_4arch9wavefront6targetE1EEEvT1_,"axG",@progbits,_ZN7rocprim17ROCPRIM_400000_NS6detail17trampoline_kernelINS0_14default_configENS1_35adjacent_difference_config_selectorILb1EtEEZNS1_24adjacent_difference_implIS3_Lb1ELb0EPtS7_N6thrust23THRUST_200600_302600_NS5minusItEEEE10hipError_tPvRmT2_T3_mT4_P12ihipStream_tbEUlT_E_NS1_11comp_targetILNS1_3genE10ELNS1_11target_archE1201ELNS1_3gpuE5ELNS1_3repE0EEENS1_30default_config_static_selectorELNS0_4arch9wavefront6targetE1EEEvT1_,comdat
	.protected	_ZN7rocprim17ROCPRIM_400000_NS6detail17trampoline_kernelINS0_14default_configENS1_35adjacent_difference_config_selectorILb1EtEEZNS1_24adjacent_difference_implIS3_Lb1ELb0EPtS7_N6thrust23THRUST_200600_302600_NS5minusItEEEE10hipError_tPvRmT2_T3_mT4_P12ihipStream_tbEUlT_E_NS1_11comp_targetILNS1_3genE10ELNS1_11target_archE1201ELNS1_3gpuE5ELNS1_3repE0EEENS1_30default_config_static_selectorELNS0_4arch9wavefront6targetE1EEEvT1_ ; -- Begin function _ZN7rocprim17ROCPRIM_400000_NS6detail17trampoline_kernelINS0_14default_configENS1_35adjacent_difference_config_selectorILb1EtEEZNS1_24adjacent_difference_implIS3_Lb1ELb0EPtS7_N6thrust23THRUST_200600_302600_NS5minusItEEEE10hipError_tPvRmT2_T3_mT4_P12ihipStream_tbEUlT_E_NS1_11comp_targetILNS1_3genE10ELNS1_11target_archE1201ELNS1_3gpuE5ELNS1_3repE0EEENS1_30default_config_static_selectorELNS0_4arch9wavefront6targetE1EEEvT1_
	.globl	_ZN7rocprim17ROCPRIM_400000_NS6detail17trampoline_kernelINS0_14default_configENS1_35adjacent_difference_config_selectorILb1EtEEZNS1_24adjacent_difference_implIS3_Lb1ELb0EPtS7_N6thrust23THRUST_200600_302600_NS5minusItEEEE10hipError_tPvRmT2_T3_mT4_P12ihipStream_tbEUlT_E_NS1_11comp_targetILNS1_3genE10ELNS1_11target_archE1201ELNS1_3gpuE5ELNS1_3repE0EEENS1_30default_config_static_selectorELNS0_4arch9wavefront6targetE1EEEvT1_
	.p2align	8
	.type	_ZN7rocprim17ROCPRIM_400000_NS6detail17trampoline_kernelINS0_14default_configENS1_35adjacent_difference_config_selectorILb1EtEEZNS1_24adjacent_difference_implIS3_Lb1ELb0EPtS7_N6thrust23THRUST_200600_302600_NS5minusItEEEE10hipError_tPvRmT2_T3_mT4_P12ihipStream_tbEUlT_E_NS1_11comp_targetILNS1_3genE10ELNS1_11target_archE1201ELNS1_3gpuE5ELNS1_3repE0EEENS1_30default_config_static_selectorELNS0_4arch9wavefront6targetE1EEEvT1_,@function
_ZN7rocprim17ROCPRIM_400000_NS6detail17trampoline_kernelINS0_14default_configENS1_35adjacent_difference_config_selectorILb1EtEEZNS1_24adjacent_difference_implIS3_Lb1ELb0EPtS7_N6thrust23THRUST_200600_302600_NS5minusItEEEE10hipError_tPvRmT2_T3_mT4_P12ihipStream_tbEUlT_E_NS1_11comp_targetILNS1_3genE10ELNS1_11target_archE1201ELNS1_3gpuE5ELNS1_3repE0EEENS1_30default_config_static_selectorELNS0_4arch9wavefront6targetE1EEEvT1_: ; @_ZN7rocprim17ROCPRIM_400000_NS6detail17trampoline_kernelINS0_14default_configENS1_35adjacent_difference_config_selectorILb1EtEEZNS1_24adjacent_difference_implIS3_Lb1ELb0EPtS7_N6thrust23THRUST_200600_302600_NS5minusItEEEE10hipError_tPvRmT2_T3_mT4_P12ihipStream_tbEUlT_E_NS1_11comp_targetILNS1_3genE10ELNS1_11target_archE1201ELNS1_3gpuE5ELNS1_3repE0EEENS1_30default_config_static_selectorELNS0_4arch9wavefront6targetE1EEEvT1_
; %bb.0:
	.section	.rodata,"a",@progbits
	.p2align	6, 0x0
	.amdhsa_kernel _ZN7rocprim17ROCPRIM_400000_NS6detail17trampoline_kernelINS0_14default_configENS1_35adjacent_difference_config_selectorILb1EtEEZNS1_24adjacent_difference_implIS3_Lb1ELb0EPtS7_N6thrust23THRUST_200600_302600_NS5minusItEEEE10hipError_tPvRmT2_T3_mT4_P12ihipStream_tbEUlT_E_NS1_11comp_targetILNS1_3genE10ELNS1_11target_archE1201ELNS1_3gpuE5ELNS1_3repE0EEENS1_30default_config_static_selectorELNS0_4arch9wavefront6targetE1EEEvT1_
		.amdhsa_group_segment_fixed_size 0
		.amdhsa_private_segment_fixed_size 0
		.amdhsa_kernarg_size 56
		.amdhsa_user_sgpr_count 2
		.amdhsa_user_sgpr_dispatch_ptr 0
		.amdhsa_user_sgpr_queue_ptr 0
		.amdhsa_user_sgpr_kernarg_segment_ptr 1
		.amdhsa_user_sgpr_dispatch_id 0
		.amdhsa_user_sgpr_kernarg_preload_length 0
		.amdhsa_user_sgpr_kernarg_preload_offset 0
		.amdhsa_user_sgpr_private_segment_size 0
		.amdhsa_uses_dynamic_stack 0
		.amdhsa_enable_private_segment 0
		.amdhsa_system_sgpr_workgroup_id_x 1
		.amdhsa_system_sgpr_workgroup_id_y 0
		.amdhsa_system_sgpr_workgroup_id_z 0
		.amdhsa_system_sgpr_workgroup_info 0
		.amdhsa_system_vgpr_workitem_id 0
		.amdhsa_next_free_vgpr 1
		.amdhsa_next_free_sgpr 0
		.amdhsa_accum_offset 4
		.amdhsa_reserve_vcc 0
		.amdhsa_float_round_mode_32 0
		.amdhsa_float_round_mode_16_64 0
		.amdhsa_float_denorm_mode_32 3
		.amdhsa_float_denorm_mode_16_64 3
		.amdhsa_dx10_clamp 1
		.amdhsa_ieee_mode 1
		.amdhsa_fp16_overflow 0
		.amdhsa_tg_split 0
		.amdhsa_exception_fp_ieee_invalid_op 0
		.amdhsa_exception_fp_denorm_src 0
		.amdhsa_exception_fp_ieee_div_zero 0
		.amdhsa_exception_fp_ieee_overflow 0
		.amdhsa_exception_fp_ieee_underflow 0
		.amdhsa_exception_fp_ieee_inexact 0
		.amdhsa_exception_int_div_zero 0
	.end_amdhsa_kernel
	.section	.text._ZN7rocprim17ROCPRIM_400000_NS6detail17trampoline_kernelINS0_14default_configENS1_35adjacent_difference_config_selectorILb1EtEEZNS1_24adjacent_difference_implIS3_Lb1ELb0EPtS7_N6thrust23THRUST_200600_302600_NS5minusItEEEE10hipError_tPvRmT2_T3_mT4_P12ihipStream_tbEUlT_E_NS1_11comp_targetILNS1_3genE10ELNS1_11target_archE1201ELNS1_3gpuE5ELNS1_3repE0EEENS1_30default_config_static_selectorELNS0_4arch9wavefront6targetE1EEEvT1_,"axG",@progbits,_ZN7rocprim17ROCPRIM_400000_NS6detail17trampoline_kernelINS0_14default_configENS1_35adjacent_difference_config_selectorILb1EtEEZNS1_24adjacent_difference_implIS3_Lb1ELb0EPtS7_N6thrust23THRUST_200600_302600_NS5minusItEEEE10hipError_tPvRmT2_T3_mT4_P12ihipStream_tbEUlT_E_NS1_11comp_targetILNS1_3genE10ELNS1_11target_archE1201ELNS1_3gpuE5ELNS1_3repE0EEENS1_30default_config_static_selectorELNS0_4arch9wavefront6targetE1EEEvT1_,comdat
.Lfunc_end332:
	.size	_ZN7rocprim17ROCPRIM_400000_NS6detail17trampoline_kernelINS0_14default_configENS1_35adjacent_difference_config_selectorILb1EtEEZNS1_24adjacent_difference_implIS3_Lb1ELb0EPtS7_N6thrust23THRUST_200600_302600_NS5minusItEEEE10hipError_tPvRmT2_T3_mT4_P12ihipStream_tbEUlT_E_NS1_11comp_targetILNS1_3genE10ELNS1_11target_archE1201ELNS1_3gpuE5ELNS1_3repE0EEENS1_30default_config_static_selectorELNS0_4arch9wavefront6targetE1EEEvT1_, .Lfunc_end332-_ZN7rocprim17ROCPRIM_400000_NS6detail17trampoline_kernelINS0_14default_configENS1_35adjacent_difference_config_selectorILb1EtEEZNS1_24adjacent_difference_implIS3_Lb1ELb0EPtS7_N6thrust23THRUST_200600_302600_NS5minusItEEEE10hipError_tPvRmT2_T3_mT4_P12ihipStream_tbEUlT_E_NS1_11comp_targetILNS1_3genE10ELNS1_11target_archE1201ELNS1_3gpuE5ELNS1_3repE0EEENS1_30default_config_static_selectorELNS0_4arch9wavefront6targetE1EEEvT1_
                                        ; -- End function
	.section	.AMDGPU.csdata,"",@progbits
; Kernel info:
; codeLenInByte = 0
; NumSgprs: 6
; NumVgprs: 0
; NumAgprs: 0
; TotalNumVgprs: 0
; ScratchSize: 0
; MemoryBound: 0
; FloatMode: 240
; IeeeMode: 1
; LDSByteSize: 0 bytes/workgroup (compile time only)
; SGPRBlocks: 0
; VGPRBlocks: 0
; NumSGPRsForWavesPerEU: 6
; NumVGPRsForWavesPerEU: 1
; AccumOffset: 4
; Occupancy: 8
; WaveLimiterHint : 0
; COMPUTE_PGM_RSRC2:SCRATCH_EN: 0
; COMPUTE_PGM_RSRC2:USER_SGPR: 2
; COMPUTE_PGM_RSRC2:TRAP_HANDLER: 0
; COMPUTE_PGM_RSRC2:TGID_X_EN: 1
; COMPUTE_PGM_RSRC2:TGID_Y_EN: 0
; COMPUTE_PGM_RSRC2:TGID_Z_EN: 0
; COMPUTE_PGM_RSRC2:TIDIG_COMP_CNT: 0
; COMPUTE_PGM_RSRC3_GFX90A:ACCUM_OFFSET: 0
; COMPUTE_PGM_RSRC3_GFX90A:TG_SPLIT: 0
	.section	.text._ZN7rocprim17ROCPRIM_400000_NS6detail17trampoline_kernelINS0_14default_configENS1_35adjacent_difference_config_selectorILb1EtEEZNS1_24adjacent_difference_implIS3_Lb1ELb0EPtS7_N6thrust23THRUST_200600_302600_NS5minusItEEEE10hipError_tPvRmT2_T3_mT4_P12ihipStream_tbEUlT_E_NS1_11comp_targetILNS1_3genE5ELNS1_11target_archE942ELNS1_3gpuE9ELNS1_3repE0EEENS1_30default_config_static_selectorELNS0_4arch9wavefront6targetE1EEEvT1_,"axG",@progbits,_ZN7rocprim17ROCPRIM_400000_NS6detail17trampoline_kernelINS0_14default_configENS1_35adjacent_difference_config_selectorILb1EtEEZNS1_24adjacent_difference_implIS3_Lb1ELb0EPtS7_N6thrust23THRUST_200600_302600_NS5minusItEEEE10hipError_tPvRmT2_T3_mT4_P12ihipStream_tbEUlT_E_NS1_11comp_targetILNS1_3genE5ELNS1_11target_archE942ELNS1_3gpuE9ELNS1_3repE0EEENS1_30default_config_static_selectorELNS0_4arch9wavefront6targetE1EEEvT1_,comdat
	.protected	_ZN7rocprim17ROCPRIM_400000_NS6detail17trampoline_kernelINS0_14default_configENS1_35adjacent_difference_config_selectorILb1EtEEZNS1_24adjacent_difference_implIS3_Lb1ELb0EPtS7_N6thrust23THRUST_200600_302600_NS5minusItEEEE10hipError_tPvRmT2_T3_mT4_P12ihipStream_tbEUlT_E_NS1_11comp_targetILNS1_3genE5ELNS1_11target_archE942ELNS1_3gpuE9ELNS1_3repE0EEENS1_30default_config_static_selectorELNS0_4arch9wavefront6targetE1EEEvT1_ ; -- Begin function _ZN7rocprim17ROCPRIM_400000_NS6detail17trampoline_kernelINS0_14default_configENS1_35adjacent_difference_config_selectorILb1EtEEZNS1_24adjacent_difference_implIS3_Lb1ELb0EPtS7_N6thrust23THRUST_200600_302600_NS5minusItEEEE10hipError_tPvRmT2_T3_mT4_P12ihipStream_tbEUlT_E_NS1_11comp_targetILNS1_3genE5ELNS1_11target_archE942ELNS1_3gpuE9ELNS1_3repE0EEENS1_30default_config_static_selectorELNS0_4arch9wavefront6targetE1EEEvT1_
	.globl	_ZN7rocprim17ROCPRIM_400000_NS6detail17trampoline_kernelINS0_14default_configENS1_35adjacent_difference_config_selectorILb1EtEEZNS1_24adjacent_difference_implIS3_Lb1ELb0EPtS7_N6thrust23THRUST_200600_302600_NS5minusItEEEE10hipError_tPvRmT2_T3_mT4_P12ihipStream_tbEUlT_E_NS1_11comp_targetILNS1_3genE5ELNS1_11target_archE942ELNS1_3gpuE9ELNS1_3repE0EEENS1_30default_config_static_selectorELNS0_4arch9wavefront6targetE1EEEvT1_
	.p2align	8
	.type	_ZN7rocprim17ROCPRIM_400000_NS6detail17trampoline_kernelINS0_14default_configENS1_35adjacent_difference_config_selectorILb1EtEEZNS1_24adjacent_difference_implIS3_Lb1ELb0EPtS7_N6thrust23THRUST_200600_302600_NS5minusItEEEE10hipError_tPvRmT2_T3_mT4_P12ihipStream_tbEUlT_E_NS1_11comp_targetILNS1_3genE5ELNS1_11target_archE942ELNS1_3gpuE9ELNS1_3repE0EEENS1_30default_config_static_selectorELNS0_4arch9wavefront6targetE1EEEvT1_,@function
_ZN7rocprim17ROCPRIM_400000_NS6detail17trampoline_kernelINS0_14default_configENS1_35adjacent_difference_config_selectorILb1EtEEZNS1_24adjacent_difference_implIS3_Lb1ELb0EPtS7_N6thrust23THRUST_200600_302600_NS5minusItEEEE10hipError_tPvRmT2_T3_mT4_P12ihipStream_tbEUlT_E_NS1_11comp_targetILNS1_3genE5ELNS1_11target_archE942ELNS1_3gpuE9ELNS1_3repE0EEENS1_30default_config_static_selectorELNS0_4arch9wavefront6targetE1EEEvT1_: ; @_ZN7rocprim17ROCPRIM_400000_NS6detail17trampoline_kernelINS0_14default_configENS1_35adjacent_difference_config_selectorILb1EtEEZNS1_24adjacent_difference_implIS3_Lb1ELb0EPtS7_N6thrust23THRUST_200600_302600_NS5minusItEEEE10hipError_tPvRmT2_T3_mT4_P12ihipStream_tbEUlT_E_NS1_11comp_targetILNS1_3genE5ELNS1_11target_archE942ELNS1_3gpuE9ELNS1_3repE0EEENS1_30default_config_static_selectorELNS0_4arch9wavefront6targetE1EEEvT1_
; %bb.0:
	s_load_dwordx8 s[12:19], s[0:1], 0x0
	s_load_dwordx4 s[4:7], s[0:1], 0x28
	s_mov_b32 s0, 0x90841c60
	v_bfrev_b32_e32 v1, 1
	s_movk_i32 s8, 0x7c0
	s_waitcnt lgkmcnt(0)
	s_lshl_b64 s[22:23], s[14:15], 1
	s_add_u32 s26, s12, s22
	s_addc_u32 s27, s13, s23
	s_add_u32 s0, 0x230, s0
	s_addc_u32 s1, 0, 0
	v_add_co_u32_e32 v1, vcc, s0, v1
	s_cmp_lg_u64 vcc, 0
	v_readfirstlane_b32 s9, v1
	s_addc_u32 s0, s1, 0x210841
	s_mul_hi_u32 s10, s9, 0xfffff840
	s_mul_i32 s1, s0, 0xfffff840
	s_sub_i32 s10, s10, s9
	s_add_i32 s10, s10, s1
	s_mul_i32 s12, s9, 0xfffff840
	s_mul_hi_u32 s1, s9, s10
	s_mul_i32 s11, s9, s10
	s_mul_hi_u32 s9, s9, s12
	s_add_u32 s9, s9, s11
	s_addc_u32 s1, 0, s1
	s_mul_hi_u32 s13, s0, s12
	s_mul_i32 s12, s0, s12
	s_add_u32 s9, s9, s12
	s_mul_hi_u32 s11, s0, s10
	s_addc_u32 s1, s1, s13
	s_addc_u32 s9, s11, 0
	s_mul_i32 s10, s0, s10
	s_add_u32 s1, s1, s10
	s_addc_u32 s9, 0, s9
	v_add_co_u32_e32 v1, vcc, s1, v1
	s_cmp_lg_u64 vcc, 0
	s_addc_u32 s0, s0, s9
	v_readfirstlane_b32 s10, v1
	s_mul_i32 s9, s18, s0
	s_mul_hi_u32 s11, s18, s10
	s_mul_hi_u32 s1, s18, s0
	s_add_u32 s9, s11, s9
	s_addc_u32 s1, 0, s1
	s_mul_hi_u32 s12, s19, s10
	s_mul_i32 s10, s19, s10
	s_add_u32 s9, s9, s10
	s_mul_hi_u32 s11, s19, s0
	s_addc_u32 s1, s1, s12
	s_addc_u32 s9, s11, 0
	s_mul_i32 s0, s19, s0
	s_add_u32 s0, s1, s0
	s_addc_u32 s1, 0, s9
	s_add_u32 s9, s0, 1
	s_addc_u32 s10, s1, 0
	s_add_u32 s11, s0, 2
	s_mul_i32 s13, s1, 0x7c0
	s_mul_hi_u32 s14, s0, 0x7c0
	s_addc_u32 s12, s1, 0
	s_add_i32 s14, s14, s13
	s_mul_i32 s13, s0, 0x7c0
	v_mov_b32_e32 v1, s13
	v_sub_co_u32_e32 v1, vcc, s18, v1
	s_cmp_lg_u64 vcc, 0
	s_subb_u32 s13, s19, s14
	v_subrev_co_u32_e32 v2, vcc, s8, v1
	s_cmp_lg_u64 vcc, 0
	s_subb_u32 s8, s13, 0
	v_readfirstlane_b32 s14, v2
	s_cmpk_gt_u32 s14, 0x7bf
	s_cselect_b32 s14, -1, 0
	s_cmp_eq_u32 s8, 0
	s_cselect_b32 s8, s14, -1
	s_cmp_lg_u32 s8, 0
	s_cselect_b32 s8, s11, s9
	s_cselect_b32 s9, s12, s10
	v_readfirstlane_b32 s10, v1
	s_cmpk_gt_u32 s10, 0x7bf
	s_cselect_b32 s10, -1, 0
	s_cmp_eq_u32 s13, 0
	s_cselect_b32 s10, s10, -1
	s_cmp_lg_u32 s10, 0
	s_cselect_b32 s9, s9, s1
	s_cselect_b32 s8, s8, s0
	s_mul_i32 s0, s9, 0x7c0
	s_mul_hi_u32 s1, s8, 0x7c0
	s_add_i32 s1, s1, s0
	s_mul_i32 s0, s8, 0x7c0
	s_sub_u32 s0, s18, s0
	s_subb_u32 s1, s19, s1
	s_cmp_lg_u64 s[0:1], 0
	s_cselect_b64 s[0:1], -1, 0
	v_cndmask_b32_e64 v1, 0, 1, s[0:1]
	s_mul_i32 s20, s2, 0x7c0
	v_readfirstlane_b32 s0, v1
	s_add_u32 s8, s8, s0
	s_addc_u32 s9, s9, 0
	s_add_u32 s10, s6, s2
	s_addc_u32 s11, s7, 0
	s_add_u32 s12, s8, -1
	s_addc_u32 s13, s9, -1
	v_mov_b64_e32 v[2:3], s[12:13]
	v_cmp_ge_u64_e64 s[0:1], s[10:11], v[2:3]
	s_mov_b32 s3, 0
	s_mov_b64 s[14:15], -1
	s_and_b64 vcc, exec, s[0:1]
	s_mul_i32 s19, s12, 0xfffff840
	s_cbranch_vccz .LBB333_64
; %bb.1:
	s_mov_b32 s21, s3
	s_add_i32 s28, s19, s18
	s_lshl_b64 s[14:15], s[20:21], 1
	s_add_u32 s14, s26, s14
	s_addc_u32 s15, s27, s15
	v_cmp_gt_u32_e32 vcc, s28, v0
                                        ; implicit-def: $vgpr1
	s_and_saveexec_b64 s[24:25], vcc
	s_cbranch_execz .LBB333_3
; %bb.2:
	v_lshlrev_b32_e32 v1, 1, v0
	global_load_ushort v1, v1, s[14:15]
.LBB333_3:
	s_or_b64 exec, exec, s[24:25]
	v_or_b32_e32 v2, 64, v0
	v_cmp_gt_u32_e32 vcc, s28, v2
                                        ; implicit-def: $vgpr2
	s_and_saveexec_b64 s[24:25], vcc
	s_cbranch_execz .LBB333_5
; %bb.4:
	v_lshlrev_b32_e32 v2, 1, v0
	global_load_ushort v2, v2, s[14:15] offset:128
.LBB333_5:
	s_or_b64 exec, exec, s[24:25]
	v_or_b32_e32 v3, 0x80, v0
	v_cmp_gt_u32_e32 vcc, s28, v3
                                        ; implicit-def: $vgpr3
	s_and_saveexec_b64 s[24:25], vcc
	s_cbranch_execz .LBB333_7
; %bb.6:
	v_lshlrev_b32_e32 v3, 1, v0
	global_load_ushort v3, v3, s[14:15] offset:256
.LBB333_7:
	s_or_b64 exec, exec, s[24:25]
	v_or_b32_e32 v4, 0xc0, v0
	v_cmp_gt_u32_e32 vcc, s28, v4
                                        ; implicit-def: $vgpr4
	s_and_saveexec_b64 s[24:25], vcc
	s_cbranch_execz .LBB333_9
; %bb.8:
	v_lshlrev_b32_e32 v4, 1, v0
	global_load_ushort v4, v4, s[14:15] offset:384
.LBB333_9:
	s_or_b64 exec, exec, s[24:25]
	v_or_b32_e32 v5, 0x100, v0
	v_cmp_gt_u32_e32 vcc, s28, v5
                                        ; implicit-def: $vgpr5
	s_and_saveexec_b64 s[24:25], vcc
	s_cbranch_execz .LBB333_11
; %bb.10:
	v_lshlrev_b32_e32 v5, 1, v0
	global_load_ushort v5, v5, s[14:15] offset:512
.LBB333_11:
	s_or_b64 exec, exec, s[24:25]
	v_or_b32_e32 v6, 0x140, v0
	v_cmp_gt_u32_e32 vcc, s28, v6
                                        ; implicit-def: $vgpr6
	s_and_saveexec_b64 s[24:25], vcc
	s_cbranch_execz .LBB333_13
; %bb.12:
	v_lshlrev_b32_e32 v6, 1, v0
	global_load_ushort v6, v6, s[14:15] offset:640
.LBB333_13:
	s_or_b64 exec, exec, s[24:25]
	v_or_b32_e32 v7, 0x180, v0
	v_cmp_gt_u32_e32 vcc, s28, v7
                                        ; implicit-def: $vgpr7
	s_and_saveexec_b64 s[24:25], vcc
	s_cbranch_execz .LBB333_15
; %bb.14:
	v_lshlrev_b32_e32 v7, 1, v0
	global_load_ushort v7, v7, s[14:15] offset:768
.LBB333_15:
	s_or_b64 exec, exec, s[24:25]
	v_or_b32_e32 v8, 0x1c0, v0
	v_cmp_gt_u32_e32 vcc, s28, v8
                                        ; implicit-def: $vgpr8
	s_and_saveexec_b64 s[24:25], vcc
	s_cbranch_execz .LBB333_17
; %bb.16:
	v_lshlrev_b32_e32 v8, 1, v0
	global_load_ushort v8, v8, s[14:15] offset:896
.LBB333_17:
	s_or_b64 exec, exec, s[24:25]
	v_or_b32_e32 v9, 0x200, v0
	v_cmp_gt_u32_e32 vcc, s28, v9
                                        ; implicit-def: $vgpr9
	s_and_saveexec_b64 s[24:25], vcc
	s_cbranch_execz .LBB333_19
; %bb.18:
	v_lshlrev_b32_e32 v9, 1, v0
	global_load_ushort v9, v9, s[14:15] offset:1024
.LBB333_19:
	s_or_b64 exec, exec, s[24:25]
	v_or_b32_e32 v10, 0x240, v0
	v_cmp_gt_u32_e32 vcc, s28, v10
                                        ; implicit-def: $vgpr10
	s_and_saveexec_b64 s[24:25], vcc
	s_cbranch_execz .LBB333_21
; %bb.20:
	v_lshlrev_b32_e32 v10, 1, v0
	global_load_ushort v10, v10, s[14:15] offset:1152
.LBB333_21:
	s_or_b64 exec, exec, s[24:25]
	v_or_b32_e32 v11, 0x280, v0
	v_cmp_gt_u32_e32 vcc, s28, v11
                                        ; implicit-def: $vgpr11
	s_and_saveexec_b64 s[24:25], vcc
	s_cbranch_execz .LBB333_23
; %bb.22:
	v_lshlrev_b32_e32 v11, 1, v0
	global_load_ushort v11, v11, s[14:15] offset:1280
.LBB333_23:
	s_or_b64 exec, exec, s[24:25]
	v_or_b32_e32 v12, 0x2c0, v0
	v_cmp_gt_u32_e32 vcc, s28, v12
                                        ; implicit-def: $vgpr12
	s_and_saveexec_b64 s[24:25], vcc
	s_cbranch_execz .LBB333_25
; %bb.24:
	v_lshlrev_b32_e32 v12, 1, v0
	global_load_ushort v12, v12, s[14:15] offset:1408
.LBB333_25:
	s_or_b64 exec, exec, s[24:25]
	v_or_b32_e32 v13, 0x300, v0
	v_cmp_gt_u32_e32 vcc, s28, v13
                                        ; implicit-def: $vgpr13
	s_and_saveexec_b64 s[24:25], vcc
	s_cbranch_execz .LBB333_27
; %bb.26:
	v_lshlrev_b32_e32 v13, 1, v0
	global_load_ushort v13, v13, s[14:15] offset:1536
.LBB333_27:
	s_or_b64 exec, exec, s[24:25]
	v_or_b32_e32 v14, 0x340, v0
	v_cmp_gt_u32_e32 vcc, s28, v14
                                        ; implicit-def: $vgpr14
	s_and_saveexec_b64 s[24:25], vcc
	s_cbranch_execz .LBB333_29
; %bb.28:
	v_lshlrev_b32_e32 v14, 1, v0
	global_load_ushort v14, v14, s[14:15] offset:1664
.LBB333_29:
	s_or_b64 exec, exec, s[24:25]
	v_or_b32_e32 v15, 0x380, v0
	v_cmp_gt_u32_e32 vcc, s28, v15
                                        ; implicit-def: $vgpr15
	s_and_saveexec_b64 s[24:25], vcc
	s_cbranch_execz .LBB333_31
; %bb.30:
	v_lshlrev_b32_e32 v15, 1, v0
	global_load_ushort v15, v15, s[14:15] offset:1792
.LBB333_31:
	s_or_b64 exec, exec, s[24:25]
	v_or_b32_e32 v16, 0x3c0, v0
	v_cmp_gt_u32_e32 vcc, s28, v16
                                        ; implicit-def: $vgpr16
	s_and_saveexec_b64 s[24:25], vcc
	s_cbranch_execz .LBB333_33
; %bb.32:
	v_lshlrev_b32_e32 v16, 1, v0
	global_load_ushort v16, v16, s[14:15] offset:1920
.LBB333_33:
	s_or_b64 exec, exec, s[24:25]
	v_or_b32_e32 v17, 0x400, v0
	v_cmp_gt_u32_e32 vcc, s28, v17
                                        ; implicit-def: $vgpr17
	s_and_saveexec_b64 s[24:25], vcc
	s_cbranch_execz .LBB333_35
; %bb.34:
	v_lshlrev_b32_e32 v17, 1, v0
	global_load_ushort v17, v17, s[14:15] offset:2048
.LBB333_35:
	s_or_b64 exec, exec, s[24:25]
	v_or_b32_e32 v18, 0x440, v0
	v_cmp_gt_u32_e32 vcc, s28, v18
                                        ; implicit-def: $vgpr18
	s_and_saveexec_b64 s[24:25], vcc
	s_cbranch_execz .LBB333_37
; %bb.36:
	v_lshlrev_b32_e32 v18, 1, v0
	global_load_ushort v18, v18, s[14:15] offset:2176
.LBB333_37:
	s_or_b64 exec, exec, s[24:25]
	v_or_b32_e32 v19, 0x480, v0
	v_cmp_gt_u32_e32 vcc, s28, v19
                                        ; implicit-def: $vgpr19
	s_and_saveexec_b64 s[24:25], vcc
	s_cbranch_execz .LBB333_39
; %bb.38:
	v_lshlrev_b32_e32 v19, 1, v0
	global_load_ushort v19, v19, s[14:15] offset:2304
.LBB333_39:
	s_or_b64 exec, exec, s[24:25]
	v_or_b32_e32 v20, 0x4c0, v0
	v_cmp_gt_u32_e32 vcc, s28, v20
                                        ; implicit-def: $vgpr20
	s_and_saveexec_b64 s[24:25], vcc
	s_cbranch_execz .LBB333_41
; %bb.40:
	v_lshlrev_b32_e32 v20, 1, v0
	global_load_ushort v20, v20, s[14:15] offset:2432
.LBB333_41:
	s_or_b64 exec, exec, s[24:25]
	v_or_b32_e32 v21, 0x500, v0
	v_cmp_gt_u32_e32 vcc, s28, v21
                                        ; implicit-def: $vgpr21
	s_and_saveexec_b64 s[24:25], vcc
	s_cbranch_execz .LBB333_43
; %bb.42:
	v_lshlrev_b32_e32 v21, 1, v0
	global_load_ushort v21, v21, s[14:15] offset:2560
.LBB333_43:
	s_or_b64 exec, exec, s[24:25]
	v_or_b32_e32 v22, 0x540, v0
	v_cmp_gt_u32_e32 vcc, s28, v22
                                        ; implicit-def: $vgpr22
	s_and_saveexec_b64 s[24:25], vcc
	s_cbranch_execz .LBB333_45
; %bb.44:
	v_lshlrev_b32_e32 v22, 1, v0
	global_load_ushort v22, v22, s[14:15] offset:2688
.LBB333_45:
	s_or_b64 exec, exec, s[24:25]
	v_or_b32_e32 v23, 0x580, v0
	v_cmp_gt_u32_e32 vcc, s28, v23
                                        ; implicit-def: $vgpr23
	s_and_saveexec_b64 s[24:25], vcc
	s_cbranch_execz .LBB333_47
; %bb.46:
	v_lshlrev_b32_e32 v23, 1, v0
	global_load_ushort v23, v23, s[14:15] offset:2816
.LBB333_47:
	s_or_b64 exec, exec, s[24:25]
	v_or_b32_e32 v24, 0x5c0, v0
	v_cmp_gt_u32_e32 vcc, s28, v24
                                        ; implicit-def: $vgpr24
	s_and_saveexec_b64 s[24:25], vcc
	s_cbranch_execz .LBB333_49
; %bb.48:
	v_lshlrev_b32_e32 v24, 1, v0
	global_load_ushort v24, v24, s[14:15] offset:2944
.LBB333_49:
	s_or_b64 exec, exec, s[24:25]
	v_or_b32_e32 v25, 0x600, v0
	v_cmp_gt_u32_e32 vcc, s28, v25
                                        ; implicit-def: $vgpr25
	s_and_saveexec_b64 s[24:25], vcc
	s_cbranch_execz .LBB333_51
; %bb.50:
	v_lshlrev_b32_e32 v25, 1, v0
	global_load_ushort v25, v25, s[14:15] offset:3072
.LBB333_51:
	s_or_b64 exec, exec, s[24:25]
	v_or_b32_e32 v26, 0x640, v0
	v_cmp_gt_u32_e32 vcc, s28, v26
                                        ; implicit-def: $vgpr26
	s_and_saveexec_b64 s[24:25], vcc
	s_cbranch_execz .LBB333_53
; %bb.52:
	v_lshlrev_b32_e32 v26, 1, v0
	global_load_ushort v26, v26, s[14:15] offset:3200
.LBB333_53:
	s_or_b64 exec, exec, s[24:25]
	v_or_b32_e32 v27, 0x680, v0
	v_cmp_gt_u32_e32 vcc, s28, v27
                                        ; implicit-def: $vgpr27
	s_and_saveexec_b64 s[24:25], vcc
	s_cbranch_execz .LBB333_55
; %bb.54:
	v_lshlrev_b32_e32 v27, 1, v0
	global_load_ushort v27, v27, s[14:15] offset:3328
.LBB333_55:
	s_or_b64 exec, exec, s[24:25]
	v_or_b32_e32 v28, 0x6c0, v0
	v_cmp_gt_u32_e32 vcc, s28, v28
                                        ; implicit-def: $vgpr28
	s_and_saveexec_b64 s[24:25], vcc
	s_cbranch_execz .LBB333_57
; %bb.56:
	v_lshlrev_b32_e32 v28, 1, v0
	global_load_ushort v28, v28, s[14:15] offset:3456
.LBB333_57:
	s_or_b64 exec, exec, s[24:25]
	v_or_b32_e32 v29, 0x700, v0
	v_cmp_gt_u32_e32 vcc, s28, v29
                                        ; implicit-def: $vgpr29
	s_and_saveexec_b64 s[24:25], vcc
	s_cbranch_execz .LBB333_59
; %bb.58:
	v_lshlrev_b32_e32 v29, 1, v0
	global_load_ushort v29, v29, s[14:15] offset:3584
.LBB333_59:
	s_or_b64 exec, exec, s[24:25]
	v_or_b32_e32 v30, 0x740, v0
	v_cmp_gt_u32_e32 vcc, s28, v30
                                        ; implicit-def: $vgpr30
	s_and_saveexec_b64 s[24:25], vcc
	s_cbranch_execz .LBB333_61
; %bb.60:
	v_lshlrev_b32_e32 v30, 1, v0
	global_load_ushort v30, v30, s[14:15] offset:3712
.LBB333_61:
	s_or_b64 exec, exec, s[24:25]
	v_or_b32_e32 v31, 0x780, v0
	v_cmp_gt_u32_e32 vcc, s28, v31
                                        ; implicit-def: $vgpr31
	s_and_saveexec_b64 s[24:25], vcc
	s_cbranch_execz .LBB333_63
; %bb.62:
	v_lshlrev_b32_e32 v31, 1, v0
	global_load_ushort v31, v31, s[14:15] offset:3840
.LBB333_63:
	s_or_b64 exec, exec, s[24:25]
	v_lshlrev_b32_e32 v32, 1, v0
	s_mov_b64 s[14:15], 0
	s_waitcnt vmcnt(0)
	ds_write_b16 v32, v1
	ds_write_b16 v32, v2 offset:128
	ds_write_b16 v32, v3 offset:256
	;; [unrolled: 1-line block ×30, first 2 shown]
	s_waitcnt lgkmcnt(0)
	; wave barrier
.LBB333_64:
	s_and_b64 vcc, exec, s[14:15]
	v_lshlrev_b32_e32 v14, 1, v0
	s_cbranch_vccz .LBB333_66
; %bb.65:
	s_mov_b32 s21, 0
	s_lshl_b64 s[14:15], s[20:21], 1
	s_add_u32 s14, s26, s14
	s_addc_u32 s15, s27, s15
	global_load_ushort v1, v14, s[14:15]
	global_load_ushort v2, v14, s[14:15] offset:128
	global_load_ushort v3, v14, s[14:15] offset:256
	;; [unrolled: 1-line block ×30, first 2 shown]
	s_waitcnt vmcnt(30)
	ds_write_b16 v14, v1
	s_waitcnt vmcnt(29)
	ds_write_b16 v14, v2 offset:128
	s_waitcnt vmcnt(28)
	ds_write_b16 v14, v3 offset:256
	;; [unrolled: 2-line block ×30, first 2 shown]
	s_waitcnt lgkmcnt(0)
	; wave barrier
.LBB333_66:
	v_mul_u32_u24_e32 v1, 31, v0
	v_lshlrev_b32_e32 v1, 1, v1
	s_waitcnt lgkmcnt(0)
	ds_read_b96 v[10:12], v1
	ds_read_b64 v[20:21], v1 offset:12
	ds_read_b96 v[6:8], v1 offset:20
	ds_read_b64 v[18:19], v1 offset:32
	ds_read_b96 v[2:4], v1 offset:40
	ds_read_b64 v[16:17], v1 offset:52
	ds_read_u16 v5, v1 offset:60
	s_waitcnt lgkmcnt(6)
	v_alignbit_b32 v13, v12, v11, 16
	v_alignbit_b32 v15, v11, v10, 16
	v_lshrrev_b32_e32 v12, 16, v12
	s_waitcnt lgkmcnt(4)
	v_alignbit_b32 v9, v8, v7, 16
	v_alignbit_b32 v11, v7, v6, 16
	v_lshrrev_b32_e32 v8, 16, v8
	;; [unrolled: 4-line block ×3, first 2 shown]
	s_cmp_eq_u64 s[10:11], 0
	s_waitcnt lgkmcnt(0)
	; wave barrier
	s_waitcnt lgkmcnt(0)
	s_cbranch_scc1 .LBB333_71
; %bb.67:
	s_lshl_b64 s[6:7], s[6:7], 1
	s_add_u32 s4, s4, s6
	s_addc_u32 s5, s5, s7
	s_lshl_b64 s[2:3], s[2:3], 1
	s_add_u32 s2, s4, s2
	s_addc_u32 s3, s5, s3
	v_mov_b32_e32 v1, 0
	global_load_ushort v40, v1, s[2:3] offset:-2
	s_cmp_eq_u64 s[10:11], s[12:13]
	s_cbranch_scc1 .LBB333_72
; %bb.68:
	v_cmp_ne_u32_e32 vcc, 0, v0
	s_waitcnt vmcnt(0)
	v_mov_b32_e32 v1, v40
	ds_write_b16 v14, v5
	s_waitcnt lgkmcnt(0)
	; wave barrier
	s_waitcnt lgkmcnt(0)
	s_and_saveexec_b64 s[2:3], vcc
	s_cbranch_execz .LBB333_70
; %bb.69:
	v_add_u32_e32 v1, -2, v14
	ds_read_u16 v1, v1
.LBB333_70:
	s_or_b64 exec, exec, s[2:3]
	s_mov_b32 s2, 0x5040100
	s_waitcnt lgkmcnt(0)
	v_sub_u16_e32 v1, v10, v1
	v_perm_b32 v25, v15, v10, s2
	v_alignbit_b32 v29, v13, v15, 16
	v_lshrrev_b32_e32 v28, 16, v13
	v_perm_b32 v30, v20, v12, s2
	v_alignbit_b32 v32, v21, v20, 16
	v_lshrrev_b32_e32 v26, 16, v21
	v_perm_b32 v31, v11, v6, s2
	v_alignbit_b32 v33, v9, v11, 16
	v_lshrrev_b32_e32 v27, 16, v9
	v_perm_b32 v34, v18, v8, s2
	v_alignbit_b32 v37, v19, v18, 16
	v_lshrrev_b32_e32 v24, 16, v19
	v_perm_b32 v35, v3, v2, s2
	v_alignbit_b32 v38, v7, v3, 16
	v_lshrrev_b32_e32 v23, 16, v7
	v_perm_b32 v36, v16, v4, s2
	v_alignbit_b32 v39, v17, v16, 16
	v_lshrrev_b32_e32 v22, 16, v17
	s_branch .LBB333_76
.LBB333_71:
                                        ; implicit-def: $vgpr39
                                        ; implicit-def: $vgpr36
                                        ; implicit-def: $vgpr38
                                        ; implicit-def: $vgpr35
                                        ; implicit-def: $vgpr37
                                        ; implicit-def: $vgpr34
                                        ; implicit-def: $vgpr33
                                        ; implicit-def: $vgpr31
                                        ; implicit-def: $vgpr32
                                        ; implicit-def: $vgpr30
                                        ; implicit-def: $vgpr29
                                        ; implicit-def: $vgpr25
                                        ; implicit-def: $vgpr1
                                        ; implicit-def: $vgpr28
                                        ; implicit-def: $vgpr26
                                        ; implicit-def: $vgpr27
                                        ; implicit-def: $vgpr24
                                        ; implicit-def: $vgpr23
                                        ; implicit-def: $vgpr22
	s_branch .LBB333_77
.LBB333_72:
                                        ; implicit-def: $vgpr39
                                        ; implicit-def: $vgpr36
                                        ; implicit-def: $vgpr38
                                        ; implicit-def: $vgpr35
                                        ; implicit-def: $vgpr37
                                        ; implicit-def: $vgpr34
                                        ; implicit-def: $vgpr33
                                        ; implicit-def: $vgpr31
                                        ; implicit-def: $vgpr32
                                        ; implicit-def: $vgpr30
                                        ; implicit-def: $vgpr29
                                        ; implicit-def: $vgpr25
                                        ; implicit-def: $vgpr1
                                        ; implicit-def: $vgpr28
                                        ; implicit-def: $vgpr26
                                        ; implicit-def: $vgpr27
                                        ; implicit-def: $vgpr24
                                        ; implicit-def: $vgpr23
                                        ; implicit-def: $vgpr22
	s_cbranch_execz .LBB333_76
; %bb.73:
	v_mul_u32_u24_e32 v1, 31, v0
	v_cmp_ne_u32_e32 vcc, 0, v0
	ds_write_b16 v14, v5
	s_waitcnt lgkmcnt(0)
	; wave barrier
	s_waitcnt lgkmcnt(0)
	s_and_saveexec_b64 s[2:3], vcc
	s_cbranch_execz .LBB333_75
; %bb.74:
	v_add_u32_e32 v22, -2, v14
	s_waitcnt vmcnt(0)
	ds_read_u16 v40, v22
.LBB333_75:
	s_or_b64 exec, exec, s[2:3]
	s_mul_i32 s2, s10, 0xfffff840
	s_add_i32 s2, s2, s18
	v_add_u32_e32 v22, 30, v1
	v_lshrrev_b32_e32 v23, 16, v17
	v_cmp_gt_u32_e32 vcc, s2, v22
	v_add_u32_e32 v24, 29, v1
	v_lshrrev_b32_e32 v27, 16, v16
	v_cndmask_b32_e32 v22, 0, v23, vcc
	v_add_u32_e32 v23, 28, v1
	v_cmp_gt_u32_e32 vcc, s2, v23
	v_add_u32_e32 v25, 26, v1
	v_add_u32_e32 v26, 27, v1
	v_cndmask_b32_e32 v39, 0, v27, vcc
	v_cmp_gt_u32_e32 vcc, s2, v24
	v_add_u32_e32 v23, 25, v1
	v_lshrrev_b32_e32 v24, 16, v7
	v_cndmask_b32_e32 v41, 0, v17, vcc
	v_cmp_gt_u32_e32 vcc, s2, v25
	v_add_u32_e32 v25, 24, v1
	v_lshrrev_b32_e32 v28, 16, v3
	v_cndmask_b32_e32 v36, 0, v4, vcc
	v_cmp_gt_u32_e32 vcc, s2, v26
	v_add_u32_e32 v26, 21, v1
	v_add_u32_e32 v27, 22, v1
	v_cndmask_b32_e32 v42, 0, v16, vcc
	v_cmp_gt_u32_e32 vcc, s2, v23
	v_lshrrev_b32_e32 v29, 16, v18
	v_lshrrev_b32_e32 v30, 16, v11
	v_cndmask_b32_e32 v23, 0, v24, vcc
	v_add_u32_e32 v24, 23, v1
	v_cmp_gt_u32_e32 vcc, s2, v24
	v_add_u32_e32 v24, 20, v1
	v_lshrrev_b32_e32 v32, 16, v20
	v_cndmask_b32_e32 v38, 0, v28, vcc
	v_cmp_gt_u32_e32 vcc, s2, v25
	v_lshrrev_b32_e32 v25, 16, v19
	v_add_u32_e32 v28, 17, v1
	v_cndmask_b32_e32 v43, 0, v7, vcc
	v_cmp_gt_u32_e32 vcc, s2, v26
	v_add_u32_e32 v26, 19, v1
	v_lshrrev_b32_e32 v53, 16, v15
	v_cndmask_b32_e32 v35, 0, v2, vcc
	v_cmp_gt_u32_e32 vcc, s2, v27
	v_add_u32_e32 v27, 16, v1
	v_add_u32_e32 v51, 1, v1
	v_cndmask_b32_e32 v44, 0, v3, vcc
	v_cmp_gt_u32_e32 vcc, s2, v24
	v_add_u32_e32 v52, 2, v1
	s_nop 0
	v_cndmask_b32_e32 v24, 0, v25, vcc
	v_add_u32_e32 v25, 18, v1
	v_cmp_gt_u32_e32 vcc, s2, v25
	v_add_u32_e32 v25, 15, v1
	s_nop 0
	v_cndmask_b32_e32 v37, 0, v29, vcc
	v_cmp_gt_u32_e32 vcc, s2, v26
	v_lshrrev_b32_e32 v26, 16, v9
	v_add_u32_e32 v29, 12, v1
	v_cndmask_b32_e32 v45, 0, v19, vcc
	v_cmp_gt_u32_e32 vcc, s2, v27
	s_nop 1
	v_cndmask_b32_e32 v34, 0, v8, vcc
	v_cmp_gt_u32_e32 vcc, s2, v28
	v_add_u32_e32 v28, 11, v1
	s_nop 0
	v_cndmask_b32_e32 v46, 0, v18, vcc
	v_cmp_gt_u32_e32 vcc, s2, v25
	v_add_u32_e32 v25, 13, v1
	s_nop 0
	v_cndmask_b32_e32 v27, 0, v26, vcc
	v_add_u32_e32 v26, 14, v1
	v_cmp_gt_u32_e32 vcc, s2, v25
	v_add_u32_e32 v25, 10, v1
	s_nop 0
	v_cndmask_b32_e32 v33, 0, v30, vcc
	v_cmp_gt_u32_e32 vcc, s2, v26
	v_lshrrev_b32_e32 v26, 16, v21
	v_add_u32_e32 v30, 7, v1
	v_cndmask_b32_e32 v47, 0, v9, vcc
	v_cmp_gt_u32_e32 vcc, s2, v28
	v_add_u32_e32 v28, 9, v1
	s_nop 0
	v_cndmask_b32_e32 v31, 0, v6, vcc
	v_cmp_gt_u32_e32 vcc, s2, v29
	v_add_u32_e32 v29, 6, v1
	s_nop 0
	;; [unrolled: 4-line block ×4, first 2 shown]
	v_cndmask_b32_e32 v32, 0, v32, vcc
	v_cmp_gt_u32_e32 vcc, s2, v28
	v_lshrrev_b32_e32 v28, 16, v13
	s_nop 0
	v_cndmask_b32_e32 v49, 0, v21, vcc
	v_cmp_gt_u32_e32 vcc, s2, v29
	v_add_u32_e32 v29, 4, v1
	s_nop 0
	v_cndmask_b32_e32 v50, 0, v12, vcc
	v_cmp_gt_u32_e32 vcc, s2, v30
	s_nop 1
	v_cndmask_b32_e32 v30, 0, v20, vcc
	v_cmp_gt_u32_e32 vcc, s2, v25
	v_add_u32_e32 v25, 3, v1
	s_nop 0
	v_cndmask_b32_e32 v28, 0, v28, vcc
	v_cmp_gt_u32_e32 vcc, s2, v25
	s_nop 1
	v_cndmask_b32_e32 v53, 0, v53, vcc
	v_cmp_gt_u32_e32 vcc, s2, v29
	;; [unrolled: 3-line block ×5, first 2 shown]
	s_mov_b32 s2, 0x5040100
	v_perm_b32 v25, v51, v25, s2
	s_waitcnt vmcnt(0) lgkmcnt(0)
	v_cndmask_b32_e32 v1, 0, v40, vcc
	v_sub_u16_e32 v1, v10, v1
	v_perm_b32 v29, v29, v53, s2
	v_perm_b32 v30, v30, v50, s2
	v_perm_b32 v32, v49, v32, s2
	v_perm_b32 v31, v48, v31, s2
	v_perm_b32 v33, v47, v33, s2
	v_perm_b32 v34, v46, v34, s2
	v_perm_b32 v37, v45, v37, s2
	v_perm_b32 v35, v44, v35, s2
	v_perm_b32 v38, v43, v38, s2
	v_perm_b32 v36, v42, v36, s2
	v_perm_b32 v39, v41, v39, s2
.LBB333_76:
	s_cbranch_execnz .LBB333_85
.LBB333_77:
	s_cmp_eq_u64 s[8:9], 1
	v_cmp_ne_u32_e32 vcc, 0, v0
	s_cbranch_scc1 .LBB333_81
; %bb.78:
	s_mov_b32 s4, 0x5040100
	v_mov_b32_e32 v1, v10
	ds_write_b16 v14, v5
	s_waitcnt lgkmcnt(0)
	; wave barrier
	s_waitcnt lgkmcnt(0)
	s_and_saveexec_b64 s[2:3], vcc
	s_cbranch_execz .LBB333_80
; %bb.79:
	v_add_u32_e32 v1, -2, v14
	ds_read_u16 v1, v1
	s_waitcnt lgkmcnt(0)
	v_sub_u16_e32 v1, v10, v1
.LBB333_80:
	s_or_b64 exec, exec, s[2:3]
	v_perm_b32 v25, v15, v10, s4
	v_alignbit_b32 v29, v13, v15, 16
	v_lshrrev_b32_e32 v28, 16, v13
	v_perm_b32 v30, v20, v12, s4
	v_alignbit_b32 v32, v21, v20, 16
	v_lshrrev_b32_e32 v26, 16, v21
	v_perm_b32 v31, v11, v6, s4
	v_alignbit_b32 v33, v9, v11, 16
	v_lshrrev_b32_e32 v27, 16, v9
	v_perm_b32 v34, v18, v8, s4
	v_alignbit_b32 v37, v19, v18, 16
	v_lshrrev_b32_e32 v24, 16, v19
	v_perm_b32 v35, v3, v2, s4
	v_alignbit_b32 v38, v7, v3, 16
	v_lshrrev_b32_e32 v23, 16, v7
	v_perm_b32 v36, v16, v4, s4
	v_alignbit_b32 v39, v17, v16, 16
	v_lshrrev_b32_e32 v22, 16, v17
	s_cbranch_execz .LBB333_82
	s_branch .LBB333_85
.LBB333_81:
                                        ; implicit-def: $vgpr39
                                        ; implicit-def: $vgpr36
                                        ; implicit-def: $vgpr38
                                        ; implicit-def: $vgpr35
                                        ; implicit-def: $vgpr37
                                        ; implicit-def: $vgpr34
                                        ; implicit-def: $vgpr33
                                        ; implicit-def: $vgpr31
                                        ; implicit-def: $vgpr32
                                        ; implicit-def: $vgpr30
                                        ; implicit-def: $vgpr29
                                        ; implicit-def: $vgpr25
                                        ; implicit-def: $vgpr1
                                        ; implicit-def: $vgpr28
                                        ; implicit-def: $vgpr26
                                        ; implicit-def: $vgpr27
                                        ; implicit-def: $vgpr24
                                        ; implicit-def: $vgpr23
                                        ; implicit-def: $vgpr22
.LBB333_82:
	v_mad_u32_u24 v1, v0, 31, 30
	v_cmp_gt_u32_e32 vcc, s18, v1
	v_mad_u32_u24 v1, v0, 31, 29
	v_mad_u32_u24 v23, v0, 31, 28
	v_cmp_gt_u32_e64 s[2:3], s18, v1
	v_mad_u32_u24 v24, v0, 31, 26
	v_lshrrev_b32_e32 v26, 16, v16
	v_cndmask_b32_e64 v1, 0, v17, s[2:3]
	v_cmp_gt_u32_e64 s[2:3], s18, v23
	v_mad_u32_u24 v25, v0, 31, 27
	v_lshrrev_b32_e32 v29, 16, v3
	v_cndmask_b32_e64 v39, 0, v26, s[2:3]
	v_cmp_gt_u32_e64 s[2:3], s18, v24
	v_mad_u32_u24 v24, v0, 31, 24
	v_cmp_gt_u32_e64 s[4:5], s18, v24
	v_cndmask_b32_e64 v36, 0, v4, s[2:3]
	v_cmp_gt_u32_e64 s[2:3], s18, v25
	v_mad_u32_u24 v25, v0, 31, 23
	v_mad_u32_u24 v26, v0, 31, 21
	v_cndmask_b32_e64 v38, 0, v7, s[4:5]
	v_cmp_gt_u32_e64 s[4:5], s18, v25
	v_mad_u32_u24 v25, v0, 31, 19
	v_mad_u32_u24 v28, v0, 31, 22
	v_cndmask_b32_e64 v41, 0, v29, s[4:5]
	v_cmp_gt_u32_e64 s[4:5], s18, v26
	v_mad_u32_u24 v26, v0, 31, 18
	v_cmp_gt_u32_e64 s[6:7], s18, v25
	v_cndmask_b32_e64 v35, 0, v2, s[4:5]
	v_cmp_gt_u32_e64 s[4:5], s18, v28
	v_mad_u32_u24 v28, v0, 31, 16
	v_lshrrev_b32_e32 v30, 16, v18
	v_cndmask_b32_e64 v37, 0, v19, s[6:7]
	v_cmp_gt_u32_e64 s[6:7], s18, v26
	v_mad_u32_u24 v26, v0, 31, 14
	v_mad_u32_u24 v29, v0, 31, 17
	v_cndmask_b32_e64 v43, 0, v30, s[6:7]
	v_cmp_gt_u32_e64 s[6:7], s18, v28
	v_mad_u32_u24 v28, v0, 31, 13
	v_cmp_gt_u32_e64 s[8:9], s18, v26
	v_cndmask_b32_e64 v34, 0, v8, s[6:7]
	v_cmp_gt_u32_e64 s[6:7], s18, v29
	v_mad_u32_u24 v29, v0, 31, 11
	v_lshrrev_b32_e32 v31, 16, v11
	v_cndmask_b32_e64 v33, 0, v9, s[8:9]
	v_cmp_gt_u32_e64 s[8:9], s18, v28
	v_mad_u32_u24 v28, v0, 31, 9
	v_cmp_gt_u32_e64 s[10:11], s18, v28
	v_cndmask_b32_e64 v45, 0, v31, s[8:9]
	v_cmp_gt_u32_e64 s[8:9], s18, v29
	v_mad_u32_u24 v29, v0, 31, 8
	v_cndmask_b32_e64 v32, 0, v21, s[10:11]
	v_cmp_gt_u32_e64 s[10:11], s18, v29
	v_mad_u32_u24 v29, v0, 31, 4
	v_mad_u32_u24 v49, v0, 31, 3
	v_cmp_gt_u32_e64 s[12:13], s18, v29
	v_mad_u32_u24 v30, v0, 31, 12
	v_mad_u32_u24 v50, v0, 31, 1
	v_lshrrev_b32_e32 v52, 16, v15
	v_cndmask_b32_e64 v29, 0, v13, s[12:13]
	v_cmp_gt_u32_e64 s[12:13], s18, v49
	v_cndmask_b32_e64 v31, 0, v6, s[8:9]
	v_cmp_gt_u32_e64 s[8:9], s18, v30
	v_mad_u32_u24 v30, v0, 31, 6
	v_lshrrev_b32_e32 v47, 16, v20
	v_mad_u32_u24 v51, v0, 31, 2
	v_cndmask_b32_e64 v49, 0, v52, s[12:13]
	v_cmp_gt_u32_e64 s[12:13], s18, v50
	v_mul_u32_u24_e32 v27, 31, v0
	v_mad_u32_u24 v48, v0, 31, 7
	v_cndmask_b32_e64 v47, 0, v47, s[10:11]
	v_cmp_gt_u32_e64 s[10:11], s18, v30
	v_cndmask_b32_e64 v50, 0, v10, s[12:13]
	v_cmp_gt_u32_e64 s[12:13], s18, v51
	v_mad_u32_u24 v23, v0, 31, 25
	v_mad_u32_u24 v24, v0, 31, 20
	;; [unrolled: 1-line block ×4, first 2 shown]
	v_cndmask_b32_e64 v30, 0, v12, s[10:11]
	v_cmp_gt_u32_e64 s[10:11], s18, v48
	v_mad_u32_u24 v28, v0, 31, 5
	v_cndmask_b32_e64 v51, 0, v15, s[12:13]
	v_cmp_ne_u32_e64 s[12:13], 0, v0
	v_cmp_gt_u32_e64 s[14:15], s18, v27
	v_lshrrev_b32_e32 v22, 16, v17
	s_waitcnt vmcnt(0)
	v_cndmask_b32_e64 v40, 0, v16, s[2:3]
	v_cmp_gt_u32_e64 s[2:3], s18, v23
	v_lshrrev_b32_e32 v23, 16, v7
	v_cndmask_b32_e64 v42, 0, v3, s[4:5]
	v_cmp_gt_u32_e64 s[4:5], s18, v24
	v_lshrrev_b32_e32 v24, 16, v19
	;; [unrolled: 3-line block ×5, first 2 shown]
	s_and_b64 s[24:25], s[12:13], s[14:15]
	s_mov_b32 s14, 0x5040100
	ds_write_b16 v14, v5
	s_waitcnt lgkmcnt(0)
	; wave barrier
	s_waitcnt lgkmcnt(0)
	s_and_saveexec_b64 s[12:13], s[24:25]
	s_cbranch_execz .LBB333_84
; %bb.83:
	v_add_u32_e32 v27, -2, v14
	ds_read_u16 v27, v27
	s_waitcnt lgkmcnt(0)
	v_sub_u16_e32 v10, v10, v27
.LBB333_84:
	s_or_b64 exec, exec, s[12:13]
	v_cndmask_b32_e32 v22, 0, v22, vcc
	v_cndmask_b32_e64 v23, 0, v23, s[2:3]
	v_cndmask_b32_e64 v24, 0, v24, s[4:5]
	;; [unrolled: 1-line block ×5, first 2 shown]
	v_perm_b32 v25, v51, v50, s14
	v_perm_b32 v29, v29, v49, s14
	;; [unrolled: 1-line block ×12, first 2 shown]
	v_mov_b32_e32 v1, v10
.LBB333_85:
	s_add_u32 s4, s16, s22
	v_pk_sub_i16 v10, v13, v29
	v_pk_sub_i16 v25, v15, v25
	v_sub_u16_e32 v12, v12, v28
	v_sub_u16_e32 v13, v6, v26
	v_pk_sub_i16 v6, v9, v33
	v_pk_sub_i16 v26, v11, v31
	v_sub_u16_e32 v8, v8, v27
	v_sub_u16_e32 v9, v2, v24
	v_pk_sub_i16 v2, v7, v38
	v_pk_sub_i16 v24, v3, v35
	v_sub_u16_e32 v3, v4, v23
	s_addc_u32 s5, s17, s23
	v_pk_sub_i16 v21, v21, v32
	v_pk_sub_i16 v20, v20, v30
	;; [unrolled: 1-line block ×6, first 2 shown]
	v_sub_u16_e32 v5, v5, v22
	s_and_b64 vcc, exec, s[0:1]
	v_mul_u32_u24_e32 v27, 62, v0
	v_alignbit_b32 v12, v12, v10, 16
	v_alignbit_b32 v11, v10, v25, 16
	;; [unrolled: 1-line block ×6, first 2 shown]
	s_waitcnt lgkmcnt(0)
	; wave barrier
	s_cbranch_vccz .LBB333_147
; %bb.86:
	s_mov_b32 s2, 0x5040100
	v_perm_b32 v10, v25, v1, s2
	v_perm_b32 v6, v26, v13, s2
	;; [unrolled: 1-line block ×3, first 2 shown]
	v_mul_i32_i24_e32 v55, 0xffffffc4, v0
	ds_write_b96 v27, v[10:12]
	ds_write_b64 v27, v[20:21] offset:12
	ds_write_b96 v27, v[6:8] offset:20
	ds_write_b64 v27, v[18:19] offset:32
	ds_write_b96 v27, v[2:4] offset:40
	ds_write_b64 v27, v[16:17] offset:52
	ds_write_b16 v27, v5 offset:60
	v_mad_u32_u24 v2, v0, 62, v55
	s_waitcnt lgkmcnt(0)
	; wave barrier
	s_waitcnt lgkmcnt(0)
	ds_read_u16 v54, v2 offset:128
	ds_read_u16 v53, v2 offset:256
	;; [unrolled: 1-line block ×14, first 2 shown]
	s_waitcnt vmcnt(0)
	ds_read_u16 v40, v2 offset:1920
	ds_read_u16 v39, v2 offset:2048
	;; [unrolled: 1-line block ×16, first 2 shown]
	s_mov_b32 s21, 0
	s_add_i32 s19, s19, s18
	s_lshl_b64 s[0:1], s[20:21], 1
	s_add_u32 s0, s4, s0
	s_addc_u32 s1, s5, s1
	v_mov_b32_e32 v15, 0
	v_lshl_add_u64 v[22:23], s[0:1], 0, v[14:15]
	v_cmp_gt_u32_e32 vcc, s19, v0
	s_and_saveexec_b64 s[0:1], vcc
	s_cbranch_execz .LBB333_88
; %bb.87:
	v_add_u32_e32 v15, v27, v55
	ds_read_u16 v15, v15
	s_waitcnt lgkmcnt(0)
	global_store_short v[22:23], v15, off
.LBB333_88:
	s_or_b64 exec, exec, s[0:1]
	v_or_b32_e32 v15, 64, v0
	v_cmp_gt_u32_e32 vcc, s19, v15
	s_and_saveexec_b64 s[0:1], vcc
	s_cbranch_execz .LBB333_90
; %bb.89:
	s_waitcnt lgkmcnt(14)
	global_store_short v[22:23], v54, off offset:128
.LBB333_90:
	s_or_b64 exec, exec, s[0:1]
	v_or_b32_e32 v15, 0x80, v0
	v_cmp_gt_u32_e32 vcc, s19, v15
	s_and_saveexec_b64 s[0:1], vcc
	s_cbranch_execz .LBB333_92
; %bb.91:
	s_waitcnt lgkmcnt(14)
	global_store_short v[22:23], v53, off offset:256
.LBB333_92:
	;; [unrolled: 9-line block ×28, first 2 shown]
	s_or_b64 exec, exec, s[0:1]
	s_waitcnt lgkmcnt(2)
	v_or_b32_e32 v10, 0x740, v0
	v_cmp_gt_u32_e32 vcc, s19, v10
	s_and_saveexec_b64 s[0:1], vcc
	s_cbranch_execz .LBB333_146
; %bb.145:
	s_waitcnt lgkmcnt(1)
	global_store_short v[22:23], v6, off offset:3712
.LBB333_146:
	s_or_b64 exec, exec, s[0:1]
	s_waitcnt lgkmcnt(1)
	v_or_b32_e32 v6, 0x780, v0
	v_cmp_gt_u32_e64 s[0:1], s19, v6
	s_branch .LBB333_149
.LBB333_147:
	s_mov_b64 s[0:1], 0
                                        ; implicit-def: $vgpr2
                                        ; implicit-def: $vgpr22_vgpr23
	s_cbranch_execz .LBB333_149
; %bb.148:
	s_mov_b32 s21, 0
	s_lshl_b64 s[2:3], s[20:21], 1
	s_add_u32 s2, s4, s2
	s_mov_b32 s4, 0x5040100
	v_perm_b32 v10, v25, v1, s4
	v_mul_i32_i24_e32 v1, 0xffffffc4, v0
	v_perm_b32 v6, v26, v13, s4
	s_waitcnt lgkmcnt(0)
	v_perm_b32 v2, v24, v9, s4
	v_mad_u32_u24 v0, v0, 62, v1
	ds_write_b96 v27, v[10:12]
	ds_write_b64 v27, v[20:21] offset:12
	ds_write_b96 v27, v[6:8] offset:20
	ds_write_b64 v27, v[18:19] offset:32
	ds_write_b96 v27, v[2:4] offset:40
	ds_write_b64 v27, v[16:17] offset:52
	ds_write_b16 v27, v5 offset:60
	s_waitcnt lgkmcnt(0)
	; wave barrier
	s_waitcnt lgkmcnt(0)
	ds_read_u16 v1, v0
	ds_read_u16 v3, v0 offset:128
	ds_read_u16 v4, v0 offset:256
	;; [unrolled: 1-line block ×30, first 2 shown]
	s_addc_u32 s3, s5, s3
	v_mov_b32_e32 v15, 0
	v_lshl_add_u64 v[22:23], s[2:3], 0, v[14:15]
	s_or_b64 s[0:1], s[0:1], exec
	s_waitcnt lgkmcnt(14)
	global_store_short v14, v1, s[2:3]
	global_store_short v14, v3, s[2:3] offset:128
	global_store_short v14, v4, s[2:3] offset:256
	;; [unrolled: 1-line block ×16, first 2 shown]
	s_waitcnt lgkmcnt(13)
	global_store_short v14, v21, s[2:3] offset:2176
	s_waitcnt lgkmcnt(12)
	global_store_short v14, v24, s[2:3] offset:2304
	;; [unrolled: 2-line block ×13, first 2 shown]
.LBB333_149:
	s_and_saveexec_b64 s[2:3], s[0:1]
	s_cbranch_execnz .LBB333_151
; %bb.150:
	s_endpgm
.LBB333_151:
	s_waitcnt lgkmcnt(0)
	global_store_short v[22:23], v2, off offset:3840
	s_endpgm
	.section	.rodata,"a",@progbits
	.p2align	6, 0x0
	.amdhsa_kernel _ZN7rocprim17ROCPRIM_400000_NS6detail17trampoline_kernelINS0_14default_configENS1_35adjacent_difference_config_selectorILb1EtEEZNS1_24adjacent_difference_implIS3_Lb1ELb0EPtS7_N6thrust23THRUST_200600_302600_NS5minusItEEEE10hipError_tPvRmT2_T3_mT4_P12ihipStream_tbEUlT_E_NS1_11comp_targetILNS1_3genE5ELNS1_11target_archE942ELNS1_3gpuE9ELNS1_3repE0EEENS1_30default_config_static_selectorELNS0_4arch9wavefront6targetE1EEEvT1_
		.amdhsa_group_segment_fixed_size 3968
		.amdhsa_private_segment_fixed_size 0
		.amdhsa_kernarg_size 56
		.amdhsa_user_sgpr_count 2
		.amdhsa_user_sgpr_dispatch_ptr 0
		.amdhsa_user_sgpr_queue_ptr 0
		.amdhsa_user_sgpr_kernarg_segment_ptr 1
		.amdhsa_user_sgpr_dispatch_id 0
		.amdhsa_user_sgpr_kernarg_preload_length 0
		.amdhsa_user_sgpr_kernarg_preload_offset 0
		.amdhsa_user_sgpr_private_segment_size 0
		.amdhsa_uses_dynamic_stack 0
		.amdhsa_enable_private_segment 0
		.amdhsa_system_sgpr_workgroup_id_x 1
		.amdhsa_system_sgpr_workgroup_id_y 0
		.amdhsa_system_sgpr_workgroup_id_z 0
		.amdhsa_system_sgpr_workgroup_info 0
		.amdhsa_system_vgpr_workitem_id 0
		.amdhsa_next_free_vgpr 56
		.amdhsa_next_free_sgpr 29
		.amdhsa_accum_offset 56
		.amdhsa_reserve_vcc 1
		.amdhsa_float_round_mode_32 0
		.amdhsa_float_round_mode_16_64 0
		.amdhsa_float_denorm_mode_32 3
		.amdhsa_float_denorm_mode_16_64 3
		.amdhsa_dx10_clamp 1
		.amdhsa_ieee_mode 1
		.amdhsa_fp16_overflow 0
		.amdhsa_tg_split 0
		.amdhsa_exception_fp_ieee_invalid_op 0
		.amdhsa_exception_fp_denorm_src 0
		.amdhsa_exception_fp_ieee_div_zero 0
		.amdhsa_exception_fp_ieee_overflow 0
		.amdhsa_exception_fp_ieee_underflow 0
		.amdhsa_exception_fp_ieee_inexact 0
		.amdhsa_exception_int_div_zero 0
	.end_amdhsa_kernel
	.section	.text._ZN7rocprim17ROCPRIM_400000_NS6detail17trampoline_kernelINS0_14default_configENS1_35adjacent_difference_config_selectorILb1EtEEZNS1_24adjacent_difference_implIS3_Lb1ELb0EPtS7_N6thrust23THRUST_200600_302600_NS5minusItEEEE10hipError_tPvRmT2_T3_mT4_P12ihipStream_tbEUlT_E_NS1_11comp_targetILNS1_3genE5ELNS1_11target_archE942ELNS1_3gpuE9ELNS1_3repE0EEENS1_30default_config_static_selectorELNS0_4arch9wavefront6targetE1EEEvT1_,"axG",@progbits,_ZN7rocprim17ROCPRIM_400000_NS6detail17trampoline_kernelINS0_14default_configENS1_35adjacent_difference_config_selectorILb1EtEEZNS1_24adjacent_difference_implIS3_Lb1ELb0EPtS7_N6thrust23THRUST_200600_302600_NS5minusItEEEE10hipError_tPvRmT2_T3_mT4_P12ihipStream_tbEUlT_E_NS1_11comp_targetILNS1_3genE5ELNS1_11target_archE942ELNS1_3gpuE9ELNS1_3repE0EEENS1_30default_config_static_selectorELNS0_4arch9wavefront6targetE1EEEvT1_,comdat
.Lfunc_end333:
	.size	_ZN7rocprim17ROCPRIM_400000_NS6detail17trampoline_kernelINS0_14default_configENS1_35adjacent_difference_config_selectorILb1EtEEZNS1_24adjacent_difference_implIS3_Lb1ELb0EPtS7_N6thrust23THRUST_200600_302600_NS5minusItEEEE10hipError_tPvRmT2_T3_mT4_P12ihipStream_tbEUlT_E_NS1_11comp_targetILNS1_3genE5ELNS1_11target_archE942ELNS1_3gpuE9ELNS1_3repE0EEENS1_30default_config_static_selectorELNS0_4arch9wavefront6targetE1EEEvT1_, .Lfunc_end333-_ZN7rocprim17ROCPRIM_400000_NS6detail17trampoline_kernelINS0_14default_configENS1_35adjacent_difference_config_selectorILb1EtEEZNS1_24adjacent_difference_implIS3_Lb1ELb0EPtS7_N6thrust23THRUST_200600_302600_NS5minusItEEEE10hipError_tPvRmT2_T3_mT4_P12ihipStream_tbEUlT_E_NS1_11comp_targetILNS1_3genE5ELNS1_11target_archE942ELNS1_3gpuE9ELNS1_3repE0EEENS1_30default_config_static_selectorELNS0_4arch9wavefront6targetE1EEEvT1_
                                        ; -- End function
	.section	.AMDGPU.csdata,"",@progbits
; Kernel info:
; codeLenInByte = 7168
; NumSgprs: 35
; NumVgprs: 56
; NumAgprs: 0
; TotalNumVgprs: 56
; ScratchSize: 0
; MemoryBound: 0
; FloatMode: 240
; IeeeMode: 1
; LDSByteSize: 3968 bytes/workgroup (compile time only)
; SGPRBlocks: 4
; VGPRBlocks: 6
; NumSGPRsForWavesPerEU: 35
; NumVGPRsForWavesPerEU: 56
; AccumOffset: 56
; Occupancy: 4
; WaveLimiterHint : 1
; COMPUTE_PGM_RSRC2:SCRATCH_EN: 0
; COMPUTE_PGM_RSRC2:USER_SGPR: 2
; COMPUTE_PGM_RSRC2:TRAP_HANDLER: 0
; COMPUTE_PGM_RSRC2:TGID_X_EN: 1
; COMPUTE_PGM_RSRC2:TGID_Y_EN: 0
; COMPUTE_PGM_RSRC2:TGID_Z_EN: 0
; COMPUTE_PGM_RSRC2:TIDIG_COMP_CNT: 0
; COMPUTE_PGM_RSRC3_GFX90A:ACCUM_OFFSET: 13
; COMPUTE_PGM_RSRC3_GFX90A:TG_SPLIT: 0
	.section	.text._ZN7rocprim17ROCPRIM_400000_NS6detail17trampoline_kernelINS0_14default_configENS1_35adjacent_difference_config_selectorILb1EtEEZNS1_24adjacent_difference_implIS3_Lb1ELb0EPtS7_N6thrust23THRUST_200600_302600_NS5minusItEEEE10hipError_tPvRmT2_T3_mT4_P12ihipStream_tbEUlT_E_NS1_11comp_targetILNS1_3genE4ELNS1_11target_archE910ELNS1_3gpuE8ELNS1_3repE0EEENS1_30default_config_static_selectorELNS0_4arch9wavefront6targetE1EEEvT1_,"axG",@progbits,_ZN7rocprim17ROCPRIM_400000_NS6detail17trampoline_kernelINS0_14default_configENS1_35adjacent_difference_config_selectorILb1EtEEZNS1_24adjacent_difference_implIS3_Lb1ELb0EPtS7_N6thrust23THRUST_200600_302600_NS5minusItEEEE10hipError_tPvRmT2_T3_mT4_P12ihipStream_tbEUlT_E_NS1_11comp_targetILNS1_3genE4ELNS1_11target_archE910ELNS1_3gpuE8ELNS1_3repE0EEENS1_30default_config_static_selectorELNS0_4arch9wavefront6targetE1EEEvT1_,comdat
	.protected	_ZN7rocprim17ROCPRIM_400000_NS6detail17trampoline_kernelINS0_14default_configENS1_35adjacent_difference_config_selectorILb1EtEEZNS1_24adjacent_difference_implIS3_Lb1ELb0EPtS7_N6thrust23THRUST_200600_302600_NS5minusItEEEE10hipError_tPvRmT2_T3_mT4_P12ihipStream_tbEUlT_E_NS1_11comp_targetILNS1_3genE4ELNS1_11target_archE910ELNS1_3gpuE8ELNS1_3repE0EEENS1_30default_config_static_selectorELNS0_4arch9wavefront6targetE1EEEvT1_ ; -- Begin function _ZN7rocprim17ROCPRIM_400000_NS6detail17trampoline_kernelINS0_14default_configENS1_35adjacent_difference_config_selectorILb1EtEEZNS1_24adjacent_difference_implIS3_Lb1ELb0EPtS7_N6thrust23THRUST_200600_302600_NS5minusItEEEE10hipError_tPvRmT2_T3_mT4_P12ihipStream_tbEUlT_E_NS1_11comp_targetILNS1_3genE4ELNS1_11target_archE910ELNS1_3gpuE8ELNS1_3repE0EEENS1_30default_config_static_selectorELNS0_4arch9wavefront6targetE1EEEvT1_
	.globl	_ZN7rocprim17ROCPRIM_400000_NS6detail17trampoline_kernelINS0_14default_configENS1_35adjacent_difference_config_selectorILb1EtEEZNS1_24adjacent_difference_implIS3_Lb1ELb0EPtS7_N6thrust23THRUST_200600_302600_NS5minusItEEEE10hipError_tPvRmT2_T3_mT4_P12ihipStream_tbEUlT_E_NS1_11comp_targetILNS1_3genE4ELNS1_11target_archE910ELNS1_3gpuE8ELNS1_3repE0EEENS1_30default_config_static_selectorELNS0_4arch9wavefront6targetE1EEEvT1_
	.p2align	8
	.type	_ZN7rocprim17ROCPRIM_400000_NS6detail17trampoline_kernelINS0_14default_configENS1_35adjacent_difference_config_selectorILb1EtEEZNS1_24adjacent_difference_implIS3_Lb1ELb0EPtS7_N6thrust23THRUST_200600_302600_NS5minusItEEEE10hipError_tPvRmT2_T3_mT4_P12ihipStream_tbEUlT_E_NS1_11comp_targetILNS1_3genE4ELNS1_11target_archE910ELNS1_3gpuE8ELNS1_3repE0EEENS1_30default_config_static_selectorELNS0_4arch9wavefront6targetE1EEEvT1_,@function
_ZN7rocprim17ROCPRIM_400000_NS6detail17trampoline_kernelINS0_14default_configENS1_35adjacent_difference_config_selectorILb1EtEEZNS1_24adjacent_difference_implIS3_Lb1ELb0EPtS7_N6thrust23THRUST_200600_302600_NS5minusItEEEE10hipError_tPvRmT2_T3_mT4_P12ihipStream_tbEUlT_E_NS1_11comp_targetILNS1_3genE4ELNS1_11target_archE910ELNS1_3gpuE8ELNS1_3repE0EEENS1_30default_config_static_selectorELNS0_4arch9wavefront6targetE1EEEvT1_: ; @_ZN7rocprim17ROCPRIM_400000_NS6detail17trampoline_kernelINS0_14default_configENS1_35adjacent_difference_config_selectorILb1EtEEZNS1_24adjacent_difference_implIS3_Lb1ELb0EPtS7_N6thrust23THRUST_200600_302600_NS5minusItEEEE10hipError_tPvRmT2_T3_mT4_P12ihipStream_tbEUlT_E_NS1_11comp_targetILNS1_3genE4ELNS1_11target_archE910ELNS1_3gpuE8ELNS1_3repE0EEENS1_30default_config_static_selectorELNS0_4arch9wavefront6targetE1EEEvT1_
; %bb.0:
	.section	.rodata,"a",@progbits
	.p2align	6, 0x0
	.amdhsa_kernel _ZN7rocprim17ROCPRIM_400000_NS6detail17trampoline_kernelINS0_14default_configENS1_35adjacent_difference_config_selectorILb1EtEEZNS1_24adjacent_difference_implIS3_Lb1ELb0EPtS7_N6thrust23THRUST_200600_302600_NS5minusItEEEE10hipError_tPvRmT2_T3_mT4_P12ihipStream_tbEUlT_E_NS1_11comp_targetILNS1_3genE4ELNS1_11target_archE910ELNS1_3gpuE8ELNS1_3repE0EEENS1_30default_config_static_selectorELNS0_4arch9wavefront6targetE1EEEvT1_
		.amdhsa_group_segment_fixed_size 0
		.amdhsa_private_segment_fixed_size 0
		.amdhsa_kernarg_size 56
		.amdhsa_user_sgpr_count 2
		.amdhsa_user_sgpr_dispatch_ptr 0
		.amdhsa_user_sgpr_queue_ptr 0
		.amdhsa_user_sgpr_kernarg_segment_ptr 1
		.amdhsa_user_sgpr_dispatch_id 0
		.amdhsa_user_sgpr_kernarg_preload_length 0
		.amdhsa_user_sgpr_kernarg_preload_offset 0
		.amdhsa_user_sgpr_private_segment_size 0
		.amdhsa_uses_dynamic_stack 0
		.amdhsa_enable_private_segment 0
		.amdhsa_system_sgpr_workgroup_id_x 1
		.amdhsa_system_sgpr_workgroup_id_y 0
		.amdhsa_system_sgpr_workgroup_id_z 0
		.amdhsa_system_sgpr_workgroup_info 0
		.amdhsa_system_vgpr_workitem_id 0
		.amdhsa_next_free_vgpr 1
		.amdhsa_next_free_sgpr 0
		.amdhsa_accum_offset 4
		.amdhsa_reserve_vcc 0
		.amdhsa_float_round_mode_32 0
		.amdhsa_float_round_mode_16_64 0
		.amdhsa_float_denorm_mode_32 3
		.amdhsa_float_denorm_mode_16_64 3
		.amdhsa_dx10_clamp 1
		.amdhsa_ieee_mode 1
		.amdhsa_fp16_overflow 0
		.amdhsa_tg_split 0
		.amdhsa_exception_fp_ieee_invalid_op 0
		.amdhsa_exception_fp_denorm_src 0
		.amdhsa_exception_fp_ieee_div_zero 0
		.amdhsa_exception_fp_ieee_overflow 0
		.amdhsa_exception_fp_ieee_underflow 0
		.amdhsa_exception_fp_ieee_inexact 0
		.amdhsa_exception_int_div_zero 0
	.end_amdhsa_kernel
	.section	.text._ZN7rocprim17ROCPRIM_400000_NS6detail17trampoline_kernelINS0_14default_configENS1_35adjacent_difference_config_selectorILb1EtEEZNS1_24adjacent_difference_implIS3_Lb1ELb0EPtS7_N6thrust23THRUST_200600_302600_NS5minusItEEEE10hipError_tPvRmT2_T3_mT4_P12ihipStream_tbEUlT_E_NS1_11comp_targetILNS1_3genE4ELNS1_11target_archE910ELNS1_3gpuE8ELNS1_3repE0EEENS1_30default_config_static_selectorELNS0_4arch9wavefront6targetE1EEEvT1_,"axG",@progbits,_ZN7rocprim17ROCPRIM_400000_NS6detail17trampoline_kernelINS0_14default_configENS1_35adjacent_difference_config_selectorILb1EtEEZNS1_24adjacent_difference_implIS3_Lb1ELb0EPtS7_N6thrust23THRUST_200600_302600_NS5minusItEEEE10hipError_tPvRmT2_T3_mT4_P12ihipStream_tbEUlT_E_NS1_11comp_targetILNS1_3genE4ELNS1_11target_archE910ELNS1_3gpuE8ELNS1_3repE0EEENS1_30default_config_static_selectorELNS0_4arch9wavefront6targetE1EEEvT1_,comdat
.Lfunc_end334:
	.size	_ZN7rocprim17ROCPRIM_400000_NS6detail17trampoline_kernelINS0_14default_configENS1_35adjacent_difference_config_selectorILb1EtEEZNS1_24adjacent_difference_implIS3_Lb1ELb0EPtS7_N6thrust23THRUST_200600_302600_NS5minusItEEEE10hipError_tPvRmT2_T3_mT4_P12ihipStream_tbEUlT_E_NS1_11comp_targetILNS1_3genE4ELNS1_11target_archE910ELNS1_3gpuE8ELNS1_3repE0EEENS1_30default_config_static_selectorELNS0_4arch9wavefront6targetE1EEEvT1_, .Lfunc_end334-_ZN7rocprim17ROCPRIM_400000_NS6detail17trampoline_kernelINS0_14default_configENS1_35adjacent_difference_config_selectorILb1EtEEZNS1_24adjacent_difference_implIS3_Lb1ELb0EPtS7_N6thrust23THRUST_200600_302600_NS5minusItEEEE10hipError_tPvRmT2_T3_mT4_P12ihipStream_tbEUlT_E_NS1_11comp_targetILNS1_3genE4ELNS1_11target_archE910ELNS1_3gpuE8ELNS1_3repE0EEENS1_30default_config_static_selectorELNS0_4arch9wavefront6targetE1EEEvT1_
                                        ; -- End function
	.section	.AMDGPU.csdata,"",@progbits
; Kernel info:
; codeLenInByte = 0
; NumSgprs: 6
; NumVgprs: 0
; NumAgprs: 0
; TotalNumVgprs: 0
; ScratchSize: 0
; MemoryBound: 0
; FloatMode: 240
; IeeeMode: 1
; LDSByteSize: 0 bytes/workgroup (compile time only)
; SGPRBlocks: 0
; VGPRBlocks: 0
; NumSGPRsForWavesPerEU: 6
; NumVGPRsForWavesPerEU: 1
; AccumOffset: 4
; Occupancy: 8
; WaveLimiterHint : 0
; COMPUTE_PGM_RSRC2:SCRATCH_EN: 0
; COMPUTE_PGM_RSRC2:USER_SGPR: 2
; COMPUTE_PGM_RSRC2:TRAP_HANDLER: 0
; COMPUTE_PGM_RSRC2:TGID_X_EN: 1
; COMPUTE_PGM_RSRC2:TGID_Y_EN: 0
; COMPUTE_PGM_RSRC2:TGID_Z_EN: 0
; COMPUTE_PGM_RSRC2:TIDIG_COMP_CNT: 0
; COMPUTE_PGM_RSRC3_GFX90A:ACCUM_OFFSET: 0
; COMPUTE_PGM_RSRC3_GFX90A:TG_SPLIT: 0
	.section	.text._ZN7rocprim17ROCPRIM_400000_NS6detail17trampoline_kernelINS0_14default_configENS1_35adjacent_difference_config_selectorILb1EtEEZNS1_24adjacent_difference_implIS3_Lb1ELb0EPtS7_N6thrust23THRUST_200600_302600_NS5minusItEEEE10hipError_tPvRmT2_T3_mT4_P12ihipStream_tbEUlT_E_NS1_11comp_targetILNS1_3genE3ELNS1_11target_archE908ELNS1_3gpuE7ELNS1_3repE0EEENS1_30default_config_static_selectorELNS0_4arch9wavefront6targetE1EEEvT1_,"axG",@progbits,_ZN7rocprim17ROCPRIM_400000_NS6detail17trampoline_kernelINS0_14default_configENS1_35adjacent_difference_config_selectorILb1EtEEZNS1_24adjacent_difference_implIS3_Lb1ELb0EPtS7_N6thrust23THRUST_200600_302600_NS5minusItEEEE10hipError_tPvRmT2_T3_mT4_P12ihipStream_tbEUlT_E_NS1_11comp_targetILNS1_3genE3ELNS1_11target_archE908ELNS1_3gpuE7ELNS1_3repE0EEENS1_30default_config_static_selectorELNS0_4arch9wavefront6targetE1EEEvT1_,comdat
	.protected	_ZN7rocprim17ROCPRIM_400000_NS6detail17trampoline_kernelINS0_14default_configENS1_35adjacent_difference_config_selectorILb1EtEEZNS1_24adjacent_difference_implIS3_Lb1ELb0EPtS7_N6thrust23THRUST_200600_302600_NS5minusItEEEE10hipError_tPvRmT2_T3_mT4_P12ihipStream_tbEUlT_E_NS1_11comp_targetILNS1_3genE3ELNS1_11target_archE908ELNS1_3gpuE7ELNS1_3repE0EEENS1_30default_config_static_selectorELNS0_4arch9wavefront6targetE1EEEvT1_ ; -- Begin function _ZN7rocprim17ROCPRIM_400000_NS6detail17trampoline_kernelINS0_14default_configENS1_35adjacent_difference_config_selectorILb1EtEEZNS1_24adjacent_difference_implIS3_Lb1ELb0EPtS7_N6thrust23THRUST_200600_302600_NS5minusItEEEE10hipError_tPvRmT2_T3_mT4_P12ihipStream_tbEUlT_E_NS1_11comp_targetILNS1_3genE3ELNS1_11target_archE908ELNS1_3gpuE7ELNS1_3repE0EEENS1_30default_config_static_selectorELNS0_4arch9wavefront6targetE1EEEvT1_
	.globl	_ZN7rocprim17ROCPRIM_400000_NS6detail17trampoline_kernelINS0_14default_configENS1_35adjacent_difference_config_selectorILb1EtEEZNS1_24adjacent_difference_implIS3_Lb1ELb0EPtS7_N6thrust23THRUST_200600_302600_NS5minusItEEEE10hipError_tPvRmT2_T3_mT4_P12ihipStream_tbEUlT_E_NS1_11comp_targetILNS1_3genE3ELNS1_11target_archE908ELNS1_3gpuE7ELNS1_3repE0EEENS1_30default_config_static_selectorELNS0_4arch9wavefront6targetE1EEEvT1_
	.p2align	8
	.type	_ZN7rocprim17ROCPRIM_400000_NS6detail17trampoline_kernelINS0_14default_configENS1_35adjacent_difference_config_selectorILb1EtEEZNS1_24adjacent_difference_implIS3_Lb1ELb0EPtS7_N6thrust23THRUST_200600_302600_NS5minusItEEEE10hipError_tPvRmT2_T3_mT4_P12ihipStream_tbEUlT_E_NS1_11comp_targetILNS1_3genE3ELNS1_11target_archE908ELNS1_3gpuE7ELNS1_3repE0EEENS1_30default_config_static_selectorELNS0_4arch9wavefront6targetE1EEEvT1_,@function
_ZN7rocprim17ROCPRIM_400000_NS6detail17trampoline_kernelINS0_14default_configENS1_35adjacent_difference_config_selectorILb1EtEEZNS1_24adjacent_difference_implIS3_Lb1ELb0EPtS7_N6thrust23THRUST_200600_302600_NS5minusItEEEE10hipError_tPvRmT2_T3_mT4_P12ihipStream_tbEUlT_E_NS1_11comp_targetILNS1_3genE3ELNS1_11target_archE908ELNS1_3gpuE7ELNS1_3repE0EEENS1_30default_config_static_selectorELNS0_4arch9wavefront6targetE1EEEvT1_: ; @_ZN7rocprim17ROCPRIM_400000_NS6detail17trampoline_kernelINS0_14default_configENS1_35adjacent_difference_config_selectorILb1EtEEZNS1_24adjacent_difference_implIS3_Lb1ELb0EPtS7_N6thrust23THRUST_200600_302600_NS5minusItEEEE10hipError_tPvRmT2_T3_mT4_P12ihipStream_tbEUlT_E_NS1_11comp_targetILNS1_3genE3ELNS1_11target_archE908ELNS1_3gpuE7ELNS1_3repE0EEENS1_30default_config_static_selectorELNS0_4arch9wavefront6targetE1EEEvT1_
; %bb.0:
	.section	.rodata,"a",@progbits
	.p2align	6, 0x0
	.amdhsa_kernel _ZN7rocprim17ROCPRIM_400000_NS6detail17trampoline_kernelINS0_14default_configENS1_35adjacent_difference_config_selectorILb1EtEEZNS1_24adjacent_difference_implIS3_Lb1ELb0EPtS7_N6thrust23THRUST_200600_302600_NS5minusItEEEE10hipError_tPvRmT2_T3_mT4_P12ihipStream_tbEUlT_E_NS1_11comp_targetILNS1_3genE3ELNS1_11target_archE908ELNS1_3gpuE7ELNS1_3repE0EEENS1_30default_config_static_selectorELNS0_4arch9wavefront6targetE1EEEvT1_
		.amdhsa_group_segment_fixed_size 0
		.amdhsa_private_segment_fixed_size 0
		.amdhsa_kernarg_size 56
		.amdhsa_user_sgpr_count 2
		.amdhsa_user_sgpr_dispatch_ptr 0
		.amdhsa_user_sgpr_queue_ptr 0
		.amdhsa_user_sgpr_kernarg_segment_ptr 1
		.amdhsa_user_sgpr_dispatch_id 0
		.amdhsa_user_sgpr_kernarg_preload_length 0
		.amdhsa_user_sgpr_kernarg_preload_offset 0
		.amdhsa_user_sgpr_private_segment_size 0
		.amdhsa_uses_dynamic_stack 0
		.amdhsa_enable_private_segment 0
		.amdhsa_system_sgpr_workgroup_id_x 1
		.amdhsa_system_sgpr_workgroup_id_y 0
		.amdhsa_system_sgpr_workgroup_id_z 0
		.amdhsa_system_sgpr_workgroup_info 0
		.amdhsa_system_vgpr_workitem_id 0
		.amdhsa_next_free_vgpr 1
		.amdhsa_next_free_sgpr 0
		.amdhsa_accum_offset 4
		.amdhsa_reserve_vcc 0
		.amdhsa_float_round_mode_32 0
		.amdhsa_float_round_mode_16_64 0
		.amdhsa_float_denorm_mode_32 3
		.amdhsa_float_denorm_mode_16_64 3
		.amdhsa_dx10_clamp 1
		.amdhsa_ieee_mode 1
		.amdhsa_fp16_overflow 0
		.amdhsa_tg_split 0
		.amdhsa_exception_fp_ieee_invalid_op 0
		.amdhsa_exception_fp_denorm_src 0
		.amdhsa_exception_fp_ieee_div_zero 0
		.amdhsa_exception_fp_ieee_overflow 0
		.amdhsa_exception_fp_ieee_underflow 0
		.amdhsa_exception_fp_ieee_inexact 0
		.amdhsa_exception_int_div_zero 0
	.end_amdhsa_kernel
	.section	.text._ZN7rocprim17ROCPRIM_400000_NS6detail17trampoline_kernelINS0_14default_configENS1_35adjacent_difference_config_selectorILb1EtEEZNS1_24adjacent_difference_implIS3_Lb1ELb0EPtS7_N6thrust23THRUST_200600_302600_NS5minusItEEEE10hipError_tPvRmT2_T3_mT4_P12ihipStream_tbEUlT_E_NS1_11comp_targetILNS1_3genE3ELNS1_11target_archE908ELNS1_3gpuE7ELNS1_3repE0EEENS1_30default_config_static_selectorELNS0_4arch9wavefront6targetE1EEEvT1_,"axG",@progbits,_ZN7rocprim17ROCPRIM_400000_NS6detail17trampoline_kernelINS0_14default_configENS1_35adjacent_difference_config_selectorILb1EtEEZNS1_24adjacent_difference_implIS3_Lb1ELb0EPtS7_N6thrust23THRUST_200600_302600_NS5minusItEEEE10hipError_tPvRmT2_T3_mT4_P12ihipStream_tbEUlT_E_NS1_11comp_targetILNS1_3genE3ELNS1_11target_archE908ELNS1_3gpuE7ELNS1_3repE0EEENS1_30default_config_static_selectorELNS0_4arch9wavefront6targetE1EEEvT1_,comdat
.Lfunc_end335:
	.size	_ZN7rocprim17ROCPRIM_400000_NS6detail17trampoline_kernelINS0_14default_configENS1_35adjacent_difference_config_selectorILb1EtEEZNS1_24adjacent_difference_implIS3_Lb1ELb0EPtS7_N6thrust23THRUST_200600_302600_NS5minusItEEEE10hipError_tPvRmT2_T3_mT4_P12ihipStream_tbEUlT_E_NS1_11comp_targetILNS1_3genE3ELNS1_11target_archE908ELNS1_3gpuE7ELNS1_3repE0EEENS1_30default_config_static_selectorELNS0_4arch9wavefront6targetE1EEEvT1_, .Lfunc_end335-_ZN7rocprim17ROCPRIM_400000_NS6detail17trampoline_kernelINS0_14default_configENS1_35adjacent_difference_config_selectorILb1EtEEZNS1_24adjacent_difference_implIS3_Lb1ELb0EPtS7_N6thrust23THRUST_200600_302600_NS5minusItEEEE10hipError_tPvRmT2_T3_mT4_P12ihipStream_tbEUlT_E_NS1_11comp_targetILNS1_3genE3ELNS1_11target_archE908ELNS1_3gpuE7ELNS1_3repE0EEENS1_30default_config_static_selectorELNS0_4arch9wavefront6targetE1EEEvT1_
                                        ; -- End function
	.section	.AMDGPU.csdata,"",@progbits
; Kernel info:
; codeLenInByte = 0
; NumSgprs: 6
; NumVgprs: 0
; NumAgprs: 0
; TotalNumVgprs: 0
; ScratchSize: 0
; MemoryBound: 0
; FloatMode: 240
; IeeeMode: 1
; LDSByteSize: 0 bytes/workgroup (compile time only)
; SGPRBlocks: 0
; VGPRBlocks: 0
; NumSGPRsForWavesPerEU: 6
; NumVGPRsForWavesPerEU: 1
; AccumOffset: 4
; Occupancy: 8
; WaveLimiterHint : 0
; COMPUTE_PGM_RSRC2:SCRATCH_EN: 0
; COMPUTE_PGM_RSRC2:USER_SGPR: 2
; COMPUTE_PGM_RSRC2:TRAP_HANDLER: 0
; COMPUTE_PGM_RSRC2:TGID_X_EN: 1
; COMPUTE_PGM_RSRC2:TGID_Y_EN: 0
; COMPUTE_PGM_RSRC2:TGID_Z_EN: 0
; COMPUTE_PGM_RSRC2:TIDIG_COMP_CNT: 0
; COMPUTE_PGM_RSRC3_GFX90A:ACCUM_OFFSET: 0
; COMPUTE_PGM_RSRC3_GFX90A:TG_SPLIT: 0
	.section	.text._ZN7rocprim17ROCPRIM_400000_NS6detail17trampoline_kernelINS0_14default_configENS1_35adjacent_difference_config_selectorILb1EtEEZNS1_24adjacent_difference_implIS3_Lb1ELb0EPtS7_N6thrust23THRUST_200600_302600_NS5minusItEEEE10hipError_tPvRmT2_T3_mT4_P12ihipStream_tbEUlT_E_NS1_11comp_targetILNS1_3genE2ELNS1_11target_archE906ELNS1_3gpuE6ELNS1_3repE0EEENS1_30default_config_static_selectorELNS0_4arch9wavefront6targetE1EEEvT1_,"axG",@progbits,_ZN7rocprim17ROCPRIM_400000_NS6detail17trampoline_kernelINS0_14default_configENS1_35adjacent_difference_config_selectorILb1EtEEZNS1_24adjacent_difference_implIS3_Lb1ELb0EPtS7_N6thrust23THRUST_200600_302600_NS5minusItEEEE10hipError_tPvRmT2_T3_mT4_P12ihipStream_tbEUlT_E_NS1_11comp_targetILNS1_3genE2ELNS1_11target_archE906ELNS1_3gpuE6ELNS1_3repE0EEENS1_30default_config_static_selectorELNS0_4arch9wavefront6targetE1EEEvT1_,comdat
	.protected	_ZN7rocprim17ROCPRIM_400000_NS6detail17trampoline_kernelINS0_14default_configENS1_35adjacent_difference_config_selectorILb1EtEEZNS1_24adjacent_difference_implIS3_Lb1ELb0EPtS7_N6thrust23THRUST_200600_302600_NS5minusItEEEE10hipError_tPvRmT2_T3_mT4_P12ihipStream_tbEUlT_E_NS1_11comp_targetILNS1_3genE2ELNS1_11target_archE906ELNS1_3gpuE6ELNS1_3repE0EEENS1_30default_config_static_selectorELNS0_4arch9wavefront6targetE1EEEvT1_ ; -- Begin function _ZN7rocprim17ROCPRIM_400000_NS6detail17trampoline_kernelINS0_14default_configENS1_35adjacent_difference_config_selectorILb1EtEEZNS1_24adjacent_difference_implIS3_Lb1ELb0EPtS7_N6thrust23THRUST_200600_302600_NS5minusItEEEE10hipError_tPvRmT2_T3_mT4_P12ihipStream_tbEUlT_E_NS1_11comp_targetILNS1_3genE2ELNS1_11target_archE906ELNS1_3gpuE6ELNS1_3repE0EEENS1_30default_config_static_selectorELNS0_4arch9wavefront6targetE1EEEvT1_
	.globl	_ZN7rocprim17ROCPRIM_400000_NS6detail17trampoline_kernelINS0_14default_configENS1_35adjacent_difference_config_selectorILb1EtEEZNS1_24adjacent_difference_implIS3_Lb1ELb0EPtS7_N6thrust23THRUST_200600_302600_NS5minusItEEEE10hipError_tPvRmT2_T3_mT4_P12ihipStream_tbEUlT_E_NS1_11comp_targetILNS1_3genE2ELNS1_11target_archE906ELNS1_3gpuE6ELNS1_3repE0EEENS1_30default_config_static_selectorELNS0_4arch9wavefront6targetE1EEEvT1_
	.p2align	8
	.type	_ZN7rocprim17ROCPRIM_400000_NS6detail17trampoline_kernelINS0_14default_configENS1_35adjacent_difference_config_selectorILb1EtEEZNS1_24adjacent_difference_implIS3_Lb1ELb0EPtS7_N6thrust23THRUST_200600_302600_NS5minusItEEEE10hipError_tPvRmT2_T3_mT4_P12ihipStream_tbEUlT_E_NS1_11comp_targetILNS1_3genE2ELNS1_11target_archE906ELNS1_3gpuE6ELNS1_3repE0EEENS1_30default_config_static_selectorELNS0_4arch9wavefront6targetE1EEEvT1_,@function
_ZN7rocprim17ROCPRIM_400000_NS6detail17trampoline_kernelINS0_14default_configENS1_35adjacent_difference_config_selectorILb1EtEEZNS1_24adjacent_difference_implIS3_Lb1ELb0EPtS7_N6thrust23THRUST_200600_302600_NS5minusItEEEE10hipError_tPvRmT2_T3_mT4_P12ihipStream_tbEUlT_E_NS1_11comp_targetILNS1_3genE2ELNS1_11target_archE906ELNS1_3gpuE6ELNS1_3repE0EEENS1_30default_config_static_selectorELNS0_4arch9wavefront6targetE1EEEvT1_: ; @_ZN7rocprim17ROCPRIM_400000_NS6detail17trampoline_kernelINS0_14default_configENS1_35adjacent_difference_config_selectorILb1EtEEZNS1_24adjacent_difference_implIS3_Lb1ELb0EPtS7_N6thrust23THRUST_200600_302600_NS5minusItEEEE10hipError_tPvRmT2_T3_mT4_P12ihipStream_tbEUlT_E_NS1_11comp_targetILNS1_3genE2ELNS1_11target_archE906ELNS1_3gpuE6ELNS1_3repE0EEENS1_30default_config_static_selectorELNS0_4arch9wavefront6targetE1EEEvT1_
; %bb.0:
	.section	.rodata,"a",@progbits
	.p2align	6, 0x0
	.amdhsa_kernel _ZN7rocprim17ROCPRIM_400000_NS6detail17trampoline_kernelINS0_14default_configENS1_35adjacent_difference_config_selectorILb1EtEEZNS1_24adjacent_difference_implIS3_Lb1ELb0EPtS7_N6thrust23THRUST_200600_302600_NS5minusItEEEE10hipError_tPvRmT2_T3_mT4_P12ihipStream_tbEUlT_E_NS1_11comp_targetILNS1_3genE2ELNS1_11target_archE906ELNS1_3gpuE6ELNS1_3repE0EEENS1_30default_config_static_selectorELNS0_4arch9wavefront6targetE1EEEvT1_
		.amdhsa_group_segment_fixed_size 0
		.amdhsa_private_segment_fixed_size 0
		.amdhsa_kernarg_size 56
		.amdhsa_user_sgpr_count 2
		.amdhsa_user_sgpr_dispatch_ptr 0
		.amdhsa_user_sgpr_queue_ptr 0
		.amdhsa_user_sgpr_kernarg_segment_ptr 1
		.amdhsa_user_sgpr_dispatch_id 0
		.amdhsa_user_sgpr_kernarg_preload_length 0
		.amdhsa_user_sgpr_kernarg_preload_offset 0
		.amdhsa_user_sgpr_private_segment_size 0
		.amdhsa_uses_dynamic_stack 0
		.amdhsa_enable_private_segment 0
		.amdhsa_system_sgpr_workgroup_id_x 1
		.amdhsa_system_sgpr_workgroup_id_y 0
		.amdhsa_system_sgpr_workgroup_id_z 0
		.amdhsa_system_sgpr_workgroup_info 0
		.amdhsa_system_vgpr_workitem_id 0
		.amdhsa_next_free_vgpr 1
		.amdhsa_next_free_sgpr 0
		.amdhsa_accum_offset 4
		.amdhsa_reserve_vcc 0
		.amdhsa_float_round_mode_32 0
		.amdhsa_float_round_mode_16_64 0
		.amdhsa_float_denorm_mode_32 3
		.amdhsa_float_denorm_mode_16_64 3
		.amdhsa_dx10_clamp 1
		.amdhsa_ieee_mode 1
		.amdhsa_fp16_overflow 0
		.amdhsa_tg_split 0
		.amdhsa_exception_fp_ieee_invalid_op 0
		.amdhsa_exception_fp_denorm_src 0
		.amdhsa_exception_fp_ieee_div_zero 0
		.amdhsa_exception_fp_ieee_overflow 0
		.amdhsa_exception_fp_ieee_underflow 0
		.amdhsa_exception_fp_ieee_inexact 0
		.amdhsa_exception_int_div_zero 0
	.end_amdhsa_kernel
	.section	.text._ZN7rocprim17ROCPRIM_400000_NS6detail17trampoline_kernelINS0_14default_configENS1_35adjacent_difference_config_selectorILb1EtEEZNS1_24adjacent_difference_implIS3_Lb1ELb0EPtS7_N6thrust23THRUST_200600_302600_NS5minusItEEEE10hipError_tPvRmT2_T3_mT4_P12ihipStream_tbEUlT_E_NS1_11comp_targetILNS1_3genE2ELNS1_11target_archE906ELNS1_3gpuE6ELNS1_3repE0EEENS1_30default_config_static_selectorELNS0_4arch9wavefront6targetE1EEEvT1_,"axG",@progbits,_ZN7rocprim17ROCPRIM_400000_NS6detail17trampoline_kernelINS0_14default_configENS1_35adjacent_difference_config_selectorILb1EtEEZNS1_24adjacent_difference_implIS3_Lb1ELb0EPtS7_N6thrust23THRUST_200600_302600_NS5minusItEEEE10hipError_tPvRmT2_T3_mT4_P12ihipStream_tbEUlT_E_NS1_11comp_targetILNS1_3genE2ELNS1_11target_archE906ELNS1_3gpuE6ELNS1_3repE0EEENS1_30default_config_static_selectorELNS0_4arch9wavefront6targetE1EEEvT1_,comdat
.Lfunc_end336:
	.size	_ZN7rocprim17ROCPRIM_400000_NS6detail17trampoline_kernelINS0_14default_configENS1_35adjacent_difference_config_selectorILb1EtEEZNS1_24adjacent_difference_implIS3_Lb1ELb0EPtS7_N6thrust23THRUST_200600_302600_NS5minusItEEEE10hipError_tPvRmT2_T3_mT4_P12ihipStream_tbEUlT_E_NS1_11comp_targetILNS1_3genE2ELNS1_11target_archE906ELNS1_3gpuE6ELNS1_3repE0EEENS1_30default_config_static_selectorELNS0_4arch9wavefront6targetE1EEEvT1_, .Lfunc_end336-_ZN7rocprim17ROCPRIM_400000_NS6detail17trampoline_kernelINS0_14default_configENS1_35adjacent_difference_config_selectorILb1EtEEZNS1_24adjacent_difference_implIS3_Lb1ELb0EPtS7_N6thrust23THRUST_200600_302600_NS5minusItEEEE10hipError_tPvRmT2_T3_mT4_P12ihipStream_tbEUlT_E_NS1_11comp_targetILNS1_3genE2ELNS1_11target_archE906ELNS1_3gpuE6ELNS1_3repE0EEENS1_30default_config_static_selectorELNS0_4arch9wavefront6targetE1EEEvT1_
                                        ; -- End function
	.section	.AMDGPU.csdata,"",@progbits
; Kernel info:
; codeLenInByte = 0
; NumSgprs: 6
; NumVgprs: 0
; NumAgprs: 0
; TotalNumVgprs: 0
; ScratchSize: 0
; MemoryBound: 0
; FloatMode: 240
; IeeeMode: 1
; LDSByteSize: 0 bytes/workgroup (compile time only)
; SGPRBlocks: 0
; VGPRBlocks: 0
; NumSGPRsForWavesPerEU: 6
; NumVGPRsForWavesPerEU: 1
; AccumOffset: 4
; Occupancy: 8
; WaveLimiterHint : 0
; COMPUTE_PGM_RSRC2:SCRATCH_EN: 0
; COMPUTE_PGM_RSRC2:USER_SGPR: 2
; COMPUTE_PGM_RSRC2:TRAP_HANDLER: 0
; COMPUTE_PGM_RSRC2:TGID_X_EN: 1
; COMPUTE_PGM_RSRC2:TGID_Y_EN: 0
; COMPUTE_PGM_RSRC2:TGID_Z_EN: 0
; COMPUTE_PGM_RSRC2:TIDIG_COMP_CNT: 0
; COMPUTE_PGM_RSRC3_GFX90A:ACCUM_OFFSET: 0
; COMPUTE_PGM_RSRC3_GFX90A:TG_SPLIT: 0
	.section	.text._ZN7rocprim17ROCPRIM_400000_NS6detail17trampoline_kernelINS0_14default_configENS1_35adjacent_difference_config_selectorILb1EtEEZNS1_24adjacent_difference_implIS3_Lb1ELb0EPtS7_N6thrust23THRUST_200600_302600_NS5minusItEEEE10hipError_tPvRmT2_T3_mT4_P12ihipStream_tbEUlT_E_NS1_11comp_targetILNS1_3genE9ELNS1_11target_archE1100ELNS1_3gpuE3ELNS1_3repE0EEENS1_30default_config_static_selectorELNS0_4arch9wavefront6targetE1EEEvT1_,"axG",@progbits,_ZN7rocprim17ROCPRIM_400000_NS6detail17trampoline_kernelINS0_14default_configENS1_35adjacent_difference_config_selectorILb1EtEEZNS1_24adjacent_difference_implIS3_Lb1ELb0EPtS7_N6thrust23THRUST_200600_302600_NS5minusItEEEE10hipError_tPvRmT2_T3_mT4_P12ihipStream_tbEUlT_E_NS1_11comp_targetILNS1_3genE9ELNS1_11target_archE1100ELNS1_3gpuE3ELNS1_3repE0EEENS1_30default_config_static_selectorELNS0_4arch9wavefront6targetE1EEEvT1_,comdat
	.protected	_ZN7rocprim17ROCPRIM_400000_NS6detail17trampoline_kernelINS0_14default_configENS1_35adjacent_difference_config_selectorILb1EtEEZNS1_24adjacent_difference_implIS3_Lb1ELb0EPtS7_N6thrust23THRUST_200600_302600_NS5minusItEEEE10hipError_tPvRmT2_T3_mT4_P12ihipStream_tbEUlT_E_NS1_11comp_targetILNS1_3genE9ELNS1_11target_archE1100ELNS1_3gpuE3ELNS1_3repE0EEENS1_30default_config_static_selectorELNS0_4arch9wavefront6targetE1EEEvT1_ ; -- Begin function _ZN7rocprim17ROCPRIM_400000_NS6detail17trampoline_kernelINS0_14default_configENS1_35adjacent_difference_config_selectorILb1EtEEZNS1_24adjacent_difference_implIS3_Lb1ELb0EPtS7_N6thrust23THRUST_200600_302600_NS5minusItEEEE10hipError_tPvRmT2_T3_mT4_P12ihipStream_tbEUlT_E_NS1_11comp_targetILNS1_3genE9ELNS1_11target_archE1100ELNS1_3gpuE3ELNS1_3repE0EEENS1_30default_config_static_selectorELNS0_4arch9wavefront6targetE1EEEvT1_
	.globl	_ZN7rocprim17ROCPRIM_400000_NS6detail17trampoline_kernelINS0_14default_configENS1_35adjacent_difference_config_selectorILb1EtEEZNS1_24adjacent_difference_implIS3_Lb1ELb0EPtS7_N6thrust23THRUST_200600_302600_NS5minusItEEEE10hipError_tPvRmT2_T3_mT4_P12ihipStream_tbEUlT_E_NS1_11comp_targetILNS1_3genE9ELNS1_11target_archE1100ELNS1_3gpuE3ELNS1_3repE0EEENS1_30default_config_static_selectorELNS0_4arch9wavefront6targetE1EEEvT1_
	.p2align	8
	.type	_ZN7rocprim17ROCPRIM_400000_NS6detail17trampoline_kernelINS0_14default_configENS1_35adjacent_difference_config_selectorILb1EtEEZNS1_24adjacent_difference_implIS3_Lb1ELb0EPtS7_N6thrust23THRUST_200600_302600_NS5minusItEEEE10hipError_tPvRmT2_T3_mT4_P12ihipStream_tbEUlT_E_NS1_11comp_targetILNS1_3genE9ELNS1_11target_archE1100ELNS1_3gpuE3ELNS1_3repE0EEENS1_30default_config_static_selectorELNS0_4arch9wavefront6targetE1EEEvT1_,@function
_ZN7rocprim17ROCPRIM_400000_NS6detail17trampoline_kernelINS0_14default_configENS1_35adjacent_difference_config_selectorILb1EtEEZNS1_24adjacent_difference_implIS3_Lb1ELb0EPtS7_N6thrust23THRUST_200600_302600_NS5minusItEEEE10hipError_tPvRmT2_T3_mT4_P12ihipStream_tbEUlT_E_NS1_11comp_targetILNS1_3genE9ELNS1_11target_archE1100ELNS1_3gpuE3ELNS1_3repE0EEENS1_30default_config_static_selectorELNS0_4arch9wavefront6targetE1EEEvT1_: ; @_ZN7rocprim17ROCPRIM_400000_NS6detail17trampoline_kernelINS0_14default_configENS1_35adjacent_difference_config_selectorILb1EtEEZNS1_24adjacent_difference_implIS3_Lb1ELb0EPtS7_N6thrust23THRUST_200600_302600_NS5minusItEEEE10hipError_tPvRmT2_T3_mT4_P12ihipStream_tbEUlT_E_NS1_11comp_targetILNS1_3genE9ELNS1_11target_archE1100ELNS1_3gpuE3ELNS1_3repE0EEENS1_30default_config_static_selectorELNS0_4arch9wavefront6targetE1EEEvT1_
; %bb.0:
	.section	.rodata,"a",@progbits
	.p2align	6, 0x0
	.amdhsa_kernel _ZN7rocprim17ROCPRIM_400000_NS6detail17trampoline_kernelINS0_14default_configENS1_35adjacent_difference_config_selectorILb1EtEEZNS1_24adjacent_difference_implIS3_Lb1ELb0EPtS7_N6thrust23THRUST_200600_302600_NS5minusItEEEE10hipError_tPvRmT2_T3_mT4_P12ihipStream_tbEUlT_E_NS1_11comp_targetILNS1_3genE9ELNS1_11target_archE1100ELNS1_3gpuE3ELNS1_3repE0EEENS1_30default_config_static_selectorELNS0_4arch9wavefront6targetE1EEEvT1_
		.amdhsa_group_segment_fixed_size 0
		.amdhsa_private_segment_fixed_size 0
		.amdhsa_kernarg_size 56
		.amdhsa_user_sgpr_count 2
		.amdhsa_user_sgpr_dispatch_ptr 0
		.amdhsa_user_sgpr_queue_ptr 0
		.amdhsa_user_sgpr_kernarg_segment_ptr 1
		.amdhsa_user_sgpr_dispatch_id 0
		.amdhsa_user_sgpr_kernarg_preload_length 0
		.amdhsa_user_sgpr_kernarg_preload_offset 0
		.amdhsa_user_sgpr_private_segment_size 0
		.amdhsa_uses_dynamic_stack 0
		.amdhsa_enable_private_segment 0
		.amdhsa_system_sgpr_workgroup_id_x 1
		.amdhsa_system_sgpr_workgroup_id_y 0
		.amdhsa_system_sgpr_workgroup_id_z 0
		.amdhsa_system_sgpr_workgroup_info 0
		.amdhsa_system_vgpr_workitem_id 0
		.amdhsa_next_free_vgpr 1
		.amdhsa_next_free_sgpr 0
		.amdhsa_accum_offset 4
		.amdhsa_reserve_vcc 0
		.amdhsa_float_round_mode_32 0
		.amdhsa_float_round_mode_16_64 0
		.amdhsa_float_denorm_mode_32 3
		.amdhsa_float_denorm_mode_16_64 3
		.amdhsa_dx10_clamp 1
		.amdhsa_ieee_mode 1
		.amdhsa_fp16_overflow 0
		.amdhsa_tg_split 0
		.amdhsa_exception_fp_ieee_invalid_op 0
		.amdhsa_exception_fp_denorm_src 0
		.amdhsa_exception_fp_ieee_div_zero 0
		.amdhsa_exception_fp_ieee_overflow 0
		.amdhsa_exception_fp_ieee_underflow 0
		.amdhsa_exception_fp_ieee_inexact 0
		.amdhsa_exception_int_div_zero 0
	.end_amdhsa_kernel
	.section	.text._ZN7rocprim17ROCPRIM_400000_NS6detail17trampoline_kernelINS0_14default_configENS1_35adjacent_difference_config_selectorILb1EtEEZNS1_24adjacent_difference_implIS3_Lb1ELb0EPtS7_N6thrust23THRUST_200600_302600_NS5minusItEEEE10hipError_tPvRmT2_T3_mT4_P12ihipStream_tbEUlT_E_NS1_11comp_targetILNS1_3genE9ELNS1_11target_archE1100ELNS1_3gpuE3ELNS1_3repE0EEENS1_30default_config_static_selectorELNS0_4arch9wavefront6targetE1EEEvT1_,"axG",@progbits,_ZN7rocprim17ROCPRIM_400000_NS6detail17trampoline_kernelINS0_14default_configENS1_35adjacent_difference_config_selectorILb1EtEEZNS1_24adjacent_difference_implIS3_Lb1ELb0EPtS7_N6thrust23THRUST_200600_302600_NS5minusItEEEE10hipError_tPvRmT2_T3_mT4_P12ihipStream_tbEUlT_E_NS1_11comp_targetILNS1_3genE9ELNS1_11target_archE1100ELNS1_3gpuE3ELNS1_3repE0EEENS1_30default_config_static_selectorELNS0_4arch9wavefront6targetE1EEEvT1_,comdat
.Lfunc_end337:
	.size	_ZN7rocprim17ROCPRIM_400000_NS6detail17trampoline_kernelINS0_14default_configENS1_35adjacent_difference_config_selectorILb1EtEEZNS1_24adjacent_difference_implIS3_Lb1ELb0EPtS7_N6thrust23THRUST_200600_302600_NS5minusItEEEE10hipError_tPvRmT2_T3_mT4_P12ihipStream_tbEUlT_E_NS1_11comp_targetILNS1_3genE9ELNS1_11target_archE1100ELNS1_3gpuE3ELNS1_3repE0EEENS1_30default_config_static_selectorELNS0_4arch9wavefront6targetE1EEEvT1_, .Lfunc_end337-_ZN7rocprim17ROCPRIM_400000_NS6detail17trampoline_kernelINS0_14default_configENS1_35adjacent_difference_config_selectorILb1EtEEZNS1_24adjacent_difference_implIS3_Lb1ELb0EPtS7_N6thrust23THRUST_200600_302600_NS5minusItEEEE10hipError_tPvRmT2_T3_mT4_P12ihipStream_tbEUlT_E_NS1_11comp_targetILNS1_3genE9ELNS1_11target_archE1100ELNS1_3gpuE3ELNS1_3repE0EEENS1_30default_config_static_selectorELNS0_4arch9wavefront6targetE1EEEvT1_
                                        ; -- End function
	.section	.AMDGPU.csdata,"",@progbits
; Kernel info:
; codeLenInByte = 0
; NumSgprs: 6
; NumVgprs: 0
; NumAgprs: 0
; TotalNumVgprs: 0
; ScratchSize: 0
; MemoryBound: 0
; FloatMode: 240
; IeeeMode: 1
; LDSByteSize: 0 bytes/workgroup (compile time only)
; SGPRBlocks: 0
; VGPRBlocks: 0
; NumSGPRsForWavesPerEU: 6
; NumVGPRsForWavesPerEU: 1
; AccumOffset: 4
; Occupancy: 8
; WaveLimiterHint : 0
; COMPUTE_PGM_RSRC2:SCRATCH_EN: 0
; COMPUTE_PGM_RSRC2:USER_SGPR: 2
; COMPUTE_PGM_RSRC2:TRAP_HANDLER: 0
; COMPUTE_PGM_RSRC2:TGID_X_EN: 1
; COMPUTE_PGM_RSRC2:TGID_Y_EN: 0
; COMPUTE_PGM_RSRC2:TGID_Z_EN: 0
; COMPUTE_PGM_RSRC2:TIDIG_COMP_CNT: 0
; COMPUTE_PGM_RSRC3_GFX90A:ACCUM_OFFSET: 0
; COMPUTE_PGM_RSRC3_GFX90A:TG_SPLIT: 0
	.section	.text._ZN7rocprim17ROCPRIM_400000_NS6detail17trampoline_kernelINS0_14default_configENS1_35adjacent_difference_config_selectorILb1EtEEZNS1_24adjacent_difference_implIS3_Lb1ELb0EPtS7_N6thrust23THRUST_200600_302600_NS5minusItEEEE10hipError_tPvRmT2_T3_mT4_P12ihipStream_tbEUlT_E_NS1_11comp_targetILNS1_3genE8ELNS1_11target_archE1030ELNS1_3gpuE2ELNS1_3repE0EEENS1_30default_config_static_selectorELNS0_4arch9wavefront6targetE1EEEvT1_,"axG",@progbits,_ZN7rocprim17ROCPRIM_400000_NS6detail17trampoline_kernelINS0_14default_configENS1_35adjacent_difference_config_selectorILb1EtEEZNS1_24adjacent_difference_implIS3_Lb1ELb0EPtS7_N6thrust23THRUST_200600_302600_NS5minusItEEEE10hipError_tPvRmT2_T3_mT4_P12ihipStream_tbEUlT_E_NS1_11comp_targetILNS1_3genE8ELNS1_11target_archE1030ELNS1_3gpuE2ELNS1_3repE0EEENS1_30default_config_static_selectorELNS0_4arch9wavefront6targetE1EEEvT1_,comdat
	.protected	_ZN7rocprim17ROCPRIM_400000_NS6detail17trampoline_kernelINS0_14default_configENS1_35adjacent_difference_config_selectorILb1EtEEZNS1_24adjacent_difference_implIS3_Lb1ELb0EPtS7_N6thrust23THRUST_200600_302600_NS5minusItEEEE10hipError_tPvRmT2_T3_mT4_P12ihipStream_tbEUlT_E_NS1_11comp_targetILNS1_3genE8ELNS1_11target_archE1030ELNS1_3gpuE2ELNS1_3repE0EEENS1_30default_config_static_selectorELNS0_4arch9wavefront6targetE1EEEvT1_ ; -- Begin function _ZN7rocprim17ROCPRIM_400000_NS6detail17trampoline_kernelINS0_14default_configENS1_35adjacent_difference_config_selectorILb1EtEEZNS1_24adjacent_difference_implIS3_Lb1ELb0EPtS7_N6thrust23THRUST_200600_302600_NS5minusItEEEE10hipError_tPvRmT2_T3_mT4_P12ihipStream_tbEUlT_E_NS1_11comp_targetILNS1_3genE8ELNS1_11target_archE1030ELNS1_3gpuE2ELNS1_3repE0EEENS1_30default_config_static_selectorELNS0_4arch9wavefront6targetE1EEEvT1_
	.globl	_ZN7rocprim17ROCPRIM_400000_NS6detail17trampoline_kernelINS0_14default_configENS1_35adjacent_difference_config_selectorILb1EtEEZNS1_24adjacent_difference_implIS3_Lb1ELb0EPtS7_N6thrust23THRUST_200600_302600_NS5minusItEEEE10hipError_tPvRmT2_T3_mT4_P12ihipStream_tbEUlT_E_NS1_11comp_targetILNS1_3genE8ELNS1_11target_archE1030ELNS1_3gpuE2ELNS1_3repE0EEENS1_30default_config_static_selectorELNS0_4arch9wavefront6targetE1EEEvT1_
	.p2align	8
	.type	_ZN7rocprim17ROCPRIM_400000_NS6detail17trampoline_kernelINS0_14default_configENS1_35adjacent_difference_config_selectorILb1EtEEZNS1_24adjacent_difference_implIS3_Lb1ELb0EPtS7_N6thrust23THRUST_200600_302600_NS5minusItEEEE10hipError_tPvRmT2_T3_mT4_P12ihipStream_tbEUlT_E_NS1_11comp_targetILNS1_3genE8ELNS1_11target_archE1030ELNS1_3gpuE2ELNS1_3repE0EEENS1_30default_config_static_selectorELNS0_4arch9wavefront6targetE1EEEvT1_,@function
_ZN7rocprim17ROCPRIM_400000_NS6detail17trampoline_kernelINS0_14default_configENS1_35adjacent_difference_config_selectorILb1EtEEZNS1_24adjacent_difference_implIS3_Lb1ELb0EPtS7_N6thrust23THRUST_200600_302600_NS5minusItEEEE10hipError_tPvRmT2_T3_mT4_P12ihipStream_tbEUlT_E_NS1_11comp_targetILNS1_3genE8ELNS1_11target_archE1030ELNS1_3gpuE2ELNS1_3repE0EEENS1_30default_config_static_selectorELNS0_4arch9wavefront6targetE1EEEvT1_: ; @_ZN7rocprim17ROCPRIM_400000_NS6detail17trampoline_kernelINS0_14default_configENS1_35adjacent_difference_config_selectorILb1EtEEZNS1_24adjacent_difference_implIS3_Lb1ELb0EPtS7_N6thrust23THRUST_200600_302600_NS5minusItEEEE10hipError_tPvRmT2_T3_mT4_P12ihipStream_tbEUlT_E_NS1_11comp_targetILNS1_3genE8ELNS1_11target_archE1030ELNS1_3gpuE2ELNS1_3repE0EEENS1_30default_config_static_selectorELNS0_4arch9wavefront6targetE1EEEvT1_
; %bb.0:
	.section	.rodata,"a",@progbits
	.p2align	6, 0x0
	.amdhsa_kernel _ZN7rocprim17ROCPRIM_400000_NS6detail17trampoline_kernelINS0_14default_configENS1_35adjacent_difference_config_selectorILb1EtEEZNS1_24adjacent_difference_implIS3_Lb1ELb0EPtS7_N6thrust23THRUST_200600_302600_NS5minusItEEEE10hipError_tPvRmT2_T3_mT4_P12ihipStream_tbEUlT_E_NS1_11comp_targetILNS1_3genE8ELNS1_11target_archE1030ELNS1_3gpuE2ELNS1_3repE0EEENS1_30default_config_static_selectorELNS0_4arch9wavefront6targetE1EEEvT1_
		.amdhsa_group_segment_fixed_size 0
		.amdhsa_private_segment_fixed_size 0
		.amdhsa_kernarg_size 56
		.amdhsa_user_sgpr_count 2
		.amdhsa_user_sgpr_dispatch_ptr 0
		.amdhsa_user_sgpr_queue_ptr 0
		.amdhsa_user_sgpr_kernarg_segment_ptr 1
		.amdhsa_user_sgpr_dispatch_id 0
		.amdhsa_user_sgpr_kernarg_preload_length 0
		.amdhsa_user_sgpr_kernarg_preload_offset 0
		.amdhsa_user_sgpr_private_segment_size 0
		.amdhsa_uses_dynamic_stack 0
		.amdhsa_enable_private_segment 0
		.amdhsa_system_sgpr_workgroup_id_x 1
		.amdhsa_system_sgpr_workgroup_id_y 0
		.amdhsa_system_sgpr_workgroup_id_z 0
		.amdhsa_system_sgpr_workgroup_info 0
		.amdhsa_system_vgpr_workitem_id 0
		.amdhsa_next_free_vgpr 1
		.amdhsa_next_free_sgpr 0
		.amdhsa_accum_offset 4
		.amdhsa_reserve_vcc 0
		.amdhsa_float_round_mode_32 0
		.amdhsa_float_round_mode_16_64 0
		.amdhsa_float_denorm_mode_32 3
		.amdhsa_float_denorm_mode_16_64 3
		.amdhsa_dx10_clamp 1
		.amdhsa_ieee_mode 1
		.amdhsa_fp16_overflow 0
		.amdhsa_tg_split 0
		.amdhsa_exception_fp_ieee_invalid_op 0
		.amdhsa_exception_fp_denorm_src 0
		.amdhsa_exception_fp_ieee_div_zero 0
		.amdhsa_exception_fp_ieee_overflow 0
		.amdhsa_exception_fp_ieee_underflow 0
		.amdhsa_exception_fp_ieee_inexact 0
		.amdhsa_exception_int_div_zero 0
	.end_amdhsa_kernel
	.section	.text._ZN7rocprim17ROCPRIM_400000_NS6detail17trampoline_kernelINS0_14default_configENS1_35adjacent_difference_config_selectorILb1EtEEZNS1_24adjacent_difference_implIS3_Lb1ELb0EPtS7_N6thrust23THRUST_200600_302600_NS5minusItEEEE10hipError_tPvRmT2_T3_mT4_P12ihipStream_tbEUlT_E_NS1_11comp_targetILNS1_3genE8ELNS1_11target_archE1030ELNS1_3gpuE2ELNS1_3repE0EEENS1_30default_config_static_selectorELNS0_4arch9wavefront6targetE1EEEvT1_,"axG",@progbits,_ZN7rocprim17ROCPRIM_400000_NS6detail17trampoline_kernelINS0_14default_configENS1_35adjacent_difference_config_selectorILb1EtEEZNS1_24adjacent_difference_implIS3_Lb1ELb0EPtS7_N6thrust23THRUST_200600_302600_NS5minusItEEEE10hipError_tPvRmT2_T3_mT4_P12ihipStream_tbEUlT_E_NS1_11comp_targetILNS1_3genE8ELNS1_11target_archE1030ELNS1_3gpuE2ELNS1_3repE0EEENS1_30default_config_static_selectorELNS0_4arch9wavefront6targetE1EEEvT1_,comdat
.Lfunc_end338:
	.size	_ZN7rocprim17ROCPRIM_400000_NS6detail17trampoline_kernelINS0_14default_configENS1_35adjacent_difference_config_selectorILb1EtEEZNS1_24adjacent_difference_implIS3_Lb1ELb0EPtS7_N6thrust23THRUST_200600_302600_NS5minusItEEEE10hipError_tPvRmT2_T3_mT4_P12ihipStream_tbEUlT_E_NS1_11comp_targetILNS1_3genE8ELNS1_11target_archE1030ELNS1_3gpuE2ELNS1_3repE0EEENS1_30default_config_static_selectorELNS0_4arch9wavefront6targetE1EEEvT1_, .Lfunc_end338-_ZN7rocprim17ROCPRIM_400000_NS6detail17trampoline_kernelINS0_14default_configENS1_35adjacent_difference_config_selectorILb1EtEEZNS1_24adjacent_difference_implIS3_Lb1ELb0EPtS7_N6thrust23THRUST_200600_302600_NS5minusItEEEE10hipError_tPvRmT2_T3_mT4_P12ihipStream_tbEUlT_E_NS1_11comp_targetILNS1_3genE8ELNS1_11target_archE1030ELNS1_3gpuE2ELNS1_3repE0EEENS1_30default_config_static_selectorELNS0_4arch9wavefront6targetE1EEEvT1_
                                        ; -- End function
	.section	.AMDGPU.csdata,"",@progbits
; Kernel info:
; codeLenInByte = 0
; NumSgprs: 6
; NumVgprs: 0
; NumAgprs: 0
; TotalNumVgprs: 0
; ScratchSize: 0
; MemoryBound: 0
; FloatMode: 240
; IeeeMode: 1
; LDSByteSize: 0 bytes/workgroup (compile time only)
; SGPRBlocks: 0
; VGPRBlocks: 0
; NumSGPRsForWavesPerEU: 6
; NumVGPRsForWavesPerEU: 1
; AccumOffset: 4
; Occupancy: 8
; WaveLimiterHint : 0
; COMPUTE_PGM_RSRC2:SCRATCH_EN: 0
; COMPUTE_PGM_RSRC2:USER_SGPR: 2
; COMPUTE_PGM_RSRC2:TRAP_HANDLER: 0
; COMPUTE_PGM_RSRC2:TGID_X_EN: 1
; COMPUTE_PGM_RSRC2:TGID_Y_EN: 0
; COMPUTE_PGM_RSRC2:TGID_Z_EN: 0
; COMPUTE_PGM_RSRC2:TIDIG_COMP_CNT: 0
; COMPUTE_PGM_RSRC3_GFX90A:ACCUM_OFFSET: 0
; COMPUTE_PGM_RSRC3_GFX90A:TG_SPLIT: 0
	.section	.text._ZN7rocprim17ROCPRIM_400000_NS6detail17trampoline_kernelINS0_14default_configENS1_35adjacent_difference_config_selectorILb0EtEEZNS1_24adjacent_difference_implIS3_Lb0ELb0EPtS7_N6thrust23THRUST_200600_302600_NS4plusItEEEE10hipError_tPvRmT2_T3_mT4_P12ihipStream_tbEUlT_E_NS1_11comp_targetILNS1_3genE0ELNS1_11target_archE4294967295ELNS1_3gpuE0ELNS1_3repE0EEENS1_30default_config_static_selectorELNS0_4arch9wavefront6targetE1EEEvT1_,"axG",@progbits,_ZN7rocprim17ROCPRIM_400000_NS6detail17trampoline_kernelINS0_14default_configENS1_35adjacent_difference_config_selectorILb0EtEEZNS1_24adjacent_difference_implIS3_Lb0ELb0EPtS7_N6thrust23THRUST_200600_302600_NS4plusItEEEE10hipError_tPvRmT2_T3_mT4_P12ihipStream_tbEUlT_E_NS1_11comp_targetILNS1_3genE0ELNS1_11target_archE4294967295ELNS1_3gpuE0ELNS1_3repE0EEENS1_30default_config_static_selectorELNS0_4arch9wavefront6targetE1EEEvT1_,comdat
	.protected	_ZN7rocprim17ROCPRIM_400000_NS6detail17trampoline_kernelINS0_14default_configENS1_35adjacent_difference_config_selectorILb0EtEEZNS1_24adjacent_difference_implIS3_Lb0ELb0EPtS7_N6thrust23THRUST_200600_302600_NS4plusItEEEE10hipError_tPvRmT2_T3_mT4_P12ihipStream_tbEUlT_E_NS1_11comp_targetILNS1_3genE0ELNS1_11target_archE4294967295ELNS1_3gpuE0ELNS1_3repE0EEENS1_30default_config_static_selectorELNS0_4arch9wavefront6targetE1EEEvT1_ ; -- Begin function _ZN7rocprim17ROCPRIM_400000_NS6detail17trampoline_kernelINS0_14default_configENS1_35adjacent_difference_config_selectorILb0EtEEZNS1_24adjacent_difference_implIS3_Lb0ELb0EPtS7_N6thrust23THRUST_200600_302600_NS4plusItEEEE10hipError_tPvRmT2_T3_mT4_P12ihipStream_tbEUlT_E_NS1_11comp_targetILNS1_3genE0ELNS1_11target_archE4294967295ELNS1_3gpuE0ELNS1_3repE0EEENS1_30default_config_static_selectorELNS0_4arch9wavefront6targetE1EEEvT1_
	.globl	_ZN7rocprim17ROCPRIM_400000_NS6detail17trampoline_kernelINS0_14default_configENS1_35adjacent_difference_config_selectorILb0EtEEZNS1_24adjacent_difference_implIS3_Lb0ELb0EPtS7_N6thrust23THRUST_200600_302600_NS4plusItEEEE10hipError_tPvRmT2_T3_mT4_P12ihipStream_tbEUlT_E_NS1_11comp_targetILNS1_3genE0ELNS1_11target_archE4294967295ELNS1_3gpuE0ELNS1_3repE0EEENS1_30default_config_static_selectorELNS0_4arch9wavefront6targetE1EEEvT1_
	.p2align	8
	.type	_ZN7rocprim17ROCPRIM_400000_NS6detail17trampoline_kernelINS0_14default_configENS1_35adjacent_difference_config_selectorILb0EtEEZNS1_24adjacent_difference_implIS3_Lb0ELb0EPtS7_N6thrust23THRUST_200600_302600_NS4plusItEEEE10hipError_tPvRmT2_T3_mT4_P12ihipStream_tbEUlT_E_NS1_11comp_targetILNS1_3genE0ELNS1_11target_archE4294967295ELNS1_3gpuE0ELNS1_3repE0EEENS1_30default_config_static_selectorELNS0_4arch9wavefront6targetE1EEEvT1_,@function
_ZN7rocprim17ROCPRIM_400000_NS6detail17trampoline_kernelINS0_14default_configENS1_35adjacent_difference_config_selectorILb0EtEEZNS1_24adjacent_difference_implIS3_Lb0ELb0EPtS7_N6thrust23THRUST_200600_302600_NS4plusItEEEE10hipError_tPvRmT2_T3_mT4_P12ihipStream_tbEUlT_E_NS1_11comp_targetILNS1_3genE0ELNS1_11target_archE4294967295ELNS1_3gpuE0ELNS1_3repE0EEENS1_30default_config_static_selectorELNS0_4arch9wavefront6targetE1EEEvT1_: ; @_ZN7rocprim17ROCPRIM_400000_NS6detail17trampoline_kernelINS0_14default_configENS1_35adjacent_difference_config_selectorILb0EtEEZNS1_24adjacent_difference_implIS3_Lb0ELb0EPtS7_N6thrust23THRUST_200600_302600_NS4plusItEEEE10hipError_tPvRmT2_T3_mT4_P12ihipStream_tbEUlT_E_NS1_11comp_targetILNS1_3genE0ELNS1_11target_archE4294967295ELNS1_3gpuE0ELNS1_3repE0EEENS1_30default_config_static_selectorELNS0_4arch9wavefront6targetE1EEEvT1_
; %bb.0:
	.section	.rodata,"a",@progbits
	.p2align	6, 0x0
	.amdhsa_kernel _ZN7rocprim17ROCPRIM_400000_NS6detail17trampoline_kernelINS0_14default_configENS1_35adjacent_difference_config_selectorILb0EtEEZNS1_24adjacent_difference_implIS3_Lb0ELb0EPtS7_N6thrust23THRUST_200600_302600_NS4plusItEEEE10hipError_tPvRmT2_T3_mT4_P12ihipStream_tbEUlT_E_NS1_11comp_targetILNS1_3genE0ELNS1_11target_archE4294967295ELNS1_3gpuE0ELNS1_3repE0EEENS1_30default_config_static_selectorELNS0_4arch9wavefront6targetE1EEEvT1_
		.amdhsa_group_segment_fixed_size 0
		.amdhsa_private_segment_fixed_size 0
		.amdhsa_kernarg_size 56
		.amdhsa_user_sgpr_count 2
		.amdhsa_user_sgpr_dispatch_ptr 0
		.amdhsa_user_sgpr_queue_ptr 0
		.amdhsa_user_sgpr_kernarg_segment_ptr 1
		.amdhsa_user_sgpr_dispatch_id 0
		.amdhsa_user_sgpr_kernarg_preload_length 0
		.amdhsa_user_sgpr_kernarg_preload_offset 0
		.amdhsa_user_sgpr_private_segment_size 0
		.amdhsa_uses_dynamic_stack 0
		.amdhsa_enable_private_segment 0
		.amdhsa_system_sgpr_workgroup_id_x 1
		.amdhsa_system_sgpr_workgroup_id_y 0
		.amdhsa_system_sgpr_workgroup_id_z 0
		.amdhsa_system_sgpr_workgroup_info 0
		.amdhsa_system_vgpr_workitem_id 0
		.amdhsa_next_free_vgpr 1
		.amdhsa_next_free_sgpr 0
		.amdhsa_accum_offset 4
		.amdhsa_reserve_vcc 0
		.amdhsa_float_round_mode_32 0
		.amdhsa_float_round_mode_16_64 0
		.amdhsa_float_denorm_mode_32 3
		.amdhsa_float_denorm_mode_16_64 3
		.amdhsa_dx10_clamp 1
		.amdhsa_ieee_mode 1
		.amdhsa_fp16_overflow 0
		.amdhsa_tg_split 0
		.amdhsa_exception_fp_ieee_invalid_op 0
		.amdhsa_exception_fp_denorm_src 0
		.amdhsa_exception_fp_ieee_div_zero 0
		.amdhsa_exception_fp_ieee_overflow 0
		.amdhsa_exception_fp_ieee_underflow 0
		.amdhsa_exception_fp_ieee_inexact 0
		.amdhsa_exception_int_div_zero 0
	.end_amdhsa_kernel
	.section	.text._ZN7rocprim17ROCPRIM_400000_NS6detail17trampoline_kernelINS0_14default_configENS1_35adjacent_difference_config_selectorILb0EtEEZNS1_24adjacent_difference_implIS3_Lb0ELb0EPtS7_N6thrust23THRUST_200600_302600_NS4plusItEEEE10hipError_tPvRmT2_T3_mT4_P12ihipStream_tbEUlT_E_NS1_11comp_targetILNS1_3genE0ELNS1_11target_archE4294967295ELNS1_3gpuE0ELNS1_3repE0EEENS1_30default_config_static_selectorELNS0_4arch9wavefront6targetE1EEEvT1_,"axG",@progbits,_ZN7rocprim17ROCPRIM_400000_NS6detail17trampoline_kernelINS0_14default_configENS1_35adjacent_difference_config_selectorILb0EtEEZNS1_24adjacent_difference_implIS3_Lb0ELb0EPtS7_N6thrust23THRUST_200600_302600_NS4plusItEEEE10hipError_tPvRmT2_T3_mT4_P12ihipStream_tbEUlT_E_NS1_11comp_targetILNS1_3genE0ELNS1_11target_archE4294967295ELNS1_3gpuE0ELNS1_3repE0EEENS1_30default_config_static_selectorELNS0_4arch9wavefront6targetE1EEEvT1_,comdat
.Lfunc_end339:
	.size	_ZN7rocprim17ROCPRIM_400000_NS6detail17trampoline_kernelINS0_14default_configENS1_35adjacent_difference_config_selectorILb0EtEEZNS1_24adjacent_difference_implIS3_Lb0ELb0EPtS7_N6thrust23THRUST_200600_302600_NS4plusItEEEE10hipError_tPvRmT2_T3_mT4_P12ihipStream_tbEUlT_E_NS1_11comp_targetILNS1_3genE0ELNS1_11target_archE4294967295ELNS1_3gpuE0ELNS1_3repE0EEENS1_30default_config_static_selectorELNS0_4arch9wavefront6targetE1EEEvT1_, .Lfunc_end339-_ZN7rocprim17ROCPRIM_400000_NS6detail17trampoline_kernelINS0_14default_configENS1_35adjacent_difference_config_selectorILb0EtEEZNS1_24adjacent_difference_implIS3_Lb0ELb0EPtS7_N6thrust23THRUST_200600_302600_NS4plusItEEEE10hipError_tPvRmT2_T3_mT4_P12ihipStream_tbEUlT_E_NS1_11comp_targetILNS1_3genE0ELNS1_11target_archE4294967295ELNS1_3gpuE0ELNS1_3repE0EEENS1_30default_config_static_selectorELNS0_4arch9wavefront6targetE1EEEvT1_
                                        ; -- End function
	.section	.AMDGPU.csdata,"",@progbits
; Kernel info:
; codeLenInByte = 0
; NumSgprs: 6
; NumVgprs: 0
; NumAgprs: 0
; TotalNumVgprs: 0
; ScratchSize: 0
; MemoryBound: 0
; FloatMode: 240
; IeeeMode: 1
; LDSByteSize: 0 bytes/workgroup (compile time only)
; SGPRBlocks: 0
; VGPRBlocks: 0
; NumSGPRsForWavesPerEU: 6
; NumVGPRsForWavesPerEU: 1
; AccumOffset: 4
; Occupancy: 8
; WaveLimiterHint : 0
; COMPUTE_PGM_RSRC2:SCRATCH_EN: 0
; COMPUTE_PGM_RSRC2:USER_SGPR: 2
; COMPUTE_PGM_RSRC2:TRAP_HANDLER: 0
; COMPUTE_PGM_RSRC2:TGID_X_EN: 1
; COMPUTE_PGM_RSRC2:TGID_Y_EN: 0
; COMPUTE_PGM_RSRC2:TGID_Z_EN: 0
; COMPUTE_PGM_RSRC2:TIDIG_COMP_CNT: 0
; COMPUTE_PGM_RSRC3_GFX90A:ACCUM_OFFSET: 0
; COMPUTE_PGM_RSRC3_GFX90A:TG_SPLIT: 0
	.section	.text._ZN7rocprim17ROCPRIM_400000_NS6detail17trampoline_kernelINS0_14default_configENS1_35adjacent_difference_config_selectorILb0EtEEZNS1_24adjacent_difference_implIS3_Lb0ELb0EPtS7_N6thrust23THRUST_200600_302600_NS4plusItEEEE10hipError_tPvRmT2_T3_mT4_P12ihipStream_tbEUlT_E_NS1_11comp_targetILNS1_3genE10ELNS1_11target_archE1201ELNS1_3gpuE5ELNS1_3repE0EEENS1_30default_config_static_selectorELNS0_4arch9wavefront6targetE1EEEvT1_,"axG",@progbits,_ZN7rocprim17ROCPRIM_400000_NS6detail17trampoline_kernelINS0_14default_configENS1_35adjacent_difference_config_selectorILb0EtEEZNS1_24adjacent_difference_implIS3_Lb0ELb0EPtS7_N6thrust23THRUST_200600_302600_NS4plusItEEEE10hipError_tPvRmT2_T3_mT4_P12ihipStream_tbEUlT_E_NS1_11comp_targetILNS1_3genE10ELNS1_11target_archE1201ELNS1_3gpuE5ELNS1_3repE0EEENS1_30default_config_static_selectorELNS0_4arch9wavefront6targetE1EEEvT1_,comdat
	.protected	_ZN7rocprim17ROCPRIM_400000_NS6detail17trampoline_kernelINS0_14default_configENS1_35adjacent_difference_config_selectorILb0EtEEZNS1_24adjacent_difference_implIS3_Lb0ELb0EPtS7_N6thrust23THRUST_200600_302600_NS4plusItEEEE10hipError_tPvRmT2_T3_mT4_P12ihipStream_tbEUlT_E_NS1_11comp_targetILNS1_3genE10ELNS1_11target_archE1201ELNS1_3gpuE5ELNS1_3repE0EEENS1_30default_config_static_selectorELNS0_4arch9wavefront6targetE1EEEvT1_ ; -- Begin function _ZN7rocprim17ROCPRIM_400000_NS6detail17trampoline_kernelINS0_14default_configENS1_35adjacent_difference_config_selectorILb0EtEEZNS1_24adjacent_difference_implIS3_Lb0ELb0EPtS7_N6thrust23THRUST_200600_302600_NS4plusItEEEE10hipError_tPvRmT2_T3_mT4_P12ihipStream_tbEUlT_E_NS1_11comp_targetILNS1_3genE10ELNS1_11target_archE1201ELNS1_3gpuE5ELNS1_3repE0EEENS1_30default_config_static_selectorELNS0_4arch9wavefront6targetE1EEEvT1_
	.globl	_ZN7rocprim17ROCPRIM_400000_NS6detail17trampoline_kernelINS0_14default_configENS1_35adjacent_difference_config_selectorILb0EtEEZNS1_24adjacent_difference_implIS3_Lb0ELb0EPtS7_N6thrust23THRUST_200600_302600_NS4plusItEEEE10hipError_tPvRmT2_T3_mT4_P12ihipStream_tbEUlT_E_NS1_11comp_targetILNS1_3genE10ELNS1_11target_archE1201ELNS1_3gpuE5ELNS1_3repE0EEENS1_30default_config_static_selectorELNS0_4arch9wavefront6targetE1EEEvT1_
	.p2align	8
	.type	_ZN7rocprim17ROCPRIM_400000_NS6detail17trampoline_kernelINS0_14default_configENS1_35adjacent_difference_config_selectorILb0EtEEZNS1_24adjacent_difference_implIS3_Lb0ELb0EPtS7_N6thrust23THRUST_200600_302600_NS4plusItEEEE10hipError_tPvRmT2_T3_mT4_P12ihipStream_tbEUlT_E_NS1_11comp_targetILNS1_3genE10ELNS1_11target_archE1201ELNS1_3gpuE5ELNS1_3repE0EEENS1_30default_config_static_selectorELNS0_4arch9wavefront6targetE1EEEvT1_,@function
_ZN7rocprim17ROCPRIM_400000_NS6detail17trampoline_kernelINS0_14default_configENS1_35adjacent_difference_config_selectorILb0EtEEZNS1_24adjacent_difference_implIS3_Lb0ELb0EPtS7_N6thrust23THRUST_200600_302600_NS4plusItEEEE10hipError_tPvRmT2_T3_mT4_P12ihipStream_tbEUlT_E_NS1_11comp_targetILNS1_3genE10ELNS1_11target_archE1201ELNS1_3gpuE5ELNS1_3repE0EEENS1_30default_config_static_selectorELNS0_4arch9wavefront6targetE1EEEvT1_: ; @_ZN7rocprim17ROCPRIM_400000_NS6detail17trampoline_kernelINS0_14default_configENS1_35adjacent_difference_config_selectorILb0EtEEZNS1_24adjacent_difference_implIS3_Lb0ELb0EPtS7_N6thrust23THRUST_200600_302600_NS4plusItEEEE10hipError_tPvRmT2_T3_mT4_P12ihipStream_tbEUlT_E_NS1_11comp_targetILNS1_3genE10ELNS1_11target_archE1201ELNS1_3gpuE5ELNS1_3repE0EEENS1_30default_config_static_selectorELNS0_4arch9wavefront6targetE1EEEvT1_
; %bb.0:
	.section	.rodata,"a",@progbits
	.p2align	6, 0x0
	.amdhsa_kernel _ZN7rocprim17ROCPRIM_400000_NS6detail17trampoline_kernelINS0_14default_configENS1_35adjacent_difference_config_selectorILb0EtEEZNS1_24adjacent_difference_implIS3_Lb0ELb0EPtS7_N6thrust23THRUST_200600_302600_NS4plusItEEEE10hipError_tPvRmT2_T3_mT4_P12ihipStream_tbEUlT_E_NS1_11comp_targetILNS1_3genE10ELNS1_11target_archE1201ELNS1_3gpuE5ELNS1_3repE0EEENS1_30default_config_static_selectorELNS0_4arch9wavefront6targetE1EEEvT1_
		.amdhsa_group_segment_fixed_size 0
		.amdhsa_private_segment_fixed_size 0
		.amdhsa_kernarg_size 56
		.amdhsa_user_sgpr_count 2
		.amdhsa_user_sgpr_dispatch_ptr 0
		.amdhsa_user_sgpr_queue_ptr 0
		.amdhsa_user_sgpr_kernarg_segment_ptr 1
		.amdhsa_user_sgpr_dispatch_id 0
		.amdhsa_user_sgpr_kernarg_preload_length 0
		.amdhsa_user_sgpr_kernarg_preload_offset 0
		.amdhsa_user_sgpr_private_segment_size 0
		.amdhsa_uses_dynamic_stack 0
		.amdhsa_enable_private_segment 0
		.amdhsa_system_sgpr_workgroup_id_x 1
		.amdhsa_system_sgpr_workgroup_id_y 0
		.amdhsa_system_sgpr_workgroup_id_z 0
		.amdhsa_system_sgpr_workgroup_info 0
		.amdhsa_system_vgpr_workitem_id 0
		.amdhsa_next_free_vgpr 1
		.amdhsa_next_free_sgpr 0
		.amdhsa_accum_offset 4
		.amdhsa_reserve_vcc 0
		.amdhsa_float_round_mode_32 0
		.amdhsa_float_round_mode_16_64 0
		.amdhsa_float_denorm_mode_32 3
		.amdhsa_float_denorm_mode_16_64 3
		.amdhsa_dx10_clamp 1
		.amdhsa_ieee_mode 1
		.amdhsa_fp16_overflow 0
		.amdhsa_tg_split 0
		.amdhsa_exception_fp_ieee_invalid_op 0
		.amdhsa_exception_fp_denorm_src 0
		.amdhsa_exception_fp_ieee_div_zero 0
		.amdhsa_exception_fp_ieee_overflow 0
		.amdhsa_exception_fp_ieee_underflow 0
		.amdhsa_exception_fp_ieee_inexact 0
		.amdhsa_exception_int_div_zero 0
	.end_amdhsa_kernel
	.section	.text._ZN7rocprim17ROCPRIM_400000_NS6detail17trampoline_kernelINS0_14default_configENS1_35adjacent_difference_config_selectorILb0EtEEZNS1_24adjacent_difference_implIS3_Lb0ELb0EPtS7_N6thrust23THRUST_200600_302600_NS4plusItEEEE10hipError_tPvRmT2_T3_mT4_P12ihipStream_tbEUlT_E_NS1_11comp_targetILNS1_3genE10ELNS1_11target_archE1201ELNS1_3gpuE5ELNS1_3repE0EEENS1_30default_config_static_selectorELNS0_4arch9wavefront6targetE1EEEvT1_,"axG",@progbits,_ZN7rocprim17ROCPRIM_400000_NS6detail17trampoline_kernelINS0_14default_configENS1_35adjacent_difference_config_selectorILb0EtEEZNS1_24adjacent_difference_implIS3_Lb0ELb0EPtS7_N6thrust23THRUST_200600_302600_NS4plusItEEEE10hipError_tPvRmT2_T3_mT4_P12ihipStream_tbEUlT_E_NS1_11comp_targetILNS1_3genE10ELNS1_11target_archE1201ELNS1_3gpuE5ELNS1_3repE0EEENS1_30default_config_static_selectorELNS0_4arch9wavefront6targetE1EEEvT1_,comdat
.Lfunc_end340:
	.size	_ZN7rocprim17ROCPRIM_400000_NS6detail17trampoline_kernelINS0_14default_configENS1_35adjacent_difference_config_selectorILb0EtEEZNS1_24adjacent_difference_implIS3_Lb0ELb0EPtS7_N6thrust23THRUST_200600_302600_NS4plusItEEEE10hipError_tPvRmT2_T3_mT4_P12ihipStream_tbEUlT_E_NS1_11comp_targetILNS1_3genE10ELNS1_11target_archE1201ELNS1_3gpuE5ELNS1_3repE0EEENS1_30default_config_static_selectorELNS0_4arch9wavefront6targetE1EEEvT1_, .Lfunc_end340-_ZN7rocprim17ROCPRIM_400000_NS6detail17trampoline_kernelINS0_14default_configENS1_35adjacent_difference_config_selectorILb0EtEEZNS1_24adjacent_difference_implIS3_Lb0ELb0EPtS7_N6thrust23THRUST_200600_302600_NS4plusItEEEE10hipError_tPvRmT2_T3_mT4_P12ihipStream_tbEUlT_E_NS1_11comp_targetILNS1_3genE10ELNS1_11target_archE1201ELNS1_3gpuE5ELNS1_3repE0EEENS1_30default_config_static_selectorELNS0_4arch9wavefront6targetE1EEEvT1_
                                        ; -- End function
	.section	.AMDGPU.csdata,"",@progbits
; Kernel info:
; codeLenInByte = 0
; NumSgprs: 6
; NumVgprs: 0
; NumAgprs: 0
; TotalNumVgprs: 0
; ScratchSize: 0
; MemoryBound: 0
; FloatMode: 240
; IeeeMode: 1
; LDSByteSize: 0 bytes/workgroup (compile time only)
; SGPRBlocks: 0
; VGPRBlocks: 0
; NumSGPRsForWavesPerEU: 6
; NumVGPRsForWavesPerEU: 1
; AccumOffset: 4
; Occupancy: 8
; WaveLimiterHint : 0
; COMPUTE_PGM_RSRC2:SCRATCH_EN: 0
; COMPUTE_PGM_RSRC2:USER_SGPR: 2
; COMPUTE_PGM_RSRC2:TRAP_HANDLER: 0
; COMPUTE_PGM_RSRC2:TGID_X_EN: 1
; COMPUTE_PGM_RSRC2:TGID_Y_EN: 0
; COMPUTE_PGM_RSRC2:TGID_Z_EN: 0
; COMPUTE_PGM_RSRC2:TIDIG_COMP_CNT: 0
; COMPUTE_PGM_RSRC3_GFX90A:ACCUM_OFFSET: 0
; COMPUTE_PGM_RSRC3_GFX90A:TG_SPLIT: 0
	.section	.text._ZN7rocprim17ROCPRIM_400000_NS6detail17trampoline_kernelINS0_14default_configENS1_35adjacent_difference_config_selectorILb0EtEEZNS1_24adjacent_difference_implIS3_Lb0ELb0EPtS7_N6thrust23THRUST_200600_302600_NS4plusItEEEE10hipError_tPvRmT2_T3_mT4_P12ihipStream_tbEUlT_E_NS1_11comp_targetILNS1_3genE5ELNS1_11target_archE942ELNS1_3gpuE9ELNS1_3repE0EEENS1_30default_config_static_selectorELNS0_4arch9wavefront6targetE1EEEvT1_,"axG",@progbits,_ZN7rocprim17ROCPRIM_400000_NS6detail17trampoline_kernelINS0_14default_configENS1_35adjacent_difference_config_selectorILb0EtEEZNS1_24adjacent_difference_implIS3_Lb0ELb0EPtS7_N6thrust23THRUST_200600_302600_NS4plusItEEEE10hipError_tPvRmT2_T3_mT4_P12ihipStream_tbEUlT_E_NS1_11comp_targetILNS1_3genE5ELNS1_11target_archE942ELNS1_3gpuE9ELNS1_3repE0EEENS1_30default_config_static_selectorELNS0_4arch9wavefront6targetE1EEEvT1_,comdat
	.protected	_ZN7rocprim17ROCPRIM_400000_NS6detail17trampoline_kernelINS0_14default_configENS1_35adjacent_difference_config_selectorILb0EtEEZNS1_24adjacent_difference_implIS3_Lb0ELb0EPtS7_N6thrust23THRUST_200600_302600_NS4plusItEEEE10hipError_tPvRmT2_T3_mT4_P12ihipStream_tbEUlT_E_NS1_11comp_targetILNS1_3genE5ELNS1_11target_archE942ELNS1_3gpuE9ELNS1_3repE0EEENS1_30default_config_static_selectorELNS0_4arch9wavefront6targetE1EEEvT1_ ; -- Begin function _ZN7rocprim17ROCPRIM_400000_NS6detail17trampoline_kernelINS0_14default_configENS1_35adjacent_difference_config_selectorILb0EtEEZNS1_24adjacent_difference_implIS3_Lb0ELb0EPtS7_N6thrust23THRUST_200600_302600_NS4plusItEEEE10hipError_tPvRmT2_T3_mT4_P12ihipStream_tbEUlT_E_NS1_11comp_targetILNS1_3genE5ELNS1_11target_archE942ELNS1_3gpuE9ELNS1_3repE0EEENS1_30default_config_static_selectorELNS0_4arch9wavefront6targetE1EEEvT1_
	.globl	_ZN7rocprim17ROCPRIM_400000_NS6detail17trampoline_kernelINS0_14default_configENS1_35adjacent_difference_config_selectorILb0EtEEZNS1_24adjacent_difference_implIS3_Lb0ELb0EPtS7_N6thrust23THRUST_200600_302600_NS4plusItEEEE10hipError_tPvRmT2_T3_mT4_P12ihipStream_tbEUlT_E_NS1_11comp_targetILNS1_3genE5ELNS1_11target_archE942ELNS1_3gpuE9ELNS1_3repE0EEENS1_30default_config_static_selectorELNS0_4arch9wavefront6targetE1EEEvT1_
	.p2align	8
	.type	_ZN7rocprim17ROCPRIM_400000_NS6detail17trampoline_kernelINS0_14default_configENS1_35adjacent_difference_config_selectorILb0EtEEZNS1_24adjacent_difference_implIS3_Lb0ELb0EPtS7_N6thrust23THRUST_200600_302600_NS4plusItEEEE10hipError_tPvRmT2_T3_mT4_P12ihipStream_tbEUlT_E_NS1_11comp_targetILNS1_3genE5ELNS1_11target_archE942ELNS1_3gpuE9ELNS1_3repE0EEENS1_30default_config_static_selectorELNS0_4arch9wavefront6targetE1EEEvT1_,@function
_ZN7rocprim17ROCPRIM_400000_NS6detail17trampoline_kernelINS0_14default_configENS1_35adjacent_difference_config_selectorILb0EtEEZNS1_24adjacent_difference_implIS3_Lb0ELb0EPtS7_N6thrust23THRUST_200600_302600_NS4plusItEEEE10hipError_tPvRmT2_T3_mT4_P12ihipStream_tbEUlT_E_NS1_11comp_targetILNS1_3genE5ELNS1_11target_archE942ELNS1_3gpuE9ELNS1_3repE0EEENS1_30default_config_static_selectorELNS0_4arch9wavefront6targetE1EEEvT1_: ; @_ZN7rocprim17ROCPRIM_400000_NS6detail17trampoline_kernelINS0_14default_configENS1_35adjacent_difference_config_selectorILb0EtEEZNS1_24adjacent_difference_implIS3_Lb0ELb0EPtS7_N6thrust23THRUST_200600_302600_NS4plusItEEEE10hipError_tPvRmT2_T3_mT4_P12ihipStream_tbEUlT_E_NS1_11comp_targetILNS1_3genE5ELNS1_11target_archE942ELNS1_3gpuE9ELNS1_3repE0EEENS1_30default_config_static_selectorELNS0_4arch9wavefront6targetE1EEEvT1_
; %bb.0:
	s_load_dwordx8 s[4:11], s[0:1], 0x0
	s_mov_b32 s12, 0x3f0f0aa0
	v_bfrev_b32_e32 v1, 11
	s_movk_i32 s3, 0x1100
	s_load_dwordx2 s[0:1], s[0:1], 0x30
	s_waitcnt lgkmcnt(0)
	s_lshl_b64 s[6:7], s[6:7], 1
	s_add_u32 s20, s4, s6
	s_addc_u32 s21, s5, s7
	s_add_u32 s12, 0x367, s12
	s_addc_u32 s13, 0, 0
	v_add_co_u32_e32 v1, vcc, s12, v1
	s_cmp_lg_u64 vcc, 0
	v_readfirstlane_b32 s14, v1
	s_addc_u32 s12, s13, 0xf0f0e
	s_mul_hi_u32 s15, s14, 0xffffef00
	s_mul_i32 s13, s12, 0xffffef00
	s_sub_i32 s15, s15, s14
	s_add_i32 s15, s15, s13
	s_mul_i32 s17, s14, 0xffffef00
	s_mul_hi_u32 s13, s14, s15
	s_mul_i32 s16, s14, s15
	s_mul_hi_u32 s14, s14, s17
	s_add_u32 s14, s14, s16
	s_addc_u32 s13, 0, s13
	s_mul_hi_u32 s18, s12, s17
	s_mul_i32 s17, s12, s17
	s_add_u32 s14, s14, s17
	s_mul_hi_u32 s16, s12, s15
	s_addc_u32 s13, s13, s18
	s_addc_u32 s14, s16, 0
	s_mul_i32 s15, s12, s15
	s_add_u32 s13, s13, s15
	s_addc_u32 s14, 0, s14
	v_add_co_u32_e32 v1, vcc, s13, v1
	s_cmp_lg_u64 vcc, 0
	s_addc_u32 s12, s12, s14
	v_readfirstlane_b32 s15, v1
	s_mul_i32 s14, s10, s12
	s_mul_hi_u32 s16, s10, s15
	s_mul_hi_u32 s13, s10, s12
	s_add_u32 s14, s16, s14
	s_addc_u32 s13, 0, s13
	s_mul_hi_u32 s17, s11, s15
	s_mul_i32 s15, s11, s15
	s_add_u32 s14, s14, s15
	s_mul_hi_u32 s16, s11, s12
	s_addc_u32 s13, s13, s17
	s_addc_u32 s14, s16, 0
	s_mul_i32 s12, s11, s12
	s_add_u32 s12, s13, s12
	s_addc_u32 s13, 0, s14
	s_add_u32 s14, s12, 1
	s_addc_u32 s15, s13, 0
	s_add_u32 s16, s12, 2
	s_mul_i32 s18, s13, 0x1100
	s_mul_hi_u32 s19, s12, 0x1100
	s_addc_u32 s17, s13, 0
	s_add_i32 s19, s19, s18
	s_mul_i32 s18, s12, 0x1100
	v_mov_b32_e32 v1, s18
	v_sub_co_u32_e32 v1, vcc, s10, v1
	s_cmp_lg_u64 vcc, 0
	s_subb_u32 s18, s11, s19
	v_subrev_co_u32_e32 v2, vcc, s3, v1
	s_cmp_lg_u64 vcc, 0
	s_subb_u32 s3, s18, 0
	v_readfirstlane_b32 s19, v2
	s_cmpk_gt_u32 s19, 0x10ff
	s_cselect_b32 s19, -1, 0
	s_cmp_eq_u32 s3, 0
	s_cselect_b32 s3, s19, -1
	s_cmp_lg_u32 s3, 0
	s_cselect_b32 s3, s16, s14
	s_cselect_b32 s14, s17, s15
	v_readfirstlane_b32 s15, v1
	s_cmpk_gt_u32 s15, 0x10ff
	s_cselect_b32 s15, -1, 0
	s_cmp_eq_u32 s18, 0
	s_cselect_b32 s15, s15, -1
	s_cmp_lg_u32 s15, 0
	s_cselect_b32 s14, s14, s13
	s_cselect_b32 s3, s3, s12
	s_mul_i32 s12, s14, 0x1100
	s_mul_hi_u32 s13, s3, 0x1100
	s_add_i32 s13, s13, s12
	s_mul_i32 s12, s3, 0x1100
	s_sub_u32 s12, s10, s12
	s_subb_u32 s13, s11, s13
	s_cmp_lg_u64 s[12:13], 0
	s_cselect_b64 s[12:13], -1, 0
	v_cndmask_b32_e64 v1, 0, 1, s[12:13]
	s_mul_i32 s4, s2, 0x1100
	v_readfirstlane_b32 s11, v1
	s_add_u32 s12, s3, s11
	s_addc_u32 s13, s14, 0
	s_add_u32 s2, s0, s2
	s_addc_u32 s3, s1, 0
	s_add_u32 s14, s12, -1
	s_addc_u32 s15, s13, -1
	v_mov_b64_e32 v[2:3], s[14:15]
	v_cmp_ge_u64_e64 s[0:1], s[2:3], v[2:3]
	s_mov_b32 s5, 0
	s_mov_b64 s[16:17], -1
	s_and_b64 vcc, exec, s[0:1]
	s_mul_i32 s11, s14, 0xffffef00
	s_cbranch_vccz .LBB341_36
; %bb.1:
	s_add_i32 s22, s11, s10
	s_lshl_b64 s[16:17], s[4:5], 1
	s_add_u32 s16, s20, s16
	s_addc_u32 s17, s21, s17
	v_cmp_gt_u32_e32 vcc, s22, v0
                                        ; implicit-def: $vgpr1
	s_and_saveexec_b64 s[18:19], vcc
	s_cbranch_execz .LBB341_3
; %bb.2:
	v_lshlrev_b32_e32 v1, 1, v0
	global_load_ushort v1, v1, s[16:17]
.LBB341_3:
	s_or_b64 exec, exec, s[18:19]
	v_or_b32_e32 v2, 0x100, v0
	v_cmp_gt_u32_e32 vcc, s22, v2
                                        ; implicit-def: $vgpr2
	s_and_saveexec_b64 s[18:19], vcc
	s_cbranch_execz .LBB341_5
; %bb.4:
	v_lshlrev_b32_e32 v2, 1, v0
	global_load_ushort v2, v2, s[16:17] offset:512
.LBB341_5:
	s_or_b64 exec, exec, s[18:19]
	v_or_b32_e32 v3, 0x200, v0
	v_cmp_gt_u32_e32 vcc, s22, v3
                                        ; implicit-def: $vgpr3
	s_and_saveexec_b64 s[18:19], vcc
	s_cbranch_execz .LBB341_7
; %bb.6:
	v_lshlrev_b32_e32 v3, 1, v0
	global_load_ushort v3, v3, s[16:17] offset:1024
.LBB341_7:
	s_or_b64 exec, exec, s[18:19]
	v_or_b32_e32 v4, 0x300, v0
	v_cmp_gt_u32_e32 vcc, s22, v4
                                        ; implicit-def: $vgpr4
	s_and_saveexec_b64 s[18:19], vcc
	s_cbranch_execz .LBB341_9
; %bb.8:
	v_lshlrev_b32_e32 v4, 1, v0
	global_load_ushort v4, v4, s[16:17] offset:1536
.LBB341_9:
	s_or_b64 exec, exec, s[18:19]
	v_or_b32_e32 v5, 0x400, v0
	v_cmp_gt_u32_e32 vcc, s22, v5
                                        ; implicit-def: $vgpr5
	s_and_saveexec_b64 s[18:19], vcc
	s_cbranch_execz .LBB341_11
; %bb.10:
	v_lshlrev_b32_e32 v5, 1, v0
	global_load_ushort v5, v5, s[16:17] offset:2048
.LBB341_11:
	s_or_b64 exec, exec, s[18:19]
	v_or_b32_e32 v6, 0x500, v0
	v_cmp_gt_u32_e32 vcc, s22, v6
                                        ; implicit-def: $vgpr6
	s_and_saveexec_b64 s[18:19], vcc
	s_cbranch_execz .LBB341_13
; %bb.12:
	v_lshlrev_b32_e32 v6, 1, v0
	global_load_ushort v6, v6, s[16:17] offset:2560
.LBB341_13:
	s_or_b64 exec, exec, s[18:19]
	v_or_b32_e32 v7, 0x600, v0
	v_cmp_gt_u32_e32 vcc, s22, v7
                                        ; implicit-def: $vgpr7
	s_and_saveexec_b64 s[18:19], vcc
	s_cbranch_execz .LBB341_15
; %bb.14:
	v_lshlrev_b32_e32 v7, 1, v0
	global_load_ushort v7, v7, s[16:17] offset:3072
.LBB341_15:
	s_or_b64 exec, exec, s[18:19]
	v_or_b32_e32 v8, 0x700, v0
	v_cmp_gt_u32_e32 vcc, s22, v8
                                        ; implicit-def: $vgpr8
	s_and_saveexec_b64 s[18:19], vcc
	s_cbranch_execz .LBB341_17
; %bb.16:
	v_lshlrev_b32_e32 v8, 1, v0
	global_load_ushort v8, v8, s[16:17] offset:3584
.LBB341_17:
	s_or_b64 exec, exec, s[18:19]
	v_or_b32_e32 v10, 0x800, v0
	v_cmp_gt_u32_e32 vcc, s22, v10
                                        ; implicit-def: $vgpr9
	s_and_saveexec_b64 s[18:19], vcc
	s_cbranch_execz .LBB341_19
; %bb.18:
	v_lshlrev_b32_e32 v9, 1, v10
	global_load_ushort v9, v9, s[16:17]
.LBB341_19:
	s_or_b64 exec, exec, s[18:19]
	v_or_b32_e32 v11, 0x900, v0
	v_cmp_gt_u32_e32 vcc, s22, v11
                                        ; implicit-def: $vgpr10
	s_and_saveexec_b64 s[18:19], vcc
	s_cbranch_execz .LBB341_21
; %bb.20:
	v_lshlrev_b32_e32 v10, 1, v11
	global_load_ushort v10, v10, s[16:17]
.LBB341_21:
	s_or_b64 exec, exec, s[18:19]
	v_or_b32_e32 v12, 0xa00, v0
	v_cmp_gt_u32_e32 vcc, s22, v12
                                        ; implicit-def: $vgpr11
	s_and_saveexec_b64 s[18:19], vcc
	s_cbranch_execz .LBB341_23
; %bb.22:
	v_lshlrev_b32_e32 v11, 1, v12
	global_load_ushort v11, v11, s[16:17]
.LBB341_23:
	s_or_b64 exec, exec, s[18:19]
	v_or_b32_e32 v13, 0xb00, v0
	v_cmp_gt_u32_e32 vcc, s22, v13
                                        ; implicit-def: $vgpr12
	s_and_saveexec_b64 s[18:19], vcc
	s_cbranch_execz .LBB341_25
; %bb.24:
	v_lshlrev_b32_e32 v12, 1, v13
	global_load_ushort v12, v12, s[16:17]
.LBB341_25:
	s_or_b64 exec, exec, s[18:19]
	v_or_b32_e32 v14, 0xc00, v0
	v_cmp_gt_u32_e32 vcc, s22, v14
                                        ; implicit-def: $vgpr13
	s_and_saveexec_b64 s[18:19], vcc
	s_cbranch_execz .LBB341_27
; %bb.26:
	v_lshlrev_b32_e32 v13, 1, v14
	global_load_ushort v13, v13, s[16:17]
.LBB341_27:
	s_or_b64 exec, exec, s[18:19]
	v_or_b32_e32 v15, 0xd00, v0
	v_cmp_gt_u32_e32 vcc, s22, v15
                                        ; implicit-def: $vgpr14
	s_and_saveexec_b64 s[18:19], vcc
	s_cbranch_execz .LBB341_29
; %bb.28:
	v_lshlrev_b32_e32 v14, 1, v15
	global_load_ushort v14, v14, s[16:17]
.LBB341_29:
	s_or_b64 exec, exec, s[18:19]
	v_or_b32_e32 v16, 0xe00, v0
	v_cmp_gt_u32_e32 vcc, s22, v16
                                        ; implicit-def: $vgpr15
	s_and_saveexec_b64 s[18:19], vcc
	s_cbranch_execz .LBB341_31
; %bb.30:
	v_lshlrev_b32_e32 v15, 1, v16
	global_load_ushort v15, v15, s[16:17]
.LBB341_31:
	s_or_b64 exec, exec, s[18:19]
	v_or_b32_e32 v17, 0xf00, v0
	v_cmp_gt_u32_e32 vcc, s22, v17
                                        ; implicit-def: $vgpr16
	s_and_saveexec_b64 s[18:19], vcc
	s_cbranch_execz .LBB341_33
; %bb.32:
	v_lshlrev_b32_e32 v16, 1, v17
	global_load_ushort v16, v16, s[16:17]
.LBB341_33:
	s_or_b64 exec, exec, s[18:19]
	v_or_b32_e32 v18, 0x1000, v0
	v_cmp_gt_u32_e32 vcc, s22, v18
                                        ; implicit-def: $vgpr17
	s_and_saveexec_b64 s[18:19], vcc
	s_cbranch_execz .LBB341_35
; %bb.34:
	v_lshlrev_b32_e32 v17, 1, v18
	global_load_ushort v17, v17, s[16:17]
.LBB341_35:
	s_or_b64 exec, exec, s[18:19]
	v_lshlrev_b32_e32 v18, 1, v0
	s_mov_b64 s[16:17], 0
	s_waitcnt vmcnt(0)
	ds_write_b16 v18, v1
	ds_write_b16 v18, v2 offset:512
	ds_write_b16 v18, v3 offset:1024
	;; [unrolled: 1-line block ×16, first 2 shown]
	s_waitcnt lgkmcnt(0)
	s_barrier
.LBB341_36:
	s_and_b64 vcc, exec, s[16:17]
	v_lshlrev_b32_e32 v10, 1, v0
	s_cbranch_vccz .LBB341_38
; %bb.37:
	s_lshl_b64 s[16:17], s[4:5], 1
	s_add_u32 s16, s20, s16
	s_addc_u32 s17, s21, s17
	v_mov_b32_e32 v11, 0
	v_lshl_add_u64 v[2:3], s[16:17], 0, v[10:11]
	s_movk_i32 s5, 0x1000
	v_add_co_u32_e32 v4, vcc, s5, v2
	s_movk_i32 s5, 0x2000
	s_nop 0
	v_addc_co_u32_e32 v5, vcc, 0, v3, vcc
	v_add_co_u32_e32 v2, vcc, s5, v2
	global_load_ushort v1, v10, s[16:17]
	s_nop 0
	v_addc_co_u32_e32 v3, vcc, 0, v3, vcc
	global_load_ushort v6, v10, s[16:17] offset:512
	global_load_ushort v7, v10, s[16:17] offset:1024
	;; [unrolled: 1-line block ×7, first 2 shown]
	global_load_ushort v14, v[2:3], off offset:-4096
	global_load_ushort v15, v[4:5], off offset:512
	global_load_ushort v16, v[4:5], off offset:1024
	;; [unrolled: 1-line block ×7, first 2 shown]
                                        ; kill: killed $sgpr16 killed $sgpr17
                                        ; kill: killed $vgpr4 killed $vgpr5
	s_nop 0
	global_load_ushort v2, v[2:3], off
	s_waitcnt vmcnt(16)
	ds_write_b16 v10, v1
	s_waitcnt vmcnt(15)
	ds_write_b16 v10, v6 offset:512
	s_waitcnt vmcnt(14)
	ds_write_b16 v10, v7 offset:1024
	s_waitcnt vmcnt(13)
	ds_write_b16 v10, v8 offset:1536
	s_waitcnt vmcnt(12)
	ds_write_b16 v10, v9 offset:2048
	s_waitcnt vmcnt(11)
	ds_write_b16 v10, v11 offset:2560
	s_waitcnt vmcnt(10)
	ds_write_b16 v10, v12 offset:3072
	s_waitcnt vmcnt(9)
	ds_write_b16 v10, v13 offset:3584
	s_waitcnt vmcnt(8)
	ds_write_b16 v10, v14 offset:4096
	s_waitcnt vmcnt(7)
	ds_write_b16 v10, v15 offset:4608
	s_waitcnt vmcnt(6)
	ds_write_b16 v10, v16 offset:5120
	s_waitcnt vmcnt(5)
	ds_write_b16 v10, v17 offset:5632
	s_waitcnt vmcnt(4)
	ds_write_b16 v10, v18 offset:6144
	s_waitcnt vmcnt(3)
	ds_write_b16 v10, v19 offset:6656
	s_waitcnt vmcnt(2)
	ds_write_b16 v10, v20 offset:7168
	s_waitcnt vmcnt(1)
	ds_write_b16 v10, v21 offset:7680
	s_waitcnt vmcnt(0)
	ds_write_b16 v10, v2 offset:8192
	s_waitcnt lgkmcnt(0)
	s_barrier
.LBB341_38:
	v_mul_u32_u24_e32 v1, 17, v0
	v_lshlrev_b32_e32 v1, 1, v1
	ds_read_b128 v[6:9], v1
	ds_read_b128 v[2:5], v1 offset:16
	ds_read_u16 v11, v1 offset:32
	s_cmp_eq_u64 s[2:3], 0
	s_waitcnt lgkmcnt(0)
	s_barrier
	s_cbranch_scc1 .LBB341_43
; %bb.39:
	s_mov_b32 s5, 0
	s_lshl_b64 s[16:17], s[4:5], 1
	s_add_u32 s16, s20, s16
	s_addc_u32 s17, s21, s17
	v_mov_b32_e32 v1, 0
	global_load_ushort v20, v1, s[16:17] offset:-2
	s_cmp_eq_u64 s[2:3], s[14:15]
	s_cbranch_scc1 .LBB341_44
; %bb.40:
	v_cmp_ne_u32_e32 vcc, 0, v0
	s_waitcnt vmcnt(0)
	v_mov_b32_e32 v1, v20
	ds_write_b16 v10, v11
	s_waitcnt lgkmcnt(0)
	s_barrier
	s_and_saveexec_b64 s[14:15], vcc
	s_cbranch_execz .LBB341_42
; %bb.41:
	v_add_u32_e32 v1, -2, v10
	ds_read_u16 v1, v1
.LBB341_42:
	s_or_b64 exec, exec, s[14:15]
	s_waitcnt lgkmcnt(0)
	v_add_u16_e32 v1, v1, v6
	s_mov_b64 s[14:15], 0
	s_branch .LBB341_45
.LBB341_43:
                                        ; implicit-def: $vgpr12_vgpr13
                                        ; implicit-def: $vgpr14_vgpr15
                                        ; implicit-def: $vgpr16_vgpr17
                                        ; implicit-def: $vgpr18_vgpr19
                                        ; implicit-def: $vgpr1
	s_branch .LBB341_50
.LBB341_44:
	s_mov_b64 s[14:15], -1
                                        ; implicit-def: $vgpr1
.LBB341_45:
	s_and_b64 vcc, exec, s[14:15]
	v_mov_b64_e32 v[12:13], v[4:5]
	v_mov_b64_e32 v[14:15], v[2:3]
	;; [unrolled: 1-line block ×4, first 2 shown]
	s_cbranch_vccz .LBB341_49
; %bb.46:
	v_mul_u32_u24_e32 v1, 17, v0
	v_cmp_ne_u32_e32 vcc, 0, v0
	ds_write_b16 v10, v11
	s_waitcnt lgkmcnt(0)
	s_barrier
	s_and_saveexec_b64 s[14:15], vcc
	s_cbranch_execz .LBB341_48
; %bb.47:
	v_add_u32_e32 v12, -2, v10
	s_waitcnt vmcnt(0)
	ds_read_u16 v20, v12
.LBB341_48:
	s_or_b64 exec, exec, s[14:15]
	s_mulk_i32 s2, 0xef00
	s_add_i32 s2, s2, s10
	v_add_u32_e32 v12, 15, v1
	v_add_u32_e32 v13, 16, v1
	v_cmp_gt_u32_e32 vcc, s2, v12
	v_add_u32_e32 v14, 13, v1
	v_lshrrev_b32_e32 v16, 16, v5
	v_cndmask_b32_e32 v12, 0, v5, vcc
	v_cmp_gt_u32_e32 vcc, s2, v13
	v_add_u32_e32 v15, 14, v1
	s_mov_b32 s3, 0x5040100
	v_cndmask_b32_e32 v13, 0, v16, vcc
	v_cmp_gt_u32_e32 vcc, s2, v14
	v_perm_b32 v13, v13, v12, s3
	v_lshrrev_b32_e32 v14, 16, v4
	v_cndmask_b32_e32 v12, 0, v4, vcc
	v_cmp_gt_u32_e32 vcc, s2, v15
	v_add_u32_e32 v15, 12, v1
	v_add_u32_e32 v16, 9, v1
	v_cndmask_b32_e32 v14, 0, v14, vcc
	v_perm_b32 v12, v14, v12, s3
	v_add_u32_e32 v14, 11, v1
	v_cmp_gt_u32_e32 vcc, s2, v14
	v_lshrrev_b32_e32 v18, 16, v3
	v_add_u32_e32 v17, 10, v1
	v_cndmask_b32_e32 v14, 0, v3, vcc
	v_cmp_gt_u32_e32 vcc, s2, v15
	v_lshrrev_b32_e32 v21, 16, v9
	v_add_u32_e32 v19, 6, v1
	v_cndmask_b32_e32 v15, 0, v18, vcc
	v_cmp_gt_u32_e32 vcc, s2, v16
	v_perm_b32 v15, v15, v14, s3
	v_lshrrev_b32_e32 v16, 16, v2
	v_cndmask_b32_e32 v14, 0, v2, vcc
	v_cmp_gt_u32_e32 vcc, s2, v17
	v_add_u32_e32 v17, 8, v1
	v_add_u32_e32 v18, 5, v1
	v_cndmask_b32_e32 v16, 0, v16, vcc
	v_perm_b32 v14, v16, v14, s3
	v_add_u32_e32 v16, 7, v1
	v_cmp_gt_u32_e32 vcc, s2, v16
	v_lshrrev_b32_e32 v23, 16, v7
	v_add_u32_e32 v22, 2, v1
	v_cndmask_b32_e32 v16, 0, v9, vcc
	v_cmp_gt_u32_e32 vcc, s2, v17
	s_nop 1
	v_cndmask_b32_e32 v17, 0, v21, vcc
	v_cmp_gt_u32_e32 vcc, s2, v18
	v_perm_b32 v17, v17, v16, s3
	v_lshrrev_b32_e32 v18, 16, v8
	v_cndmask_b32_e32 v16, 0, v8, vcc
	v_cmp_gt_u32_e32 vcc, s2, v19
	v_add_u32_e32 v19, 4, v1
	v_add_u32_e32 v21, 1, v1
	v_cndmask_b32_e32 v18, 0, v18, vcc
	v_perm_b32 v16, v18, v16, s3
	v_add_u32_e32 v18, 3, v1
	v_cmp_gt_u32_e32 vcc, s2, v18
	s_nop 1
	v_cndmask_b32_e32 v18, 0, v7, vcc
	v_cmp_gt_u32_e32 vcc, s2, v19
	s_nop 1
	v_cndmask_b32_e32 v19, 0, v23, vcc
	v_cmp_gt_u32_e32 vcc, s2, v21
	v_perm_b32 v19, v19, v18, s3
	v_lshrrev_b32_e32 v21, 16, v6
	v_cndmask_b32_e32 v18, 0, v6, vcc
	v_cmp_gt_u32_e32 vcc, s2, v22
	s_nop 1
	v_cndmask_b32_e32 v21, 0, v21, vcc
	v_cmp_gt_u32_e32 vcc, s2, v1
	v_perm_b32 v18, v21, v18, s3
	s_waitcnt vmcnt(0) lgkmcnt(0)
	v_cndmask_b32_e32 v1, 0, v20, vcc
	v_add_u16_e32 v1, v1, v6
.LBB341_49:
	s_cbranch_execnz .LBB341_59
.LBB341_50:
	s_cmp_eq_u64 s[12:13], 1
	v_cmp_ne_u32_e32 vcc, 0, v0
	s_cbranch_scc1 .LBB341_54
; %bb.51:
	v_mov_b32_e32 v1, v6
	ds_write_b16 v10, v11
	s_waitcnt lgkmcnt(0)
	s_barrier
	s_and_saveexec_b64 s[2:3], vcc
	s_cbranch_execz .LBB341_53
; %bb.52:
	v_add_u32_e32 v1, -2, v10
	ds_read_u16 v1, v1
	s_waitcnt lgkmcnt(0)
	v_add_u16_e32 v1, v1, v6
.LBB341_53:
	s_or_b64 exec, exec, s[2:3]
	s_mov_b64 s[2:3], 0
	s_branch .LBB341_55
.LBB341_54:
	s_mov_b64 s[2:3], -1
                                        ; implicit-def: $vgpr1
.LBB341_55:
	s_andn2_b64 vcc, exec, s[2:3]
	v_mov_b64_e32 v[12:13], v[4:5]
	v_mov_b64_e32 v[14:15], v[2:3]
	;; [unrolled: 1-line block ×4, first 2 shown]
	s_cbranch_vccnz .LBB341_59
; %bb.56:
	v_mad_u32_u24 v12, v0, 17, 15
	v_mad_u32_u24 v13, v0, 17, 16
	v_cmp_gt_u32_e32 vcc, s10, v12
	v_mad_u32_u24 v14, v0, 17, 13
	v_lshrrev_b32_e32 v16, 16, v5
	v_cndmask_b32_e32 v12, 0, v5, vcc
	v_cmp_gt_u32_e32 vcc, s10, v13
	v_mad_u32_u24 v15, v0, 17, 14
	s_mov_b32 s2, 0x5040100
	v_cndmask_b32_e32 v13, 0, v16, vcc
	v_cmp_gt_u32_e32 vcc, s10, v14
	v_perm_b32 v13, v13, v12, s2
	v_lshrrev_b32_e32 v14, 16, v4
	v_cndmask_b32_e32 v12, 0, v4, vcc
	v_cmp_gt_u32_e32 vcc, s10, v15
	v_mad_u32_u24 v15, v0, 17, 12
	v_mad_u32_u24 v16, v0, 17, 9
	v_cndmask_b32_e32 v14, 0, v14, vcc
	v_perm_b32 v12, v14, v12, s2
	v_mad_u32_u24 v14, v0, 17, 11
	v_cmp_gt_u32_e32 vcc, s10, v14
	v_lshrrev_b32_e32 v18, 16, v3
	v_mad_u32_u24 v17, v0, 17, 10
	v_cndmask_b32_e32 v14, 0, v3, vcc
	v_cmp_gt_u32_e32 vcc, s10, v15
	s_waitcnt vmcnt(0)
	v_lshrrev_b32_e32 v20, 16, v9
	v_mad_u32_u24 v19, v0, 17, 6
	v_cndmask_b32_e32 v15, 0, v18, vcc
	v_cmp_gt_u32_e32 vcc, s10, v16
	v_perm_b32 v15, v15, v14, s2
	v_lshrrev_b32_e32 v16, 16, v2
	v_cndmask_b32_e32 v14, 0, v2, vcc
	v_cmp_gt_u32_e32 vcc, s10, v17
	v_mad_u32_u24 v17, v0, 17, 8
	v_mad_u32_u24 v18, v0, 17, 5
	v_cndmask_b32_e32 v16, 0, v16, vcc
	v_perm_b32 v14, v16, v14, s2
	v_mad_u32_u24 v16, v0, 17, 7
	v_cmp_gt_u32_e32 vcc, s10, v16
	v_lshrrev_b32_e32 v22, 16, v7
	v_mad_u32_u24 v21, v0, 17, 2
	v_cndmask_b32_e32 v16, 0, v9, vcc
	v_cmp_gt_u32_e32 vcc, s10, v17
	v_mul_u32_u24_e32 v1, 17, v0
	ds_write_b16 v10, v11
	v_cndmask_b32_e32 v17, 0, v20, vcc
	v_cmp_gt_u32_e32 vcc, s10, v18
	v_perm_b32 v17, v17, v16, s2
	v_lshrrev_b32_e32 v18, 16, v8
	v_cndmask_b32_e32 v16, 0, v8, vcc
	v_cmp_gt_u32_e32 vcc, s10, v19
	v_mad_u32_u24 v19, v0, 17, 4
	v_mad_u32_u24 v20, v0, 17, 1
	v_cndmask_b32_e32 v18, 0, v18, vcc
	v_perm_b32 v16, v18, v16, s2
	v_mad_u32_u24 v18, v0, 17, 3
	v_cmp_gt_u32_e32 vcc, s10, v18
	s_waitcnt lgkmcnt(0)
	s_barrier
	v_cndmask_b32_e32 v18, 0, v7, vcc
	v_cmp_gt_u32_e32 vcc, s10, v19
	s_nop 1
	v_cndmask_b32_e32 v19, 0, v22, vcc
	v_cmp_gt_u32_e32 vcc, s10, v20
	v_perm_b32 v19, v19, v18, s2
	v_lshrrev_b32_e32 v20, 16, v6
	v_cndmask_b32_e32 v18, 0, v6, vcc
	v_cmp_gt_u32_e32 vcc, s10, v21
	s_nop 1
	v_cndmask_b32_e32 v20, 0, v20, vcc
	v_perm_b32 v18, v20, v18, s2
	v_cmp_ne_u32_e32 vcc, 0, v0
	v_cmp_gt_u32_e64 s[2:3], s10, v1
	s_and_b64 s[12:13], vcc, s[2:3]
	v_mov_b32_e32 v1, v6
	s_and_saveexec_b64 s[2:3], s[12:13]
	s_cbranch_execz .LBB341_58
; %bb.57:
	v_add_u32_e32 v1, -2, v10
	ds_read_u16 v1, v1
	s_waitcnt lgkmcnt(0)
	v_add_u16_e32 v1, v1, v6
.LBB341_58:
	s_or_b64 exec, exec, s[2:3]
.LBB341_59:
	s_add_u32 s6, s8, s6
	v_alignbit_b32 v6, v7, v6, 16
	v_alignbit_b32 v7, v8, v7, 16
	;; [unrolled: 1-line block ×8, first 2 shown]
	s_addc_u32 s7, s9, s7
	v_pk_add_u16 v7, v19, v7
	v_pk_add_u16 v6, v18, v6
	;; [unrolled: 1-line block ×8, first 2 shown]
	s_and_b64 vcc, exec, s[0:1]
	v_mul_u32_u24_e32 v14, 34, v0
	v_lshlrev_b32_e32 v15, 5, v0
	s_barrier
	s_cbranch_vccz .LBB341_93
; %bb.60:
	v_sub_u32_e32 v11, v14, v15
	ds_write_b16 v14, v1
	ds_write_b128 v14, v[6:9] offset:2
	ds_write_b128 v14, v[2:5] offset:18
	s_waitcnt lgkmcnt(0)
	s_barrier
	ds_read_u16 v31, v11 offset:512
	ds_read_u16 v30, v11 offset:1024
	;; [unrolled: 1-line block ×11, first 2 shown]
	s_waitcnt vmcnt(0)
	ds_read_u16 v20, v11 offset:6144
	ds_read_u16 v19, v11 offset:6656
	;; [unrolled: 1-line block ×5, first 2 shown]
	s_mov_b32 s5, 0
	s_add_i32 s11, s11, s10
	s_lshl_b64 s[0:1], s[4:5], 1
	s_add_u32 s0, s6, s0
	s_addc_u32 s1, s7, s1
	v_mov_b32_e32 v11, 0
	v_lshl_add_u64 v[12:13], s[0:1], 0, v[10:11]
	v_cmp_gt_u32_e32 vcc, s11, v0
	s_and_saveexec_b64 s[0:1], vcc
	s_cbranch_execz .LBB341_62
; %bb.61:
	v_sub_u32_e32 v11, 0, v15
	v_add_u32_e32 v11, v14, v11
	ds_read_u16 v11, v11
	s_waitcnt lgkmcnt(0)
	global_store_short v[12:13], v11, off
.LBB341_62:
	s_or_b64 exec, exec, s[0:1]
	v_or_b32_e32 v11, 0x100, v0
	v_cmp_gt_u32_e32 vcc, s11, v11
	s_and_saveexec_b64 s[0:1], vcc
	s_cbranch_execz .LBB341_64
; %bb.63:
	s_waitcnt lgkmcnt(14)
	global_store_short v[12:13], v31, off offset:512
.LBB341_64:
	s_or_b64 exec, exec, s[0:1]
	v_or_b32_e32 v11, 0x200, v0
	v_cmp_gt_u32_e32 vcc, s11, v11
	s_and_saveexec_b64 s[0:1], vcc
	s_cbranch_execz .LBB341_66
; %bb.65:
	s_waitcnt lgkmcnt(14)
	global_store_short v[12:13], v30, off offset:1024
.LBB341_66:
	;; [unrolled: 9-line block ×7, first 2 shown]
	s_or_b64 exec, exec, s[0:1]
	v_or_b32_e32 v11, 0x800, v0
	v_cmp_gt_u32_e32 vcc, s11, v11
	s_and_saveexec_b64 s[0:1], vcc
	s_cbranch_execz .LBB341_78
; %bb.77:
	s_waitcnt lgkmcnt(10)
	v_add_co_u32_e32 v26, vcc, 0x1000, v12
	s_nop 1
	v_addc_co_u32_e32 v27, vcc, 0, v13, vcc
	s_waitcnt lgkmcnt(8)
	global_store_short v[26:27], v24, off
.LBB341_78:
	s_or_b64 exec, exec, s[0:1]
	v_or_b32_e32 v11, 0x900, v0
	v_cmp_gt_u32_e32 vcc, s11, v11
	s_and_saveexec_b64 s[0:1], vcc
	s_cbranch_execz .LBB341_80
; %bb.79:
	s_waitcnt lgkmcnt(8)
	v_add_co_u32_e32 v24, vcc, 0x1000, v12
	s_nop 1
	v_addc_co_u32_e32 v25, vcc, 0, v13, vcc
	s_waitcnt lgkmcnt(7)
	global_store_short v[24:25], v23, off offset:512
.LBB341_80:
	s_or_b64 exec, exec, s[0:1]
	v_or_b32_e32 v11, 0xa00, v0
	v_cmp_gt_u32_e32 vcc, s11, v11
	s_and_saveexec_b64 s[0:1], vcc
	s_cbranch_execz .LBB341_82
; %bb.81:
	s_waitcnt lgkmcnt(8)
	v_add_co_u32_e32 v24, vcc, 0x1000, v12
	s_nop 1
	v_addc_co_u32_e32 v25, vcc, 0, v13, vcc
	s_waitcnt lgkmcnt(6)
	global_store_short v[24:25], v22, off offset:1024
.LBB341_82:
	;; [unrolled: 13-line block ×7, first 2 shown]
	s_or_b64 exec, exec, s[0:1]
	v_or_b32_e32 v0, 0x1000, v0
	v_cmp_gt_u32_e64 s[0:1], s11, v0
	s_branch .LBB341_95
.LBB341_93:
	s_mov_b64 s[0:1], 0
                                        ; implicit-def: $vgpr16
                                        ; implicit-def: $vgpr12_vgpr13
	s_cbranch_execz .LBB341_95
; %bb.94:
	s_mov_b32 s5, 0
	s_lshl_b64 s[2:3], s[4:5], 1
	s_add_u32 s2, s6, s2
	v_sub_u32_e32 v0, v14, v15
	s_addc_u32 s3, s7, s3
	ds_write_b16 v14, v1
	ds_write_b128 v14, v[6:9] offset:2
	ds_write_b128 v14, v[2:5] offset:18
	s_waitcnt lgkmcnt(0)
	s_barrier
	ds_read_u16 v1, v0
	ds_read_u16 v2, v0 offset:512
	ds_read_u16 v3, v0 offset:1024
	;; [unrolled: 1-line block ×13, first 2 shown]
	s_waitcnt vmcnt(0)
	ds_read_u16 v20, v0 offset:7168
	ds_read_u16 v21, v0 offset:7680
	;; [unrolled: 1-line block ×3, first 2 shown]
	v_mov_b32_e32 v11, 0
	v_lshl_add_u64 v[12:13], s[2:3], 0, v[10:11]
	v_add_co_u32_e32 v0, vcc, 0x1000, v12
	s_waitcnt lgkmcnt(14)
	global_store_short v10, v1, s[2:3]
	global_store_short v10, v2, s[2:3] offset:512
	global_store_short v10, v3, s[2:3] offset:1024
	s_waitcnt lgkmcnt(13)
	global_store_short v10, v4, s[2:3] offset:1536
	s_waitcnt lgkmcnt(12)
	;; [unrolled: 2-line block ×5, first 2 shown]
	global_store_short v10, v8, s[2:3] offset:3584
	v_addc_co_u32_e32 v1, vcc, 0, v13, vcc
	s_or_b64 s[0:1], s[0:1], exec
	s_waitcnt lgkmcnt(8)
	global_store_short v[0:1], v9, off
	s_waitcnt lgkmcnt(7)
	global_store_short v[0:1], v14, off offset:512
	s_waitcnt lgkmcnt(6)
	global_store_short v[0:1], v15, off offset:1024
	;; [unrolled: 2-line block ×7, first 2 shown]
.LBB341_95:
	s_and_saveexec_b64 s[2:3], s[0:1]
	s_cbranch_execnz .LBB341_97
; %bb.96:
	s_endpgm
.LBB341_97:
	v_add_co_u32_e32 v0, vcc, 0x2000, v12
	s_nop 1
	v_addc_co_u32_e32 v1, vcc, 0, v13, vcc
	s_waitcnt lgkmcnt(0)
	global_store_short v[0:1], v16, off
	s_endpgm
	.section	.rodata,"a",@progbits
	.p2align	6, 0x0
	.amdhsa_kernel _ZN7rocprim17ROCPRIM_400000_NS6detail17trampoline_kernelINS0_14default_configENS1_35adjacent_difference_config_selectorILb0EtEEZNS1_24adjacent_difference_implIS3_Lb0ELb0EPtS7_N6thrust23THRUST_200600_302600_NS4plusItEEEE10hipError_tPvRmT2_T3_mT4_P12ihipStream_tbEUlT_E_NS1_11comp_targetILNS1_3genE5ELNS1_11target_archE942ELNS1_3gpuE9ELNS1_3repE0EEENS1_30default_config_static_selectorELNS0_4arch9wavefront6targetE1EEEvT1_
		.amdhsa_group_segment_fixed_size 8704
		.amdhsa_private_segment_fixed_size 0
		.amdhsa_kernarg_size 56
		.amdhsa_user_sgpr_count 2
		.amdhsa_user_sgpr_dispatch_ptr 0
		.amdhsa_user_sgpr_queue_ptr 0
		.amdhsa_user_sgpr_kernarg_segment_ptr 1
		.amdhsa_user_sgpr_dispatch_id 0
		.amdhsa_user_sgpr_kernarg_preload_length 0
		.amdhsa_user_sgpr_kernarg_preload_offset 0
		.amdhsa_user_sgpr_private_segment_size 0
		.amdhsa_uses_dynamic_stack 0
		.amdhsa_enable_private_segment 0
		.amdhsa_system_sgpr_workgroup_id_x 1
		.amdhsa_system_sgpr_workgroup_id_y 0
		.amdhsa_system_sgpr_workgroup_id_z 0
		.amdhsa_system_sgpr_workgroup_info 0
		.amdhsa_system_vgpr_workitem_id 0
		.amdhsa_next_free_vgpr 32
		.amdhsa_next_free_sgpr 23
		.amdhsa_accum_offset 32
		.amdhsa_reserve_vcc 1
		.amdhsa_float_round_mode_32 0
		.amdhsa_float_round_mode_16_64 0
		.amdhsa_float_denorm_mode_32 3
		.amdhsa_float_denorm_mode_16_64 3
		.amdhsa_dx10_clamp 1
		.amdhsa_ieee_mode 1
		.amdhsa_fp16_overflow 0
		.amdhsa_tg_split 0
		.amdhsa_exception_fp_ieee_invalid_op 0
		.amdhsa_exception_fp_denorm_src 0
		.amdhsa_exception_fp_ieee_div_zero 0
		.amdhsa_exception_fp_ieee_overflow 0
		.amdhsa_exception_fp_ieee_underflow 0
		.amdhsa_exception_fp_ieee_inexact 0
		.amdhsa_exception_int_div_zero 0
	.end_amdhsa_kernel
	.section	.text._ZN7rocprim17ROCPRIM_400000_NS6detail17trampoline_kernelINS0_14default_configENS1_35adjacent_difference_config_selectorILb0EtEEZNS1_24adjacent_difference_implIS3_Lb0ELb0EPtS7_N6thrust23THRUST_200600_302600_NS4plusItEEEE10hipError_tPvRmT2_T3_mT4_P12ihipStream_tbEUlT_E_NS1_11comp_targetILNS1_3genE5ELNS1_11target_archE942ELNS1_3gpuE9ELNS1_3repE0EEENS1_30default_config_static_selectorELNS0_4arch9wavefront6targetE1EEEvT1_,"axG",@progbits,_ZN7rocprim17ROCPRIM_400000_NS6detail17trampoline_kernelINS0_14default_configENS1_35adjacent_difference_config_selectorILb0EtEEZNS1_24adjacent_difference_implIS3_Lb0ELb0EPtS7_N6thrust23THRUST_200600_302600_NS4plusItEEEE10hipError_tPvRmT2_T3_mT4_P12ihipStream_tbEUlT_E_NS1_11comp_targetILNS1_3genE5ELNS1_11target_archE942ELNS1_3gpuE9ELNS1_3repE0EEENS1_30default_config_static_selectorELNS0_4arch9wavefront6targetE1EEEvT1_,comdat
.Lfunc_end341:
	.size	_ZN7rocprim17ROCPRIM_400000_NS6detail17trampoline_kernelINS0_14default_configENS1_35adjacent_difference_config_selectorILb0EtEEZNS1_24adjacent_difference_implIS3_Lb0ELb0EPtS7_N6thrust23THRUST_200600_302600_NS4plusItEEEE10hipError_tPvRmT2_T3_mT4_P12ihipStream_tbEUlT_E_NS1_11comp_targetILNS1_3genE5ELNS1_11target_archE942ELNS1_3gpuE9ELNS1_3repE0EEENS1_30default_config_static_selectorELNS0_4arch9wavefront6targetE1EEEvT1_, .Lfunc_end341-_ZN7rocprim17ROCPRIM_400000_NS6detail17trampoline_kernelINS0_14default_configENS1_35adjacent_difference_config_selectorILb0EtEEZNS1_24adjacent_difference_implIS3_Lb0ELb0EPtS7_N6thrust23THRUST_200600_302600_NS4plusItEEEE10hipError_tPvRmT2_T3_mT4_P12ihipStream_tbEUlT_E_NS1_11comp_targetILNS1_3genE5ELNS1_11target_archE942ELNS1_3gpuE9ELNS1_3repE0EEENS1_30default_config_static_selectorELNS0_4arch9wavefront6targetE1EEEvT1_
                                        ; -- End function
	.section	.AMDGPU.csdata,"",@progbits
; Kernel info:
; codeLenInByte = 4392
; NumSgprs: 29
; NumVgprs: 32
; NumAgprs: 0
; TotalNumVgprs: 32
; ScratchSize: 0
; MemoryBound: 0
; FloatMode: 240
; IeeeMode: 1
; LDSByteSize: 8704 bytes/workgroup (compile time only)
; SGPRBlocks: 3
; VGPRBlocks: 3
; NumSGPRsForWavesPerEU: 29
; NumVGPRsForWavesPerEU: 32
; AccumOffset: 32
; Occupancy: 7
; WaveLimiterHint : 1
; COMPUTE_PGM_RSRC2:SCRATCH_EN: 0
; COMPUTE_PGM_RSRC2:USER_SGPR: 2
; COMPUTE_PGM_RSRC2:TRAP_HANDLER: 0
; COMPUTE_PGM_RSRC2:TGID_X_EN: 1
; COMPUTE_PGM_RSRC2:TGID_Y_EN: 0
; COMPUTE_PGM_RSRC2:TGID_Z_EN: 0
; COMPUTE_PGM_RSRC2:TIDIG_COMP_CNT: 0
; COMPUTE_PGM_RSRC3_GFX90A:ACCUM_OFFSET: 7
; COMPUTE_PGM_RSRC3_GFX90A:TG_SPLIT: 0
	.section	.text._ZN7rocprim17ROCPRIM_400000_NS6detail17trampoline_kernelINS0_14default_configENS1_35adjacent_difference_config_selectorILb0EtEEZNS1_24adjacent_difference_implIS3_Lb0ELb0EPtS7_N6thrust23THRUST_200600_302600_NS4plusItEEEE10hipError_tPvRmT2_T3_mT4_P12ihipStream_tbEUlT_E_NS1_11comp_targetILNS1_3genE4ELNS1_11target_archE910ELNS1_3gpuE8ELNS1_3repE0EEENS1_30default_config_static_selectorELNS0_4arch9wavefront6targetE1EEEvT1_,"axG",@progbits,_ZN7rocprim17ROCPRIM_400000_NS6detail17trampoline_kernelINS0_14default_configENS1_35adjacent_difference_config_selectorILb0EtEEZNS1_24adjacent_difference_implIS3_Lb0ELb0EPtS7_N6thrust23THRUST_200600_302600_NS4plusItEEEE10hipError_tPvRmT2_T3_mT4_P12ihipStream_tbEUlT_E_NS1_11comp_targetILNS1_3genE4ELNS1_11target_archE910ELNS1_3gpuE8ELNS1_3repE0EEENS1_30default_config_static_selectorELNS0_4arch9wavefront6targetE1EEEvT1_,comdat
	.protected	_ZN7rocprim17ROCPRIM_400000_NS6detail17trampoline_kernelINS0_14default_configENS1_35adjacent_difference_config_selectorILb0EtEEZNS1_24adjacent_difference_implIS3_Lb0ELb0EPtS7_N6thrust23THRUST_200600_302600_NS4plusItEEEE10hipError_tPvRmT2_T3_mT4_P12ihipStream_tbEUlT_E_NS1_11comp_targetILNS1_3genE4ELNS1_11target_archE910ELNS1_3gpuE8ELNS1_3repE0EEENS1_30default_config_static_selectorELNS0_4arch9wavefront6targetE1EEEvT1_ ; -- Begin function _ZN7rocprim17ROCPRIM_400000_NS6detail17trampoline_kernelINS0_14default_configENS1_35adjacent_difference_config_selectorILb0EtEEZNS1_24adjacent_difference_implIS3_Lb0ELb0EPtS7_N6thrust23THRUST_200600_302600_NS4plusItEEEE10hipError_tPvRmT2_T3_mT4_P12ihipStream_tbEUlT_E_NS1_11comp_targetILNS1_3genE4ELNS1_11target_archE910ELNS1_3gpuE8ELNS1_3repE0EEENS1_30default_config_static_selectorELNS0_4arch9wavefront6targetE1EEEvT1_
	.globl	_ZN7rocprim17ROCPRIM_400000_NS6detail17trampoline_kernelINS0_14default_configENS1_35adjacent_difference_config_selectorILb0EtEEZNS1_24adjacent_difference_implIS3_Lb0ELb0EPtS7_N6thrust23THRUST_200600_302600_NS4plusItEEEE10hipError_tPvRmT2_T3_mT4_P12ihipStream_tbEUlT_E_NS1_11comp_targetILNS1_3genE4ELNS1_11target_archE910ELNS1_3gpuE8ELNS1_3repE0EEENS1_30default_config_static_selectorELNS0_4arch9wavefront6targetE1EEEvT1_
	.p2align	8
	.type	_ZN7rocprim17ROCPRIM_400000_NS6detail17trampoline_kernelINS0_14default_configENS1_35adjacent_difference_config_selectorILb0EtEEZNS1_24adjacent_difference_implIS3_Lb0ELb0EPtS7_N6thrust23THRUST_200600_302600_NS4plusItEEEE10hipError_tPvRmT2_T3_mT4_P12ihipStream_tbEUlT_E_NS1_11comp_targetILNS1_3genE4ELNS1_11target_archE910ELNS1_3gpuE8ELNS1_3repE0EEENS1_30default_config_static_selectorELNS0_4arch9wavefront6targetE1EEEvT1_,@function
_ZN7rocprim17ROCPRIM_400000_NS6detail17trampoline_kernelINS0_14default_configENS1_35adjacent_difference_config_selectorILb0EtEEZNS1_24adjacent_difference_implIS3_Lb0ELb0EPtS7_N6thrust23THRUST_200600_302600_NS4plusItEEEE10hipError_tPvRmT2_T3_mT4_P12ihipStream_tbEUlT_E_NS1_11comp_targetILNS1_3genE4ELNS1_11target_archE910ELNS1_3gpuE8ELNS1_3repE0EEENS1_30default_config_static_selectorELNS0_4arch9wavefront6targetE1EEEvT1_: ; @_ZN7rocprim17ROCPRIM_400000_NS6detail17trampoline_kernelINS0_14default_configENS1_35adjacent_difference_config_selectorILb0EtEEZNS1_24adjacent_difference_implIS3_Lb0ELb0EPtS7_N6thrust23THRUST_200600_302600_NS4plusItEEEE10hipError_tPvRmT2_T3_mT4_P12ihipStream_tbEUlT_E_NS1_11comp_targetILNS1_3genE4ELNS1_11target_archE910ELNS1_3gpuE8ELNS1_3repE0EEENS1_30default_config_static_selectorELNS0_4arch9wavefront6targetE1EEEvT1_
; %bb.0:
	.section	.rodata,"a",@progbits
	.p2align	6, 0x0
	.amdhsa_kernel _ZN7rocprim17ROCPRIM_400000_NS6detail17trampoline_kernelINS0_14default_configENS1_35adjacent_difference_config_selectorILb0EtEEZNS1_24adjacent_difference_implIS3_Lb0ELb0EPtS7_N6thrust23THRUST_200600_302600_NS4plusItEEEE10hipError_tPvRmT2_T3_mT4_P12ihipStream_tbEUlT_E_NS1_11comp_targetILNS1_3genE4ELNS1_11target_archE910ELNS1_3gpuE8ELNS1_3repE0EEENS1_30default_config_static_selectorELNS0_4arch9wavefront6targetE1EEEvT1_
		.amdhsa_group_segment_fixed_size 0
		.amdhsa_private_segment_fixed_size 0
		.amdhsa_kernarg_size 56
		.amdhsa_user_sgpr_count 2
		.amdhsa_user_sgpr_dispatch_ptr 0
		.amdhsa_user_sgpr_queue_ptr 0
		.amdhsa_user_sgpr_kernarg_segment_ptr 1
		.amdhsa_user_sgpr_dispatch_id 0
		.amdhsa_user_sgpr_kernarg_preload_length 0
		.amdhsa_user_sgpr_kernarg_preload_offset 0
		.amdhsa_user_sgpr_private_segment_size 0
		.amdhsa_uses_dynamic_stack 0
		.amdhsa_enable_private_segment 0
		.amdhsa_system_sgpr_workgroup_id_x 1
		.amdhsa_system_sgpr_workgroup_id_y 0
		.amdhsa_system_sgpr_workgroup_id_z 0
		.amdhsa_system_sgpr_workgroup_info 0
		.amdhsa_system_vgpr_workitem_id 0
		.amdhsa_next_free_vgpr 1
		.amdhsa_next_free_sgpr 0
		.amdhsa_accum_offset 4
		.amdhsa_reserve_vcc 0
		.amdhsa_float_round_mode_32 0
		.amdhsa_float_round_mode_16_64 0
		.amdhsa_float_denorm_mode_32 3
		.amdhsa_float_denorm_mode_16_64 3
		.amdhsa_dx10_clamp 1
		.amdhsa_ieee_mode 1
		.amdhsa_fp16_overflow 0
		.amdhsa_tg_split 0
		.amdhsa_exception_fp_ieee_invalid_op 0
		.amdhsa_exception_fp_denorm_src 0
		.amdhsa_exception_fp_ieee_div_zero 0
		.amdhsa_exception_fp_ieee_overflow 0
		.amdhsa_exception_fp_ieee_underflow 0
		.amdhsa_exception_fp_ieee_inexact 0
		.amdhsa_exception_int_div_zero 0
	.end_amdhsa_kernel
	.section	.text._ZN7rocprim17ROCPRIM_400000_NS6detail17trampoline_kernelINS0_14default_configENS1_35adjacent_difference_config_selectorILb0EtEEZNS1_24adjacent_difference_implIS3_Lb0ELb0EPtS7_N6thrust23THRUST_200600_302600_NS4plusItEEEE10hipError_tPvRmT2_T3_mT4_P12ihipStream_tbEUlT_E_NS1_11comp_targetILNS1_3genE4ELNS1_11target_archE910ELNS1_3gpuE8ELNS1_3repE0EEENS1_30default_config_static_selectorELNS0_4arch9wavefront6targetE1EEEvT1_,"axG",@progbits,_ZN7rocprim17ROCPRIM_400000_NS6detail17trampoline_kernelINS0_14default_configENS1_35adjacent_difference_config_selectorILb0EtEEZNS1_24adjacent_difference_implIS3_Lb0ELb0EPtS7_N6thrust23THRUST_200600_302600_NS4plusItEEEE10hipError_tPvRmT2_T3_mT4_P12ihipStream_tbEUlT_E_NS1_11comp_targetILNS1_3genE4ELNS1_11target_archE910ELNS1_3gpuE8ELNS1_3repE0EEENS1_30default_config_static_selectorELNS0_4arch9wavefront6targetE1EEEvT1_,comdat
.Lfunc_end342:
	.size	_ZN7rocprim17ROCPRIM_400000_NS6detail17trampoline_kernelINS0_14default_configENS1_35adjacent_difference_config_selectorILb0EtEEZNS1_24adjacent_difference_implIS3_Lb0ELb0EPtS7_N6thrust23THRUST_200600_302600_NS4plusItEEEE10hipError_tPvRmT2_T3_mT4_P12ihipStream_tbEUlT_E_NS1_11comp_targetILNS1_3genE4ELNS1_11target_archE910ELNS1_3gpuE8ELNS1_3repE0EEENS1_30default_config_static_selectorELNS0_4arch9wavefront6targetE1EEEvT1_, .Lfunc_end342-_ZN7rocprim17ROCPRIM_400000_NS6detail17trampoline_kernelINS0_14default_configENS1_35adjacent_difference_config_selectorILb0EtEEZNS1_24adjacent_difference_implIS3_Lb0ELb0EPtS7_N6thrust23THRUST_200600_302600_NS4plusItEEEE10hipError_tPvRmT2_T3_mT4_P12ihipStream_tbEUlT_E_NS1_11comp_targetILNS1_3genE4ELNS1_11target_archE910ELNS1_3gpuE8ELNS1_3repE0EEENS1_30default_config_static_selectorELNS0_4arch9wavefront6targetE1EEEvT1_
                                        ; -- End function
	.section	.AMDGPU.csdata,"",@progbits
; Kernel info:
; codeLenInByte = 0
; NumSgprs: 6
; NumVgprs: 0
; NumAgprs: 0
; TotalNumVgprs: 0
; ScratchSize: 0
; MemoryBound: 0
; FloatMode: 240
; IeeeMode: 1
; LDSByteSize: 0 bytes/workgroup (compile time only)
; SGPRBlocks: 0
; VGPRBlocks: 0
; NumSGPRsForWavesPerEU: 6
; NumVGPRsForWavesPerEU: 1
; AccumOffset: 4
; Occupancy: 8
; WaveLimiterHint : 0
; COMPUTE_PGM_RSRC2:SCRATCH_EN: 0
; COMPUTE_PGM_RSRC2:USER_SGPR: 2
; COMPUTE_PGM_RSRC2:TRAP_HANDLER: 0
; COMPUTE_PGM_RSRC2:TGID_X_EN: 1
; COMPUTE_PGM_RSRC2:TGID_Y_EN: 0
; COMPUTE_PGM_RSRC2:TGID_Z_EN: 0
; COMPUTE_PGM_RSRC2:TIDIG_COMP_CNT: 0
; COMPUTE_PGM_RSRC3_GFX90A:ACCUM_OFFSET: 0
; COMPUTE_PGM_RSRC3_GFX90A:TG_SPLIT: 0
	.section	.text._ZN7rocprim17ROCPRIM_400000_NS6detail17trampoline_kernelINS0_14default_configENS1_35adjacent_difference_config_selectorILb0EtEEZNS1_24adjacent_difference_implIS3_Lb0ELb0EPtS7_N6thrust23THRUST_200600_302600_NS4plusItEEEE10hipError_tPvRmT2_T3_mT4_P12ihipStream_tbEUlT_E_NS1_11comp_targetILNS1_3genE3ELNS1_11target_archE908ELNS1_3gpuE7ELNS1_3repE0EEENS1_30default_config_static_selectorELNS0_4arch9wavefront6targetE1EEEvT1_,"axG",@progbits,_ZN7rocprim17ROCPRIM_400000_NS6detail17trampoline_kernelINS0_14default_configENS1_35adjacent_difference_config_selectorILb0EtEEZNS1_24adjacent_difference_implIS3_Lb0ELb0EPtS7_N6thrust23THRUST_200600_302600_NS4plusItEEEE10hipError_tPvRmT2_T3_mT4_P12ihipStream_tbEUlT_E_NS1_11comp_targetILNS1_3genE3ELNS1_11target_archE908ELNS1_3gpuE7ELNS1_3repE0EEENS1_30default_config_static_selectorELNS0_4arch9wavefront6targetE1EEEvT1_,comdat
	.protected	_ZN7rocprim17ROCPRIM_400000_NS6detail17trampoline_kernelINS0_14default_configENS1_35adjacent_difference_config_selectorILb0EtEEZNS1_24adjacent_difference_implIS3_Lb0ELb0EPtS7_N6thrust23THRUST_200600_302600_NS4plusItEEEE10hipError_tPvRmT2_T3_mT4_P12ihipStream_tbEUlT_E_NS1_11comp_targetILNS1_3genE3ELNS1_11target_archE908ELNS1_3gpuE7ELNS1_3repE0EEENS1_30default_config_static_selectorELNS0_4arch9wavefront6targetE1EEEvT1_ ; -- Begin function _ZN7rocprim17ROCPRIM_400000_NS6detail17trampoline_kernelINS0_14default_configENS1_35adjacent_difference_config_selectorILb0EtEEZNS1_24adjacent_difference_implIS3_Lb0ELb0EPtS7_N6thrust23THRUST_200600_302600_NS4plusItEEEE10hipError_tPvRmT2_T3_mT4_P12ihipStream_tbEUlT_E_NS1_11comp_targetILNS1_3genE3ELNS1_11target_archE908ELNS1_3gpuE7ELNS1_3repE0EEENS1_30default_config_static_selectorELNS0_4arch9wavefront6targetE1EEEvT1_
	.globl	_ZN7rocprim17ROCPRIM_400000_NS6detail17trampoline_kernelINS0_14default_configENS1_35adjacent_difference_config_selectorILb0EtEEZNS1_24adjacent_difference_implIS3_Lb0ELb0EPtS7_N6thrust23THRUST_200600_302600_NS4plusItEEEE10hipError_tPvRmT2_T3_mT4_P12ihipStream_tbEUlT_E_NS1_11comp_targetILNS1_3genE3ELNS1_11target_archE908ELNS1_3gpuE7ELNS1_3repE0EEENS1_30default_config_static_selectorELNS0_4arch9wavefront6targetE1EEEvT1_
	.p2align	8
	.type	_ZN7rocprim17ROCPRIM_400000_NS6detail17trampoline_kernelINS0_14default_configENS1_35adjacent_difference_config_selectorILb0EtEEZNS1_24adjacent_difference_implIS3_Lb0ELb0EPtS7_N6thrust23THRUST_200600_302600_NS4plusItEEEE10hipError_tPvRmT2_T3_mT4_P12ihipStream_tbEUlT_E_NS1_11comp_targetILNS1_3genE3ELNS1_11target_archE908ELNS1_3gpuE7ELNS1_3repE0EEENS1_30default_config_static_selectorELNS0_4arch9wavefront6targetE1EEEvT1_,@function
_ZN7rocprim17ROCPRIM_400000_NS6detail17trampoline_kernelINS0_14default_configENS1_35adjacent_difference_config_selectorILb0EtEEZNS1_24adjacent_difference_implIS3_Lb0ELb0EPtS7_N6thrust23THRUST_200600_302600_NS4plusItEEEE10hipError_tPvRmT2_T3_mT4_P12ihipStream_tbEUlT_E_NS1_11comp_targetILNS1_3genE3ELNS1_11target_archE908ELNS1_3gpuE7ELNS1_3repE0EEENS1_30default_config_static_selectorELNS0_4arch9wavefront6targetE1EEEvT1_: ; @_ZN7rocprim17ROCPRIM_400000_NS6detail17trampoline_kernelINS0_14default_configENS1_35adjacent_difference_config_selectorILb0EtEEZNS1_24adjacent_difference_implIS3_Lb0ELb0EPtS7_N6thrust23THRUST_200600_302600_NS4plusItEEEE10hipError_tPvRmT2_T3_mT4_P12ihipStream_tbEUlT_E_NS1_11comp_targetILNS1_3genE3ELNS1_11target_archE908ELNS1_3gpuE7ELNS1_3repE0EEENS1_30default_config_static_selectorELNS0_4arch9wavefront6targetE1EEEvT1_
; %bb.0:
	.section	.rodata,"a",@progbits
	.p2align	6, 0x0
	.amdhsa_kernel _ZN7rocprim17ROCPRIM_400000_NS6detail17trampoline_kernelINS0_14default_configENS1_35adjacent_difference_config_selectorILb0EtEEZNS1_24adjacent_difference_implIS3_Lb0ELb0EPtS7_N6thrust23THRUST_200600_302600_NS4plusItEEEE10hipError_tPvRmT2_T3_mT4_P12ihipStream_tbEUlT_E_NS1_11comp_targetILNS1_3genE3ELNS1_11target_archE908ELNS1_3gpuE7ELNS1_3repE0EEENS1_30default_config_static_selectorELNS0_4arch9wavefront6targetE1EEEvT1_
		.amdhsa_group_segment_fixed_size 0
		.amdhsa_private_segment_fixed_size 0
		.amdhsa_kernarg_size 56
		.amdhsa_user_sgpr_count 2
		.amdhsa_user_sgpr_dispatch_ptr 0
		.amdhsa_user_sgpr_queue_ptr 0
		.amdhsa_user_sgpr_kernarg_segment_ptr 1
		.amdhsa_user_sgpr_dispatch_id 0
		.amdhsa_user_sgpr_kernarg_preload_length 0
		.amdhsa_user_sgpr_kernarg_preload_offset 0
		.amdhsa_user_sgpr_private_segment_size 0
		.amdhsa_uses_dynamic_stack 0
		.amdhsa_enable_private_segment 0
		.amdhsa_system_sgpr_workgroup_id_x 1
		.amdhsa_system_sgpr_workgroup_id_y 0
		.amdhsa_system_sgpr_workgroup_id_z 0
		.amdhsa_system_sgpr_workgroup_info 0
		.amdhsa_system_vgpr_workitem_id 0
		.amdhsa_next_free_vgpr 1
		.amdhsa_next_free_sgpr 0
		.amdhsa_accum_offset 4
		.amdhsa_reserve_vcc 0
		.amdhsa_float_round_mode_32 0
		.amdhsa_float_round_mode_16_64 0
		.amdhsa_float_denorm_mode_32 3
		.amdhsa_float_denorm_mode_16_64 3
		.amdhsa_dx10_clamp 1
		.amdhsa_ieee_mode 1
		.amdhsa_fp16_overflow 0
		.amdhsa_tg_split 0
		.amdhsa_exception_fp_ieee_invalid_op 0
		.amdhsa_exception_fp_denorm_src 0
		.amdhsa_exception_fp_ieee_div_zero 0
		.amdhsa_exception_fp_ieee_overflow 0
		.amdhsa_exception_fp_ieee_underflow 0
		.amdhsa_exception_fp_ieee_inexact 0
		.amdhsa_exception_int_div_zero 0
	.end_amdhsa_kernel
	.section	.text._ZN7rocprim17ROCPRIM_400000_NS6detail17trampoline_kernelINS0_14default_configENS1_35adjacent_difference_config_selectorILb0EtEEZNS1_24adjacent_difference_implIS3_Lb0ELb0EPtS7_N6thrust23THRUST_200600_302600_NS4plusItEEEE10hipError_tPvRmT2_T3_mT4_P12ihipStream_tbEUlT_E_NS1_11comp_targetILNS1_3genE3ELNS1_11target_archE908ELNS1_3gpuE7ELNS1_3repE0EEENS1_30default_config_static_selectorELNS0_4arch9wavefront6targetE1EEEvT1_,"axG",@progbits,_ZN7rocprim17ROCPRIM_400000_NS6detail17trampoline_kernelINS0_14default_configENS1_35adjacent_difference_config_selectorILb0EtEEZNS1_24adjacent_difference_implIS3_Lb0ELb0EPtS7_N6thrust23THRUST_200600_302600_NS4plusItEEEE10hipError_tPvRmT2_T3_mT4_P12ihipStream_tbEUlT_E_NS1_11comp_targetILNS1_3genE3ELNS1_11target_archE908ELNS1_3gpuE7ELNS1_3repE0EEENS1_30default_config_static_selectorELNS0_4arch9wavefront6targetE1EEEvT1_,comdat
.Lfunc_end343:
	.size	_ZN7rocprim17ROCPRIM_400000_NS6detail17trampoline_kernelINS0_14default_configENS1_35adjacent_difference_config_selectorILb0EtEEZNS1_24adjacent_difference_implIS3_Lb0ELb0EPtS7_N6thrust23THRUST_200600_302600_NS4plusItEEEE10hipError_tPvRmT2_T3_mT4_P12ihipStream_tbEUlT_E_NS1_11comp_targetILNS1_3genE3ELNS1_11target_archE908ELNS1_3gpuE7ELNS1_3repE0EEENS1_30default_config_static_selectorELNS0_4arch9wavefront6targetE1EEEvT1_, .Lfunc_end343-_ZN7rocprim17ROCPRIM_400000_NS6detail17trampoline_kernelINS0_14default_configENS1_35adjacent_difference_config_selectorILb0EtEEZNS1_24adjacent_difference_implIS3_Lb0ELb0EPtS7_N6thrust23THRUST_200600_302600_NS4plusItEEEE10hipError_tPvRmT2_T3_mT4_P12ihipStream_tbEUlT_E_NS1_11comp_targetILNS1_3genE3ELNS1_11target_archE908ELNS1_3gpuE7ELNS1_3repE0EEENS1_30default_config_static_selectorELNS0_4arch9wavefront6targetE1EEEvT1_
                                        ; -- End function
	.section	.AMDGPU.csdata,"",@progbits
; Kernel info:
; codeLenInByte = 0
; NumSgprs: 6
; NumVgprs: 0
; NumAgprs: 0
; TotalNumVgprs: 0
; ScratchSize: 0
; MemoryBound: 0
; FloatMode: 240
; IeeeMode: 1
; LDSByteSize: 0 bytes/workgroup (compile time only)
; SGPRBlocks: 0
; VGPRBlocks: 0
; NumSGPRsForWavesPerEU: 6
; NumVGPRsForWavesPerEU: 1
; AccumOffset: 4
; Occupancy: 8
; WaveLimiterHint : 0
; COMPUTE_PGM_RSRC2:SCRATCH_EN: 0
; COMPUTE_PGM_RSRC2:USER_SGPR: 2
; COMPUTE_PGM_RSRC2:TRAP_HANDLER: 0
; COMPUTE_PGM_RSRC2:TGID_X_EN: 1
; COMPUTE_PGM_RSRC2:TGID_Y_EN: 0
; COMPUTE_PGM_RSRC2:TGID_Z_EN: 0
; COMPUTE_PGM_RSRC2:TIDIG_COMP_CNT: 0
; COMPUTE_PGM_RSRC3_GFX90A:ACCUM_OFFSET: 0
; COMPUTE_PGM_RSRC3_GFX90A:TG_SPLIT: 0
	.section	.text._ZN7rocprim17ROCPRIM_400000_NS6detail17trampoline_kernelINS0_14default_configENS1_35adjacent_difference_config_selectorILb0EtEEZNS1_24adjacent_difference_implIS3_Lb0ELb0EPtS7_N6thrust23THRUST_200600_302600_NS4plusItEEEE10hipError_tPvRmT2_T3_mT4_P12ihipStream_tbEUlT_E_NS1_11comp_targetILNS1_3genE2ELNS1_11target_archE906ELNS1_3gpuE6ELNS1_3repE0EEENS1_30default_config_static_selectorELNS0_4arch9wavefront6targetE1EEEvT1_,"axG",@progbits,_ZN7rocprim17ROCPRIM_400000_NS6detail17trampoline_kernelINS0_14default_configENS1_35adjacent_difference_config_selectorILb0EtEEZNS1_24adjacent_difference_implIS3_Lb0ELb0EPtS7_N6thrust23THRUST_200600_302600_NS4plusItEEEE10hipError_tPvRmT2_T3_mT4_P12ihipStream_tbEUlT_E_NS1_11comp_targetILNS1_3genE2ELNS1_11target_archE906ELNS1_3gpuE6ELNS1_3repE0EEENS1_30default_config_static_selectorELNS0_4arch9wavefront6targetE1EEEvT1_,comdat
	.protected	_ZN7rocprim17ROCPRIM_400000_NS6detail17trampoline_kernelINS0_14default_configENS1_35adjacent_difference_config_selectorILb0EtEEZNS1_24adjacent_difference_implIS3_Lb0ELb0EPtS7_N6thrust23THRUST_200600_302600_NS4plusItEEEE10hipError_tPvRmT2_T3_mT4_P12ihipStream_tbEUlT_E_NS1_11comp_targetILNS1_3genE2ELNS1_11target_archE906ELNS1_3gpuE6ELNS1_3repE0EEENS1_30default_config_static_selectorELNS0_4arch9wavefront6targetE1EEEvT1_ ; -- Begin function _ZN7rocprim17ROCPRIM_400000_NS6detail17trampoline_kernelINS0_14default_configENS1_35adjacent_difference_config_selectorILb0EtEEZNS1_24adjacent_difference_implIS3_Lb0ELb0EPtS7_N6thrust23THRUST_200600_302600_NS4plusItEEEE10hipError_tPvRmT2_T3_mT4_P12ihipStream_tbEUlT_E_NS1_11comp_targetILNS1_3genE2ELNS1_11target_archE906ELNS1_3gpuE6ELNS1_3repE0EEENS1_30default_config_static_selectorELNS0_4arch9wavefront6targetE1EEEvT1_
	.globl	_ZN7rocprim17ROCPRIM_400000_NS6detail17trampoline_kernelINS0_14default_configENS1_35adjacent_difference_config_selectorILb0EtEEZNS1_24adjacent_difference_implIS3_Lb0ELb0EPtS7_N6thrust23THRUST_200600_302600_NS4plusItEEEE10hipError_tPvRmT2_T3_mT4_P12ihipStream_tbEUlT_E_NS1_11comp_targetILNS1_3genE2ELNS1_11target_archE906ELNS1_3gpuE6ELNS1_3repE0EEENS1_30default_config_static_selectorELNS0_4arch9wavefront6targetE1EEEvT1_
	.p2align	8
	.type	_ZN7rocprim17ROCPRIM_400000_NS6detail17trampoline_kernelINS0_14default_configENS1_35adjacent_difference_config_selectorILb0EtEEZNS1_24adjacent_difference_implIS3_Lb0ELb0EPtS7_N6thrust23THRUST_200600_302600_NS4plusItEEEE10hipError_tPvRmT2_T3_mT4_P12ihipStream_tbEUlT_E_NS1_11comp_targetILNS1_3genE2ELNS1_11target_archE906ELNS1_3gpuE6ELNS1_3repE0EEENS1_30default_config_static_selectorELNS0_4arch9wavefront6targetE1EEEvT1_,@function
_ZN7rocprim17ROCPRIM_400000_NS6detail17trampoline_kernelINS0_14default_configENS1_35adjacent_difference_config_selectorILb0EtEEZNS1_24adjacent_difference_implIS3_Lb0ELb0EPtS7_N6thrust23THRUST_200600_302600_NS4plusItEEEE10hipError_tPvRmT2_T3_mT4_P12ihipStream_tbEUlT_E_NS1_11comp_targetILNS1_3genE2ELNS1_11target_archE906ELNS1_3gpuE6ELNS1_3repE0EEENS1_30default_config_static_selectorELNS0_4arch9wavefront6targetE1EEEvT1_: ; @_ZN7rocprim17ROCPRIM_400000_NS6detail17trampoline_kernelINS0_14default_configENS1_35adjacent_difference_config_selectorILb0EtEEZNS1_24adjacent_difference_implIS3_Lb0ELb0EPtS7_N6thrust23THRUST_200600_302600_NS4plusItEEEE10hipError_tPvRmT2_T3_mT4_P12ihipStream_tbEUlT_E_NS1_11comp_targetILNS1_3genE2ELNS1_11target_archE906ELNS1_3gpuE6ELNS1_3repE0EEENS1_30default_config_static_selectorELNS0_4arch9wavefront6targetE1EEEvT1_
; %bb.0:
	.section	.rodata,"a",@progbits
	.p2align	6, 0x0
	.amdhsa_kernel _ZN7rocprim17ROCPRIM_400000_NS6detail17trampoline_kernelINS0_14default_configENS1_35adjacent_difference_config_selectorILb0EtEEZNS1_24adjacent_difference_implIS3_Lb0ELb0EPtS7_N6thrust23THRUST_200600_302600_NS4plusItEEEE10hipError_tPvRmT2_T3_mT4_P12ihipStream_tbEUlT_E_NS1_11comp_targetILNS1_3genE2ELNS1_11target_archE906ELNS1_3gpuE6ELNS1_3repE0EEENS1_30default_config_static_selectorELNS0_4arch9wavefront6targetE1EEEvT1_
		.amdhsa_group_segment_fixed_size 0
		.amdhsa_private_segment_fixed_size 0
		.amdhsa_kernarg_size 56
		.amdhsa_user_sgpr_count 2
		.amdhsa_user_sgpr_dispatch_ptr 0
		.amdhsa_user_sgpr_queue_ptr 0
		.amdhsa_user_sgpr_kernarg_segment_ptr 1
		.amdhsa_user_sgpr_dispatch_id 0
		.amdhsa_user_sgpr_kernarg_preload_length 0
		.amdhsa_user_sgpr_kernarg_preload_offset 0
		.amdhsa_user_sgpr_private_segment_size 0
		.amdhsa_uses_dynamic_stack 0
		.amdhsa_enable_private_segment 0
		.amdhsa_system_sgpr_workgroup_id_x 1
		.amdhsa_system_sgpr_workgroup_id_y 0
		.amdhsa_system_sgpr_workgroup_id_z 0
		.amdhsa_system_sgpr_workgroup_info 0
		.amdhsa_system_vgpr_workitem_id 0
		.amdhsa_next_free_vgpr 1
		.amdhsa_next_free_sgpr 0
		.amdhsa_accum_offset 4
		.amdhsa_reserve_vcc 0
		.amdhsa_float_round_mode_32 0
		.amdhsa_float_round_mode_16_64 0
		.amdhsa_float_denorm_mode_32 3
		.amdhsa_float_denorm_mode_16_64 3
		.amdhsa_dx10_clamp 1
		.amdhsa_ieee_mode 1
		.amdhsa_fp16_overflow 0
		.amdhsa_tg_split 0
		.amdhsa_exception_fp_ieee_invalid_op 0
		.amdhsa_exception_fp_denorm_src 0
		.amdhsa_exception_fp_ieee_div_zero 0
		.amdhsa_exception_fp_ieee_overflow 0
		.amdhsa_exception_fp_ieee_underflow 0
		.amdhsa_exception_fp_ieee_inexact 0
		.amdhsa_exception_int_div_zero 0
	.end_amdhsa_kernel
	.section	.text._ZN7rocprim17ROCPRIM_400000_NS6detail17trampoline_kernelINS0_14default_configENS1_35adjacent_difference_config_selectorILb0EtEEZNS1_24adjacent_difference_implIS3_Lb0ELb0EPtS7_N6thrust23THRUST_200600_302600_NS4plusItEEEE10hipError_tPvRmT2_T3_mT4_P12ihipStream_tbEUlT_E_NS1_11comp_targetILNS1_3genE2ELNS1_11target_archE906ELNS1_3gpuE6ELNS1_3repE0EEENS1_30default_config_static_selectorELNS0_4arch9wavefront6targetE1EEEvT1_,"axG",@progbits,_ZN7rocprim17ROCPRIM_400000_NS6detail17trampoline_kernelINS0_14default_configENS1_35adjacent_difference_config_selectorILb0EtEEZNS1_24adjacent_difference_implIS3_Lb0ELb0EPtS7_N6thrust23THRUST_200600_302600_NS4plusItEEEE10hipError_tPvRmT2_T3_mT4_P12ihipStream_tbEUlT_E_NS1_11comp_targetILNS1_3genE2ELNS1_11target_archE906ELNS1_3gpuE6ELNS1_3repE0EEENS1_30default_config_static_selectorELNS0_4arch9wavefront6targetE1EEEvT1_,comdat
.Lfunc_end344:
	.size	_ZN7rocprim17ROCPRIM_400000_NS6detail17trampoline_kernelINS0_14default_configENS1_35adjacent_difference_config_selectorILb0EtEEZNS1_24adjacent_difference_implIS3_Lb0ELb0EPtS7_N6thrust23THRUST_200600_302600_NS4plusItEEEE10hipError_tPvRmT2_T3_mT4_P12ihipStream_tbEUlT_E_NS1_11comp_targetILNS1_3genE2ELNS1_11target_archE906ELNS1_3gpuE6ELNS1_3repE0EEENS1_30default_config_static_selectorELNS0_4arch9wavefront6targetE1EEEvT1_, .Lfunc_end344-_ZN7rocprim17ROCPRIM_400000_NS6detail17trampoline_kernelINS0_14default_configENS1_35adjacent_difference_config_selectorILb0EtEEZNS1_24adjacent_difference_implIS3_Lb0ELb0EPtS7_N6thrust23THRUST_200600_302600_NS4plusItEEEE10hipError_tPvRmT2_T3_mT4_P12ihipStream_tbEUlT_E_NS1_11comp_targetILNS1_3genE2ELNS1_11target_archE906ELNS1_3gpuE6ELNS1_3repE0EEENS1_30default_config_static_selectorELNS0_4arch9wavefront6targetE1EEEvT1_
                                        ; -- End function
	.section	.AMDGPU.csdata,"",@progbits
; Kernel info:
; codeLenInByte = 0
; NumSgprs: 6
; NumVgprs: 0
; NumAgprs: 0
; TotalNumVgprs: 0
; ScratchSize: 0
; MemoryBound: 0
; FloatMode: 240
; IeeeMode: 1
; LDSByteSize: 0 bytes/workgroup (compile time only)
; SGPRBlocks: 0
; VGPRBlocks: 0
; NumSGPRsForWavesPerEU: 6
; NumVGPRsForWavesPerEU: 1
; AccumOffset: 4
; Occupancy: 8
; WaveLimiterHint : 0
; COMPUTE_PGM_RSRC2:SCRATCH_EN: 0
; COMPUTE_PGM_RSRC2:USER_SGPR: 2
; COMPUTE_PGM_RSRC2:TRAP_HANDLER: 0
; COMPUTE_PGM_RSRC2:TGID_X_EN: 1
; COMPUTE_PGM_RSRC2:TGID_Y_EN: 0
; COMPUTE_PGM_RSRC2:TGID_Z_EN: 0
; COMPUTE_PGM_RSRC2:TIDIG_COMP_CNT: 0
; COMPUTE_PGM_RSRC3_GFX90A:ACCUM_OFFSET: 0
; COMPUTE_PGM_RSRC3_GFX90A:TG_SPLIT: 0
	.section	.text._ZN7rocprim17ROCPRIM_400000_NS6detail17trampoline_kernelINS0_14default_configENS1_35adjacent_difference_config_selectorILb0EtEEZNS1_24adjacent_difference_implIS3_Lb0ELb0EPtS7_N6thrust23THRUST_200600_302600_NS4plusItEEEE10hipError_tPvRmT2_T3_mT4_P12ihipStream_tbEUlT_E_NS1_11comp_targetILNS1_3genE9ELNS1_11target_archE1100ELNS1_3gpuE3ELNS1_3repE0EEENS1_30default_config_static_selectorELNS0_4arch9wavefront6targetE1EEEvT1_,"axG",@progbits,_ZN7rocprim17ROCPRIM_400000_NS6detail17trampoline_kernelINS0_14default_configENS1_35adjacent_difference_config_selectorILb0EtEEZNS1_24adjacent_difference_implIS3_Lb0ELb0EPtS7_N6thrust23THRUST_200600_302600_NS4plusItEEEE10hipError_tPvRmT2_T3_mT4_P12ihipStream_tbEUlT_E_NS1_11comp_targetILNS1_3genE9ELNS1_11target_archE1100ELNS1_3gpuE3ELNS1_3repE0EEENS1_30default_config_static_selectorELNS0_4arch9wavefront6targetE1EEEvT1_,comdat
	.protected	_ZN7rocprim17ROCPRIM_400000_NS6detail17trampoline_kernelINS0_14default_configENS1_35adjacent_difference_config_selectorILb0EtEEZNS1_24adjacent_difference_implIS3_Lb0ELb0EPtS7_N6thrust23THRUST_200600_302600_NS4plusItEEEE10hipError_tPvRmT2_T3_mT4_P12ihipStream_tbEUlT_E_NS1_11comp_targetILNS1_3genE9ELNS1_11target_archE1100ELNS1_3gpuE3ELNS1_3repE0EEENS1_30default_config_static_selectorELNS0_4arch9wavefront6targetE1EEEvT1_ ; -- Begin function _ZN7rocprim17ROCPRIM_400000_NS6detail17trampoline_kernelINS0_14default_configENS1_35adjacent_difference_config_selectorILb0EtEEZNS1_24adjacent_difference_implIS3_Lb0ELb0EPtS7_N6thrust23THRUST_200600_302600_NS4plusItEEEE10hipError_tPvRmT2_T3_mT4_P12ihipStream_tbEUlT_E_NS1_11comp_targetILNS1_3genE9ELNS1_11target_archE1100ELNS1_3gpuE3ELNS1_3repE0EEENS1_30default_config_static_selectorELNS0_4arch9wavefront6targetE1EEEvT1_
	.globl	_ZN7rocprim17ROCPRIM_400000_NS6detail17trampoline_kernelINS0_14default_configENS1_35adjacent_difference_config_selectorILb0EtEEZNS1_24adjacent_difference_implIS3_Lb0ELb0EPtS7_N6thrust23THRUST_200600_302600_NS4plusItEEEE10hipError_tPvRmT2_T3_mT4_P12ihipStream_tbEUlT_E_NS1_11comp_targetILNS1_3genE9ELNS1_11target_archE1100ELNS1_3gpuE3ELNS1_3repE0EEENS1_30default_config_static_selectorELNS0_4arch9wavefront6targetE1EEEvT1_
	.p2align	8
	.type	_ZN7rocprim17ROCPRIM_400000_NS6detail17trampoline_kernelINS0_14default_configENS1_35adjacent_difference_config_selectorILb0EtEEZNS1_24adjacent_difference_implIS3_Lb0ELb0EPtS7_N6thrust23THRUST_200600_302600_NS4plusItEEEE10hipError_tPvRmT2_T3_mT4_P12ihipStream_tbEUlT_E_NS1_11comp_targetILNS1_3genE9ELNS1_11target_archE1100ELNS1_3gpuE3ELNS1_3repE0EEENS1_30default_config_static_selectorELNS0_4arch9wavefront6targetE1EEEvT1_,@function
_ZN7rocprim17ROCPRIM_400000_NS6detail17trampoline_kernelINS0_14default_configENS1_35adjacent_difference_config_selectorILb0EtEEZNS1_24adjacent_difference_implIS3_Lb0ELb0EPtS7_N6thrust23THRUST_200600_302600_NS4plusItEEEE10hipError_tPvRmT2_T3_mT4_P12ihipStream_tbEUlT_E_NS1_11comp_targetILNS1_3genE9ELNS1_11target_archE1100ELNS1_3gpuE3ELNS1_3repE0EEENS1_30default_config_static_selectorELNS0_4arch9wavefront6targetE1EEEvT1_: ; @_ZN7rocprim17ROCPRIM_400000_NS6detail17trampoline_kernelINS0_14default_configENS1_35adjacent_difference_config_selectorILb0EtEEZNS1_24adjacent_difference_implIS3_Lb0ELb0EPtS7_N6thrust23THRUST_200600_302600_NS4plusItEEEE10hipError_tPvRmT2_T3_mT4_P12ihipStream_tbEUlT_E_NS1_11comp_targetILNS1_3genE9ELNS1_11target_archE1100ELNS1_3gpuE3ELNS1_3repE0EEENS1_30default_config_static_selectorELNS0_4arch9wavefront6targetE1EEEvT1_
; %bb.0:
	.section	.rodata,"a",@progbits
	.p2align	6, 0x0
	.amdhsa_kernel _ZN7rocprim17ROCPRIM_400000_NS6detail17trampoline_kernelINS0_14default_configENS1_35adjacent_difference_config_selectorILb0EtEEZNS1_24adjacent_difference_implIS3_Lb0ELb0EPtS7_N6thrust23THRUST_200600_302600_NS4plusItEEEE10hipError_tPvRmT2_T3_mT4_P12ihipStream_tbEUlT_E_NS1_11comp_targetILNS1_3genE9ELNS1_11target_archE1100ELNS1_3gpuE3ELNS1_3repE0EEENS1_30default_config_static_selectorELNS0_4arch9wavefront6targetE1EEEvT1_
		.amdhsa_group_segment_fixed_size 0
		.amdhsa_private_segment_fixed_size 0
		.amdhsa_kernarg_size 56
		.amdhsa_user_sgpr_count 2
		.amdhsa_user_sgpr_dispatch_ptr 0
		.amdhsa_user_sgpr_queue_ptr 0
		.amdhsa_user_sgpr_kernarg_segment_ptr 1
		.amdhsa_user_sgpr_dispatch_id 0
		.amdhsa_user_sgpr_kernarg_preload_length 0
		.amdhsa_user_sgpr_kernarg_preload_offset 0
		.amdhsa_user_sgpr_private_segment_size 0
		.amdhsa_uses_dynamic_stack 0
		.amdhsa_enable_private_segment 0
		.amdhsa_system_sgpr_workgroup_id_x 1
		.amdhsa_system_sgpr_workgroup_id_y 0
		.amdhsa_system_sgpr_workgroup_id_z 0
		.amdhsa_system_sgpr_workgroup_info 0
		.amdhsa_system_vgpr_workitem_id 0
		.amdhsa_next_free_vgpr 1
		.amdhsa_next_free_sgpr 0
		.amdhsa_accum_offset 4
		.amdhsa_reserve_vcc 0
		.amdhsa_float_round_mode_32 0
		.amdhsa_float_round_mode_16_64 0
		.amdhsa_float_denorm_mode_32 3
		.amdhsa_float_denorm_mode_16_64 3
		.amdhsa_dx10_clamp 1
		.amdhsa_ieee_mode 1
		.amdhsa_fp16_overflow 0
		.amdhsa_tg_split 0
		.amdhsa_exception_fp_ieee_invalid_op 0
		.amdhsa_exception_fp_denorm_src 0
		.amdhsa_exception_fp_ieee_div_zero 0
		.amdhsa_exception_fp_ieee_overflow 0
		.amdhsa_exception_fp_ieee_underflow 0
		.amdhsa_exception_fp_ieee_inexact 0
		.amdhsa_exception_int_div_zero 0
	.end_amdhsa_kernel
	.section	.text._ZN7rocprim17ROCPRIM_400000_NS6detail17trampoline_kernelINS0_14default_configENS1_35adjacent_difference_config_selectorILb0EtEEZNS1_24adjacent_difference_implIS3_Lb0ELb0EPtS7_N6thrust23THRUST_200600_302600_NS4plusItEEEE10hipError_tPvRmT2_T3_mT4_P12ihipStream_tbEUlT_E_NS1_11comp_targetILNS1_3genE9ELNS1_11target_archE1100ELNS1_3gpuE3ELNS1_3repE0EEENS1_30default_config_static_selectorELNS0_4arch9wavefront6targetE1EEEvT1_,"axG",@progbits,_ZN7rocprim17ROCPRIM_400000_NS6detail17trampoline_kernelINS0_14default_configENS1_35adjacent_difference_config_selectorILb0EtEEZNS1_24adjacent_difference_implIS3_Lb0ELb0EPtS7_N6thrust23THRUST_200600_302600_NS4plusItEEEE10hipError_tPvRmT2_T3_mT4_P12ihipStream_tbEUlT_E_NS1_11comp_targetILNS1_3genE9ELNS1_11target_archE1100ELNS1_3gpuE3ELNS1_3repE0EEENS1_30default_config_static_selectorELNS0_4arch9wavefront6targetE1EEEvT1_,comdat
.Lfunc_end345:
	.size	_ZN7rocprim17ROCPRIM_400000_NS6detail17trampoline_kernelINS0_14default_configENS1_35adjacent_difference_config_selectorILb0EtEEZNS1_24adjacent_difference_implIS3_Lb0ELb0EPtS7_N6thrust23THRUST_200600_302600_NS4plusItEEEE10hipError_tPvRmT2_T3_mT4_P12ihipStream_tbEUlT_E_NS1_11comp_targetILNS1_3genE9ELNS1_11target_archE1100ELNS1_3gpuE3ELNS1_3repE0EEENS1_30default_config_static_selectorELNS0_4arch9wavefront6targetE1EEEvT1_, .Lfunc_end345-_ZN7rocprim17ROCPRIM_400000_NS6detail17trampoline_kernelINS0_14default_configENS1_35adjacent_difference_config_selectorILb0EtEEZNS1_24adjacent_difference_implIS3_Lb0ELb0EPtS7_N6thrust23THRUST_200600_302600_NS4plusItEEEE10hipError_tPvRmT2_T3_mT4_P12ihipStream_tbEUlT_E_NS1_11comp_targetILNS1_3genE9ELNS1_11target_archE1100ELNS1_3gpuE3ELNS1_3repE0EEENS1_30default_config_static_selectorELNS0_4arch9wavefront6targetE1EEEvT1_
                                        ; -- End function
	.section	.AMDGPU.csdata,"",@progbits
; Kernel info:
; codeLenInByte = 0
; NumSgprs: 6
; NumVgprs: 0
; NumAgprs: 0
; TotalNumVgprs: 0
; ScratchSize: 0
; MemoryBound: 0
; FloatMode: 240
; IeeeMode: 1
; LDSByteSize: 0 bytes/workgroup (compile time only)
; SGPRBlocks: 0
; VGPRBlocks: 0
; NumSGPRsForWavesPerEU: 6
; NumVGPRsForWavesPerEU: 1
; AccumOffset: 4
; Occupancy: 8
; WaveLimiterHint : 0
; COMPUTE_PGM_RSRC2:SCRATCH_EN: 0
; COMPUTE_PGM_RSRC2:USER_SGPR: 2
; COMPUTE_PGM_RSRC2:TRAP_HANDLER: 0
; COMPUTE_PGM_RSRC2:TGID_X_EN: 1
; COMPUTE_PGM_RSRC2:TGID_Y_EN: 0
; COMPUTE_PGM_RSRC2:TGID_Z_EN: 0
; COMPUTE_PGM_RSRC2:TIDIG_COMP_CNT: 0
; COMPUTE_PGM_RSRC3_GFX90A:ACCUM_OFFSET: 0
; COMPUTE_PGM_RSRC3_GFX90A:TG_SPLIT: 0
	.section	.text._ZN7rocprim17ROCPRIM_400000_NS6detail17trampoline_kernelINS0_14default_configENS1_35adjacent_difference_config_selectorILb0EtEEZNS1_24adjacent_difference_implIS3_Lb0ELb0EPtS7_N6thrust23THRUST_200600_302600_NS4plusItEEEE10hipError_tPvRmT2_T3_mT4_P12ihipStream_tbEUlT_E_NS1_11comp_targetILNS1_3genE8ELNS1_11target_archE1030ELNS1_3gpuE2ELNS1_3repE0EEENS1_30default_config_static_selectorELNS0_4arch9wavefront6targetE1EEEvT1_,"axG",@progbits,_ZN7rocprim17ROCPRIM_400000_NS6detail17trampoline_kernelINS0_14default_configENS1_35adjacent_difference_config_selectorILb0EtEEZNS1_24adjacent_difference_implIS3_Lb0ELb0EPtS7_N6thrust23THRUST_200600_302600_NS4plusItEEEE10hipError_tPvRmT2_T3_mT4_P12ihipStream_tbEUlT_E_NS1_11comp_targetILNS1_3genE8ELNS1_11target_archE1030ELNS1_3gpuE2ELNS1_3repE0EEENS1_30default_config_static_selectorELNS0_4arch9wavefront6targetE1EEEvT1_,comdat
	.protected	_ZN7rocprim17ROCPRIM_400000_NS6detail17trampoline_kernelINS0_14default_configENS1_35adjacent_difference_config_selectorILb0EtEEZNS1_24adjacent_difference_implIS3_Lb0ELb0EPtS7_N6thrust23THRUST_200600_302600_NS4plusItEEEE10hipError_tPvRmT2_T3_mT4_P12ihipStream_tbEUlT_E_NS1_11comp_targetILNS1_3genE8ELNS1_11target_archE1030ELNS1_3gpuE2ELNS1_3repE0EEENS1_30default_config_static_selectorELNS0_4arch9wavefront6targetE1EEEvT1_ ; -- Begin function _ZN7rocprim17ROCPRIM_400000_NS6detail17trampoline_kernelINS0_14default_configENS1_35adjacent_difference_config_selectorILb0EtEEZNS1_24adjacent_difference_implIS3_Lb0ELb0EPtS7_N6thrust23THRUST_200600_302600_NS4plusItEEEE10hipError_tPvRmT2_T3_mT4_P12ihipStream_tbEUlT_E_NS1_11comp_targetILNS1_3genE8ELNS1_11target_archE1030ELNS1_3gpuE2ELNS1_3repE0EEENS1_30default_config_static_selectorELNS0_4arch9wavefront6targetE1EEEvT1_
	.globl	_ZN7rocprim17ROCPRIM_400000_NS6detail17trampoline_kernelINS0_14default_configENS1_35adjacent_difference_config_selectorILb0EtEEZNS1_24adjacent_difference_implIS3_Lb0ELb0EPtS7_N6thrust23THRUST_200600_302600_NS4plusItEEEE10hipError_tPvRmT2_T3_mT4_P12ihipStream_tbEUlT_E_NS1_11comp_targetILNS1_3genE8ELNS1_11target_archE1030ELNS1_3gpuE2ELNS1_3repE0EEENS1_30default_config_static_selectorELNS0_4arch9wavefront6targetE1EEEvT1_
	.p2align	8
	.type	_ZN7rocprim17ROCPRIM_400000_NS6detail17trampoline_kernelINS0_14default_configENS1_35adjacent_difference_config_selectorILb0EtEEZNS1_24adjacent_difference_implIS3_Lb0ELb0EPtS7_N6thrust23THRUST_200600_302600_NS4plusItEEEE10hipError_tPvRmT2_T3_mT4_P12ihipStream_tbEUlT_E_NS1_11comp_targetILNS1_3genE8ELNS1_11target_archE1030ELNS1_3gpuE2ELNS1_3repE0EEENS1_30default_config_static_selectorELNS0_4arch9wavefront6targetE1EEEvT1_,@function
_ZN7rocprim17ROCPRIM_400000_NS6detail17trampoline_kernelINS0_14default_configENS1_35adjacent_difference_config_selectorILb0EtEEZNS1_24adjacent_difference_implIS3_Lb0ELb0EPtS7_N6thrust23THRUST_200600_302600_NS4plusItEEEE10hipError_tPvRmT2_T3_mT4_P12ihipStream_tbEUlT_E_NS1_11comp_targetILNS1_3genE8ELNS1_11target_archE1030ELNS1_3gpuE2ELNS1_3repE0EEENS1_30default_config_static_selectorELNS0_4arch9wavefront6targetE1EEEvT1_: ; @_ZN7rocprim17ROCPRIM_400000_NS6detail17trampoline_kernelINS0_14default_configENS1_35adjacent_difference_config_selectorILb0EtEEZNS1_24adjacent_difference_implIS3_Lb0ELb0EPtS7_N6thrust23THRUST_200600_302600_NS4plusItEEEE10hipError_tPvRmT2_T3_mT4_P12ihipStream_tbEUlT_E_NS1_11comp_targetILNS1_3genE8ELNS1_11target_archE1030ELNS1_3gpuE2ELNS1_3repE0EEENS1_30default_config_static_selectorELNS0_4arch9wavefront6targetE1EEEvT1_
; %bb.0:
	.section	.rodata,"a",@progbits
	.p2align	6, 0x0
	.amdhsa_kernel _ZN7rocprim17ROCPRIM_400000_NS6detail17trampoline_kernelINS0_14default_configENS1_35adjacent_difference_config_selectorILb0EtEEZNS1_24adjacent_difference_implIS3_Lb0ELb0EPtS7_N6thrust23THRUST_200600_302600_NS4plusItEEEE10hipError_tPvRmT2_T3_mT4_P12ihipStream_tbEUlT_E_NS1_11comp_targetILNS1_3genE8ELNS1_11target_archE1030ELNS1_3gpuE2ELNS1_3repE0EEENS1_30default_config_static_selectorELNS0_4arch9wavefront6targetE1EEEvT1_
		.amdhsa_group_segment_fixed_size 0
		.amdhsa_private_segment_fixed_size 0
		.amdhsa_kernarg_size 56
		.amdhsa_user_sgpr_count 2
		.amdhsa_user_sgpr_dispatch_ptr 0
		.amdhsa_user_sgpr_queue_ptr 0
		.amdhsa_user_sgpr_kernarg_segment_ptr 1
		.amdhsa_user_sgpr_dispatch_id 0
		.amdhsa_user_sgpr_kernarg_preload_length 0
		.amdhsa_user_sgpr_kernarg_preload_offset 0
		.amdhsa_user_sgpr_private_segment_size 0
		.amdhsa_uses_dynamic_stack 0
		.amdhsa_enable_private_segment 0
		.amdhsa_system_sgpr_workgroup_id_x 1
		.amdhsa_system_sgpr_workgroup_id_y 0
		.amdhsa_system_sgpr_workgroup_id_z 0
		.amdhsa_system_sgpr_workgroup_info 0
		.amdhsa_system_vgpr_workitem_id 0
		.amdhsa_next_free_vgpr 1
		.amdhsa_next_free_sgpr 0
		.amdhsa_accum_offset 4
		.amdhsa_reserve_vcc 0
		.amdhsa_float_round_mode_32 0
		.amdhsa_float_round_mode_16_64 0
		.amdhsa_float_denorm_mode_32 3
		.amdhsa_float_denorm_mode_16_64 3
		.amdhsa_dx10_clamp 1
		.amdhsa_ieee_mode 1
		.amdhsa_fp16_overflow 0
		.amdhsa_tg_split 0
		.amdhsa_exception_fp_ieee_invalid_op 0
		.amdhsa_exception_fp_denorm_src 0
		.amdhsa_exception_fp_ieee_div_zero 0
		.amdhsa_exception_fp_ieee_overflow 0
		.amdhsa_exception_fp_ieee_underflow 0
		.amdhsa_exception_fp_ieee_inexact 0
		.amdhsa_exception_int_div_zero 0
	.end_amdhsa_kernel
	.section	.text._ZN7rocprim17ROCPRIM_400000_NS6detail17trampoline_kernelINS0_14default_configENS1_35adjacent_difference_config_selectorILb0EtEEZNS1_24adjacent_difference_implIS3_Lb0ELb0EPtS7_N6thrust23THRUST_200600_302600_NS4plusItEEEE10hipError_tPvRmT2_T3_mT4_P12ihipStream_tbEUlT_E_NS1_11comp_targetILNS1_3genE8ELNS1_11target_archE1030ELNS1_3gpuE2ELNS1_3repE0EEENS1_30default_config_static_selectorELNS0_4arch9wavefront6targetE1EEEvT1_,"axG",@progbits,_ZN7rocprim17ROCPRIM_400000_NS6detail17trampoline_kernelINS0_14default_configENS1_35adjacent_difference_config_selectorILb0EtEEZNS1_24adjacent_difference_implIS3_Lb0ELb0EPtS7_N6thrust23THRUST_200600_302600_NS4plusItEEEE10hipError_tPvRmT2_T3_mT4_P12ihipStream_tbEUlT_E_NS1_11comp_targetILNS1_3genE8ELNS1_11target_archE1030ELNS1_3gpuE2ELNS1_3repE0EEENS1_30default_config_static_selectorELNS0_4arch9wavefront6targetE1EEEvT1_,comdat
.Lfunc_end346:
	.size	_ZN7rocprim17ROCPRIM_400000_NS6detail17trampoline_kernelINS0_14default_configENS1_35adjacent_difference_config_selectorILb0EtEEZNS1_24adjacent_difference_implIS3_Lb0ELb0EPtS7_N6thrust23THRUST_200600_302600_NS4plusItEEEE10hipError_tPvRmT2_T3_mT4_P12ihipStream_tbEUlT_E_NS1_11comp_targetILNS1_3genE8ELNS1_11target_archE1030ELNS1_3gpuE2ELNS1_3repE0EEENS1_30default_config_static_selectorELNS0_4arch9wavefront6targetE1EEEvT1_, .Lfunc_end346-_ZN7rocprim17ROCPRIM_400000_NS6detail17trampoline_kernelINS0_14default_configENS1_35adjacent_difference_config_selectorILb0EtEEZNS1_24adjacent_difference_implIS3_Lb0ELb0EPtS7_N6thrust23THRUST_200600_302600_NS4plusItEEEE10hipError_tPvRmT2_T3_mT4_P12ihipStream_tbEUlT_E_NS1_11comp_targetILNS1_3genE8ELNS1_11target_archE1030ELNS1_3gpuE2ELNS1_3repE0EEENS1_30default_config_static_selectorELNS0_4arch9wavefront6targetE1EEEvT1_
                                        ; -- End function
	.section	.AMDGPU.csdata,"",@progbits
; Kernel info:
; codeLenInByte = 0
; NumSgprs: 6
; NumVgprs: 0
; NumAgprs: 0
; TotalNumVgprs: 0
; ScratchSize: 0
; MemoryBound: 0
; FloatMode: 240
; IeeeMode: 1
; LDSByteSize: 0 bytes/workgroup (compile time only)
; SGPRBlocks: 0
; VGPRBlocks: 0
; NumSGPRsForWavesPerEU: 6
; NumVGPRsForWavesPerEU: 1
; AccumOffset: 4
; Occupancy: 8
; WaveLimiterHint : 0
; COMPUTE_PGM_RSRC2:SCRATCH_EN: 0
; COMPUTE_PGM_RSRC2:USER_SGPR: 2
; COMPUTE_PGM_RSRC2:TRAP_HANDLER: 0
; COMPUTE_PGM_RSRC2:TGID_X_EN: 1
; COMPUTE_PGM_RSRC2:TGID_Y_EN: 0
; COMPUTE_PGM_RSRC2:TGID_Z_EN: 0
; COMPUTE_PGM_RSRC2:TIDIG_COMP_CNT: 0
; COMPUTE_PGM_RSRC3_GFX90A:ACCUM_OFFSET: 0
; COMPUTE_PGM_RSRC3_GFX90A:TG_SPLIT: 0
	.section	.text._ZN7rocprim17ROCPRIM_400000_NS6detail17trampoline_kernelINS0_14default_configENS1_25transform_config_selectorItLb0EEEZNS1_14transform_implILb0ES3_S5_NS0_18transform_iteratorINS0_17counting_iteratorImlEEZNS1_24adjacent_difference_implIS3_Lb1ELb0EPtSB_N6thrust23THRUST_200600_302600_NS4plusItEEEE10hipError_tPvRmT2_T3_mT4_P12ihipStream_tbEUlmE_tEESB_NS0_8identityIvEEEESG_SJ_SK_mSL_SN_bEUlT_E_NS1_11comp_targetILNS1_3genE0ELNS1_11target_archE4294967295ELNS1_3gpuE0ELNS1_3repE0EEENS1_30default_config_static_selectorELNS0_4arch9wavefront6targetE1EEEvT1_,"axG",@progbits,_ZN7rocprim17ROCPRIM_400000_NS6detail17trampoline_kernelINS0_14default_configENS1_25transform_config_selectorItLb0EEEZNS1_14transform_implILb0ES3_S5_NS0_18transform_iteratorINS0_17counting_iteratorImlEEZNS1_24adjacent_difference_implIS3_Lb1ELb0EPtSB_N6thrust23THRUST_200600_302600_NS4plusItEEEE10hipError_tPvRmT2_T3_mT4_P12ihipStream_tbEUlmE_tEESB_NS0_8identityIvEEEESG_SJ_SK_mSL_SN_bEUlT_E_NS1_11comp_targetILNS1_3genE0ELNS1_11target_archE4294967295ELNS1_3gpuE0ELNS1_3repE0EEENS1_30default_config_static_selectorELNS0_4arch9wavefront6targetE1EEEvT1_,comdat
	.protected	_ZN7rocprim17ROCPRIM_400000_NS6detail17trampoline_kernelINS0_14default_configENS1_25transform_config_selectorItLb0EEEZNS1_14transform_implILb0ES3_S5_NS0_18transform_iteratorINS0_17counting_iteratorImlEEZNS1_24adjacent_difference_implIS3_Lb1ELb0EPtSB_N6thrust23THRUST_200600_302600_NS4plusItEEEE10hipError_tPvRmT2_T3_mT4_P12ihipStream_tbEUlmE_tEESB_NS0_8identityIvEEEESG_SJ_SK_mSL_SN_bEUlT_E_NS1_11comp_targetILNS1_3genE0ELNS1_11target_archE4294967295ELNS1_3gpuE0ELNS1_3repE0EEENS1_30default_config_static_selectorELNS0_4arch9wavefront6targetE1EEEvT1_ ; -- Begin function _ZN7rocprim17ROCPRIM_400000_NS6detail17trampoline_kernelINS0_14default_configENS1_25transform_config_selectorItLb0EEEZNS1_14transform_implILb0ES3_S5_NS0_18transform_iteratorINS0_17counting_iteratorImlEEZNS1_24adjacent_difference_implIS3_Lb1ELb0EPtSB_N6thrust23THRUST_200600_302600_NS4plusItEEEE10hipError_tPvRmT2_T3_mT4_P12ihipStream_tbEUlmE_tEESB_NS0_8identityIvEEEESG_SJ_SK_mSL_SN_bEUlT_E_NS1_11comp_targetILNS1_3genE0ELNS1_11target_archE4294967295ELNS1_3gpuE0ELNS1_3repE0EEENS1_30default_config_static_selectorELNS0_4arch9wavefront6targetE1EEEvT1_
	.globl	_ZN7rocprim17ROCPRIM_400000_NS6detail17trampoline_kernelINS0_14default_configENS1_25transform_config_selectorItLb0EEEZNS1_14transform_implILb0ES3_S5_NS0_18transform_iteratorINS0_17counting_iteratorImlEEZNS1_24adjacent_difference_implIS3_Lb1ELb0EPtSB_N6thrust23THRUST_200600_302600_NS4plusItEEEE10hipError_tPvRmT2_T3_mT4_P12ihipStream_tbEUlmE_tEESB_NS0_8identityIvEEEESG_SJ_SK_mSL_SN_bEUlT_E_NS1_11comp_targetILNS1_3genE0ELNS1_11target_archE4294967295ELNS1_3gpuE0ELNS1_3repE0EEENS1_30default_config_static_selectorELNS0_4arch9wavefront6targetE1EEEvT1_
	.p2align	8
	.type	_ZN7rocprim17ROCPRIM_400000_NS6detail17trampoline_kernelINS0_14default_configENS1_25transform_config_selectorItLb0EEEZNS1_14transform_implILb0ES3_S5_NS0_18transform_iteratorINS0_17counting_iteratorImlEEZNS1_24adjacent_difference_implIS3_Lb1ELb0EPtSB_N6thrust23THRUST_200600_302600_NS4plusItEEEE10hipError_tPvRmT2_T3_mT4_P12ihipStream_tbEUlmE_tEESB_NS0_8identityIvEEEESG_SJ_SK_mSL_SN_bEUlT_E_NS1_11comp_targetILNS1_3genE0ELNS1_11target_archE4294967295ELNS1_3gpuE0ELNS1_3repE0EEENS1_30default_config_static_selectorELNS0_4arch9wavefront6targetE1EEEvT1_,@function
_ZN7rocprim17ROCPRIM_400000_NS6detail17trampoline_kernelINS0_14default_configENS1_25transform_config_selectorItLb0EEEZNS1_14transform_implILb0ES3_S5_NS0_18transform_iteratorINS0_17counting_iteratorImlEEZNS1_24adjacent_difference_implIS3_Lb1ELb0EPtSB_N6thrust23THRUST_200600_302600_NS4plusItEEEE10hipError_tPvRmT2_T3_mT4_P12ihipStream_tbEUlmE_tEESB_NS0_8identityIvEEEESG_SJ_SK_mSL_SN_bEUlT_E_NS1_11comp_targetILNS1_3genE0ELNS1_11target_archE4294967295ELNS1_3gpuE0ELNS1_3repE0EEENS1_30default_config_static_selectorELNS0_4arch9wavefront6targetE1EEEvT1_: ; @_ZN7rocprim17ROCPRIM_400000_NS6detail17trampoline_kernelINS0_14default_configENS1_25transform_config_selectorItLb0EEEZNS1_14transform_implILb0ES3_S5_NS0_18transform_iteratorINS0_17counting_iteratorImlEEZNS1_24adjacent_difference_implIS3_Lb1ELb0EPtSB_N6thrust23THRUST_200600_302600_NS4plusItEEEE10hipError_tPvRmT2_T3_mT4_P12ihipStream_tbEUlmE_tEESB_NS0_8identityIvEEEESG_SJ_SK_mSL_SN_bEUlT_E_NS1_11comp_targetILNS1_3genE0ELNS1_11target_archE4294967295ELNS1_3gpuE0ELNS1_3repE0EEENS1_30default_config_static_selectorELNS0_4arch9wavefront6targetE1EEEvT1_
; %bb.0:
	.section	.rodata,"a",@progbits
	.p2align	6, 0x0
	.amdhsa_kernel _ZN7rocprim17ROCPRIM_400000_NS6detail17trampoline_kernelINS0_14default_configENS1_25transform_config_selectorItLb0EEEZNS1_14transform_implILb0ES3_S5_NS0_18transform_iteratorINS0_17counting_iteratorImlEEZNS1_24adjacent_difference_implIS3_Lb1ELb0EPtSB_N6thrust23THRUST_200600_302600_NS4plusItEEEE10hipError_tPvRmT2_T3_mT4_P12ihipStream_tbEUlmE_tEESB_NS0_8identityIvEEEESG_SJ_SK_mSL_SN_bEUlT_E_NS1_11comp_targetILNS1_3genE0ELNS1_11target_archE4294967295ELNS1_3gpuE0ELNS1_3repE0EEENS1_30default_config_static_selectorELNS0_4arch9wavefront6targetE1EEEvT1_
		.amdhsa_group_segment_fixed_size 0
		.amdhsa_private_segment_fixed_size 0
		.amdhsa_kernarg_size 56
		.amdhsa_user_sgpr_count 2
		.amdhsa_user_sgpr_dispatch_ptr 0
		.amdhsa_user_sgpr_queue_ptr 0
		.amdhsa_user_sgpr_kernarg_segment_ptr 1
		.amdhsa_user_sgpr_dispatch_id 0
		.amdhsa_user_sgpr_kernarg_preload_length 0
		.amdhsa_user_sgpr_kernarg_preload_offset 0
		.amdhsa_user_sgpr_private_segment_size 0
		.amdhsa_uses_dynamic_stack 0
		.amdhsa_enable_private_segment 0
		.amdhsa_system_sgpr_workgroup_id_x 1
		.amdhsa_system_sgpr_workgroup_id_y 0
		.amdhsa_system_sgpr_workgroup_id_z 0
		.amdhsa_system_sgpr_workgroup_info 0
		.amdhsa_system_vgpr_workitem_id 0
		.amdhsa_next_free_vgpr 1
		.amdhsa_next_free_sgpr 0
		.amdhsa_accum_offset 4
		.amdhsa_reserve_vcc 0
		.amdhsa_float_round_mode_32 0
		.amdhsa_float_round_mode_16_64 0
		.amdhsa_float_denorm_mode_32 3
		.amdhsa_float_denorm_mode_16_64 3
		.amdhsa_dx10_clamp 1
		.amdhsa_ieee_mode 1
		.amdhsa_fp16_overflow 0
		.amdhsa_tg_split 0
		.amdhsa_exception_fp_ieee_invalid_op 0
		.amdhsa_exception_fp_denorm_src 0
		.amdhsa_exception_fp_ieee_div_zero 0
		.amdhsa_exception_fp_ieee_overflow 0
		.amdhsa_exception_fp_ieee_underflow 0
		.amdhsa_exception_fp_ieee_inexact 0
		.amdhsa_exception_int_div_zero 0
	.end_amdhsa_kernel
	.section	.text._ZN7rocprim17ROCPRIM_400000_NS6detail17trampoline_kernelINS0_14default_configENS1_25transform_config_selectorItLb0EEEZNS1_14transform_implILb0ES3_S5_NS0_18transform_iteratorINS0_17counting_iteratorImlEEZNS1_24adjacent_difference_implIS3_Lb1ELb0EPtSB_N6thrust23THRUST_200600_302600_NS4plusItEEEE10hipError_tPvRmT2_T3_mT4_P12ihipStream_tbEUlmE_tEESB_NS0_8identityIvEEEESG_SJ_SK_mSL_SN_bEUlT_E_NS1_11comp_targetILNS1_3genE0ELNS1_11target_archE4294967295ELNS1_3gpuE0ELNS1_3repE0EEENS1_30default_config_static_selectorELNS0_4arch9wavefront6targetE1EEEvT1_,"axG",@progbits,_ZN7rocprim17ROCPRIM_400000_NS6detail17trampoline_kernelINS0_14default_configENS1_25transform_config_selectorItLb0EEEZNS1_14transform_implILb0ES3_S5_NS0_18transform_iteratorINS0_17counting_iteratorImlEEZNS1_24adjacent_difference_implIS3_Lb1ELb0EPtSB_N6thrust23THRUST_200600_302600_NS4plusItEEEE10hipError_tPvRmT2_T3_mT4_P12ihipStream_tbEUlmE_tEESB_NS0_8identityIvEEEESG_SJ_SK_mSL_SN_bEUlT_E_NS1_11comp_targetILNS1_3genE0ELNS1_11target_archE4294967295ELNS1_3gpuE0ELNS1_3repE0EEENS1_30default_config_static_selectorELNS0_4arch9wavefront6targetE1EEEvT1_,comdat
.Lfunc_end347:
	.size	_ZN7rocprim17ROCPRIM_400000_NS6detail17trampoline_kernelINS0_14default_configENS1_25transform_config_selectorItLb0EEEZNS1_14transform_implILb0ES3_S5_NS0_18transform_iteratorINS0_17counting_iteratorImlEEZNS1_24adjacent_difference_implIS3_Lb1ELb0EPtSB_N6thrust23THRUST_200600_302600_NS4plusItEEEE10hipError_tPvRmT2_T3_mT4_P12ihipStream_tbEUlmE_tEESB_NS0_8identityIvEEEESG_SJ_SK_mSL_SN_bEUlT_E_NS1_11comp_targetILNS1_3genE0ELNS1_11target_archE4294967295ELNS1_3gpuE0ELNS1_3repE0EEENS1_30default_config_static_selectorELNS0_4arch9wavefront6targetE1EEEvT1_, .Lfunc_end347-_ZN7rocprim17ROCPRIM_400000_NS6detail17trampoline_kernelINS0_14default_configENS1_25transform_config_selectorItLb0EEEZNS1_14transform_implILb0ES3_S5_NS0_18transform_iteratorINS0_17counting_iteratorImlEEZNS1_24adjacent_difference_implIS3_Lb1ELb0EPtSB_N6thrust23THRUST_200600_302600_NS4plusItEEEE10hipError_tPvRmT2_T3_mT4_P12ihipStream_tbEUlmE_tEESB_NS0_8identityIvEEEESG_SJ_SK_mSL_SN_bEUlT_E_NS1_11comp_targetILNS1_3genE0ELNS1_11target_archE4294967295ELNS1_3gpuE0ELNS1_3repE0EEENS1_30default_config_static_selectorELNS0_4arch9wavefront6targetE1EEEvT1_
                                        ; -- End function
	.section	.AMDGPU.csdata,"",@progbits
; Kernel info:
; codeLenInByte = 0
; NumSgprs: 6
; NumVgprs: 0
; NumAgprs: 0
; TotalNumVgprs: 0
; ScratchSize: 0
; MemoryBound: 0
; FloatMode: 240
; IeeeMode: 1
; LDSByteSize: 0 bytes/workgroup (compile time only)
; SGPRBlocks: 0
; VGPRBlocks: 0
; NumSGPRsForWavesPerEU: 6
; NumVGPRsForWavesPerEU: 1
; AccumOffset: 4
; Occupancy: 8
; WaveLimiterHint : 0
; COMPUTE_PGM_RSRC2:SCRATCH_EN: 0
; COMPUTE_PGM_RSRC2:USER_SGPR: 2
; COMPUTE_PGM_RSRC2:TRAP_HANDLER: 0
; COMPUTE_PGM_RSRC2:TGID_X_EN: 1
; COMPUTE_PGM_RSRC2:TGID_Y_EN: 0
; COMPUTE_PGM_RSRC2:TGID_Z_EN: 0
; COMPUTE_PGM_RSRC2:TIDIG_COMP_CNT: 0
; COMPUTE_PGM_RSRC3_GFX90A:ACCUM_OFFSET: 0
; COMPUTE_PGM_RSRC3_GFX90A:TG_SPLIT: 0
	.section	.text._ZN7rocprim17ROCPRIM_400000_NS6detail17trampoline_kernelINS0_14default_configENS1_25transform_config_selectorItLb0EEEZNS1_14transform_implILb0ES3_S5_NS0_18transform_iteratorINS0_17counting_iteratorImlEEZNS1_24adjacent_difference_implIS3_Lb1ELb0EPtSB_N6thrust23THRUST_200600_302600_NS4plusItEEEE10hipError_tPvRmT2_T3_mT4_P12ihipStream_tbEUlmE_tEESB_NS0_8identityIvEEEESG_SJ_SK_mSL_SN_bEUlT_E_NS1_11comp_targetILNS1_3genE5ELNS1_11target_archE942ELNS1_3gpuE9ELNS1_3repE0EEENS1_30default_config_static_selectorELNS0_4arch9wavefront6targetE1EEEvT1_,"axG",@progbits,_ZN7rocprim17ROCPRIM_400000_NS6detail17trampoline_kernelINS0_14default_configENS1_25transform_config_selectorItLb0EEEZNS1_14transform_implILb0ES3_S5_NS0_18transform_iteratorINS0_17counting_iteratorImlEEZNS1_24adjacent_difference_implIS3_Lb1ELb0EPtSB_N6thrust23THRUST_200600_302600_NS4plusItEEEE10hipError_tPvRmT2_T3_mT4_P12ihipStream_tbEUlmE_tEESB_NS0_8identityIvEEEESG_SJ_SK_mSL_SN_bEUlT_E_NS1_11comp_targetILNS1_3genE5ELNS1_11target_archE942ELNS1_3gpuE9ELNS1_3repE0EEENS1_30default_config_static_selectorELNS0_4arch9wavefront6targetE1EEEvT1_,comdat
	.protected	_ZN7rocprim17ROCPRIM_400000_NS6detail17trampoline_kernelINS0_14default_configENS1_25transform_config_selectorItLb0EEEZNS1_14transform_implILb0ES3_S5_NS0_18transform_iteratorINS0_17counting_iteratorImlEEZNS1_24adjacent_difference_implIS3_Lb1ELb0EPtSB_N6thrust23THRUST_200600_302600_NS4plusItEEEE10hipError_tPvRmT2_T3_mT4_P12ihipStream_tbEUlmE_tEESB_NS0_8identityIvEEEESG_SJ_SK_mSL_SN_bEUlT_E_NS1_11comp_targetILNS1_3genE5ELNS1_11target_archE942ELNS1_3gpuE9ELNS1_3repE0EEENS1_30default_config_static_selectorELNS0_4arch9wavefront6targetE1EEEvT1_ ; -- Begin function _ZN7rocprim17ROCPRIM_400000_NS6detail17trampoline_kernelINS0_14default_configENS1_25transform_config_selectorItLb0EEEZNS1_14transform_implILb0ES3_S5_NS0_18transform_iteratorINS0_17counting_iteratorImlEEZNS1_24adjacent_difference_implIS3_Lb1ELb0EPtSB_N6thrust23THRUST_200600_302600_NS4plusItEEEE10hipError_tPvRmT2_T3_mT4_P12ihipStream_tbEUlmE_tEESB_NS0_8identityIvEEEESG_SJ_SK_mSL_SN_bEUlT_E_NS1_11comp_targetILNS1_3genE5ELNS1_11target_archE942ELNS1_3gpuE9ELNS1_3repE0EEENS1_30default_config_static_selectorELNS0_4arch9wavefront6targetE1EEEvT1_
	.globl	_ZN7rocprim17ROCPRIM_400000_NS6detail17trampoline_kernelINS0_14default_configENS1_25transform_config_selectorItLb0EEEZNS1_14transform_implILb0ES3_S5_NS0_18transform_iteratorINS0_17counting_iteratorImlEEZNS1_24adjacent_difference_implIS3_Lb1ELb0EPtSB_N6thrust23THRUST_200600_302600_NS4plusItEEEE10hipError_tPvRmT2_T3_mT4_P12ihipStream_tbEUlmE_tEESB_NS0_8identityIvEEEESG_SJ_SK_mSL_SN_bEUlT_E_NS1_11comp_targetILNS1_3genE5ELNS1_11target_archE942ELNS1_3gpuE9ELNS1_3repE0EEENS1_30default_config_static_selectorELNS0_4arch9wavefront6targetE1EEEvT1_
	.p2align	8
	.type	_ZN7rocprim17ROCPRIM_400000_NS6detail17trampoline_kernelINS0_14default_configENS1_25transform_config_selectorItLb0EEEZNS1_14transform_implILb0ES3_S5_NS0_18transform_iteratorINS0_17counting_iteratorImlEEZNS1_24adjacent_difference_implIS3_Lb1ELb0EPtSB_N6thrust23THRUST_200600_302600_NS4plusItEEEE10hipError_tPvRmT2_T3_mT4_P12ihipStream_tbEUlmE_tEESB_NS0_8identityIvEEEESG_SJ_SK_mSL_SN_bEUlT_E_NS1_11comp_targetILNS1_3genE5ELNS1_11target_archE942ELNS1_3gpuE9ELNS1_3repE0EEENS1_30default_config_static_selectorELNS0_4arch9wavefront6targetE1EEEvT1_,@function
_ZN7rocprim17ROCPRIM_400000_NS6detail17trampoline_kernelINS0_14default_configENS1_25transform_config_selectorItLb0EEEZNS1_14transform_implILb0ES3_S5_NS0_18transform_iteratorINS0_17counting_iteratorImlEEZNS1_24adjacent_difference_implIS3_Lb1ELb0EPtSB_N6thrust23THRUST_200600_302600_NS4plusItEEEE10hipError_tPvRmT2_T3_mT4_P12ihipStream_tbEUlmE_tEESB_NS0_8identityIvEEEESG_SJ_SK_mSL_SN_bEUlT_E_NS1_11comp_targetILNS1_3genE5ELNS1_11target_archE942ELNS1_3gpuE9ELNS1_3repE0EEENS1_30default_config_static_selectorELNS0_4arch9wavefront6targetE1EEEvT1_: ; @_ZN7rocprim17ROCPRIM_400000_NS6detail17trampoline_kernelINS0_14default_configENS1_25transform_config_selectorItLb0EEEZNS1_14transform_implILb0ES3_S5_NS0_18transform_iteratorINS0_17counting_iteratorImlEEZNS1_24adjacent_difference_implIS3_Lb1ELb0EPtSB_N6thrust23THRUST_200600_302600_NS4plusItEEEE10hipError_tPvRmT2_T3_mT4_P12ihipStream_tbEUlmE_tEESB_NS0_8identityIvEEEESG_SJ_SK_mSL_SN_bEUlT_E_NS1_11comp_targetILNS1_3genE5ELNS1_11target_archE942ELNS1_3gpuE9ELNS1_3repE0EEENS1_30default_config_static_selectorELNS0_4arch9wavefront6targetE1EEEvT1_
; %bb.0:
	s_load_dwordx4 s[4:7], s[0:1], 0x18
	s_load_dwordx2 s[8:9], s[0:1], 0x28
	s_load_dwordx4 s[12:15], s[0:1], 0x0
	s_load_dword s20, s[0:1], 0x10
	s_load_dword s3, s[0:1], 0x38
	s_waitcnt lgkmcnt(0)
	s_lshl_b64 s[0:1], s[4:5], 1
	s_add_u32 s26, s8, s0
	s_addc_u32 s27, s9, s1
	s_lshl_b32 s18, s2, 11
	s_add_i32 s3, s3, -1
	s_add_u32 s0, s12, s18
	s_addc_u32 s1, s13, 0
	s_add_u32 s22, s0, s4
	s_addc_u32 s23, s1, s5
	s_mov_b32 s19, 0
	s_cmp_lg_u32 s2, s3
	v_lshlrev_b32_e32 v6, 1, v0
	s_cbranch_scc0 .LBB348_2
; %bb.1:
	v_mov_b32_e32 v1, 0
	v_lshl_add_u64 v[2:3], s[22:23], 0, v[0:1]
	v_mad_u64_u32 v[4:5], s[0:1], v2, s20, 0
	v_mov_b32_e32 v2, v5
	v_mad_u64_u32 v[2:3], s[0:1], v3, s20, v[2:3]
	s_mov_b32 s21, s19
	v_mov_b32_e32 v5, v2
	v_lshl_add_u64 v[2:3], v[4:5], 1, s[14:15]
	s_lshl_b64 s[0:1], s[20:21], 9
	v_lshl_add_u64 v[4:5], v[2:3], 0, s[0:1]
	v_lshl_add_u64 v[8:9], v[4:5], 0, s[0:1]
	;; [unrolled: 1-line block ×4, first 2 shown]
	global_load_ushort v14, v[2:3], off
	global_load_ushort v15, v[4:5], off
	;; [unrolled: 1-line block ×5, first 2 shown]
	v_lshl_add_u64 v[2:3], v[12:13], 0, s[0:1]
	global_load_ushort v4, v[2:3], off
	v_lshl_add_u64 v[2:3], v[2:3], 0, s[0:1]
	global_load_ushort v5, v[2:3], off
	;; [unrolled: 2-line block ×3, first 2 shown]
	s_lshl_b64 s[2:3], s[18:19], 1
	s_add_u32 s2, s26, s2
	v_mov_b32_e32 v7, v1
	s_addc_u32 s3, s27, s3
	v_lshl_add_u64 v[8:9], s[2:3], 0, v[6:7]
	s_mov_b64 s[16:17], -1
	s_waitcnt vmcnt(7)
	global_store_short v6, v14, s[2:3]
	s_waitcnt vmcnt(7)
	global_store_short v6, v15, s[2:3] offset:512
	s_waitcnt vmcnt(7)
	global_store_short v6, v16, s[2:3] offset:1024
	;; [unrolled: 2-line block ×6, first 2 shown]
	s_cbranch_execz .LBB348_3
	s_branch .LBB348_32
.LBB348_2:
	s_mov_b64 s[16:17], 0
                                        ; implicit-def: $vgpr2
                                        ; implicit-def: $vgpr8_vgpr9
.LBB348_3:
	s_sub_i32 s21, s6, s18
	v_cmp_gt_u32_e32 vcc, s21, v0
                                        ; implicit-def: $vgpr2_vgpr3_vgpr4_vgpr5
	s_and_saveexec_b64 s[0:1], vcc
	s_cbranch_execz .LBB348_5
; %bb.4:
	v_mov_b32_e32 v1, 0
	s_waitcnt vmcnt(7)
	v_lshl_add_u64 v[2:3], s[22:23], 0, v[0:1]
	v_mad_u64_u32 v[4:5], s[2:3], v2, s20, 0
	v_mov_b32_e32 v2, v5
	v_mad_u64_u32 v[2:3], s[2:3], v3, s20, v[2:3]
	v_mov_b32_e32 v5, v2
	v_lshl_add_u64 v[2:3], v[4:5], 1, s[14:15]
	global_load_ushort v2, v[2:3], off
.LBB348_5:
	s_or_b64 exec, exec, s[0:1]
	v_or_b32_e32 v8, 0x100, v0
	v_cmp_gt_u32_e64 s[0:1], s21, v8
	s_and_saveexec_b64 s[2:3], s[0:1]
	s_cbranch_execz .LBB348_7
; %bb.6:
	v_mov_b32_e32 v9, 0
	v_lshl_add_u64 v[8:9], s[22:23], 0, v[8:9]
	v_mad_u64_u32 v[10:11], s[4:5], v8, s20, 0
	v_mov_b32_e32 v8, v11
	v_mad_u64_u32 v[8:9], s[4:5], v9, s20, v[8:9]
	v_mov_b32_e32 v11, v8
	v_lshl_add_u64 v[8:9], v[10:11], 1, s[14:15]
	global_load_ushort v1, v[8:9], off
	s_mov_b32 s4, 0x5040100
	s_waitcnt vmcnt(0)
	v_perm_b32 v2, v1, v2, s4
.LBB348_7:
	s_or_b64 exec, exec, s[2:3]
	v_or_b32_e32 v8, 0x200, v0
	v_cmp_gt_u32_e64 s[2:3], s21, v8
	s_and_saveexec_b64 s[4:5], s[2:3]
	s_cbranch_execz .LBB348_9
; %bb.8:
	v_mov_b32_e32 v9, 0
	v_lshl_add_u64 v[8:9], s[22:23], 0, v[8:9]
	v_mad_u64_u32 v[10:11], s[6:7], v8, s20, 0
	v_mov_b32_e32 v8, v11
	v_mad_u64_u32 v[8:9], s[6:7], v9, s20, v[8:9]
	v_mov_b32_e32 v11, v8
	v_lshl_add_u64 v[8:9], v[10:11], 1, s[14:15]
	global_load_ushort v1, v[8:9], off
	s_mov_b32 s6, 0xffff
	s_waitcnt vmcnt(0)
	v_bfi_b32 v3, s6, v1, v3
.LBB348_9:
	s_or_b64 exec, exec, s[4:5]
	v_or_b32_e32 v8, 0x300, v0
	v_cmp_gt_u32_e64 s[4:5], s21, v8
	s_and_saveexec_b64 s[6:7], s[4:5]
	s_cbranch_execz .LBB348_11
; %bb.10:
	v_mov_b32_e32 v9, 0
	v_lshl_add_u64 v[8:9], s[22:23], 0, v[8:9]
	v_mad_u64_u32 v[10:11], s[8:9], v8, s20, 0
	v_mov_b32_e32 v8, v11
	v_mad_u64_u32 v[8:9], s[8:9], v9, s20, v[8:9]
	v_mov_b32_e32 v11, v8
	v_lshl_add_u64 v[8:9], v[10:11], 1, s[14:15]
	global_load_ushort v1, v[8:9], off
	s_mov_b32 s8, 0x5040100
	s_waitcnt vmcnt(0)
	v_perm_b32 v3, v1, v3, s8
.LBB348_11:
	s_or_b64 exec, exec, s[6:7]
	v_or_b32_e32 v8, 0x400, v0
	v_cmp_gt_u32_e64 s[6:7], s21, v8
	s_and_saveexec_b64 s[8:9], s[6:7]
	s_cbranch_execz .LBB348_13
; %bb.12:
	v_mov_b32_e32 v9, 0
	v_lshl_add_u64 v[8:9], s[22:23], 0, v[8:9]
	v_mad_u64_u32 v[10:11], s[10:11], v8, s20, 0
	v_mov_b32_e32 v8, v11
	v_mad_u64_u32 v[8:9], s[10:11], v9, s20, v[8:9]
	v_mov_b32_e32 v11, v8
	v_lshl_add_u64 v[8:9], v[10:11], 1, s[14:15]
	global_load_ushort v1, v[8:9], off
	s_mov_b32 s10, 0xffff
	s_waitcnt vmcnt(0)
	v_bfi_b32 v4, s10, v1, v4
.LBB348_13:
	;; [unrolled: 36-line block ×3, first 2 shown]
	s_or_b64 exec, exec, s[12:13]
	v_or_b32_e32 v0, 0x700, v0
	v_cmp_gt_u32_e64 s[12:13], s21, v0
	s_and_saveexec_b64 s[24:25], s[12:13]
	s_cbranch_execz .LBB348_19
; %bb.18:
	v_mov_b32_e32 v1, 0
	v_lshl_add_u64 v[0:1], s[22:23], 0, v[0:1]
	v_mad_u64_u32 v[8:9], s[22:23], v0, s20, 0
	v_mov_b32_e32 v0, v9
	v_mad_u64_u32 v[0:1], s[20:21], v1, s20, v[0:1]
	v_mov_b32_e32 v9, v0
	v_lshl_add_u64 v[0:1], v[8:9], 1, s[14:15]
	global_load_ushort v0, v[0:1], off
	s_mov_b32 s14, 0x5040100
	s_waitcnt vmcnt(0)
	v_perm_b32 v5, v0, v5, s14
.LBB348_19:
	s_or_b64 exec, exec, s[24:25]
	s_lshl_b64 s[14:15], s[18:19], 1
	s_add_u32 s14, s26, s14
	s_addc_u32 s15, s27, s15
	v_mov_b32_e32 v7, 0
	v_lshl_add_u64 v[8:9], s[14:15], 0, v[6:7]
	s_and_saveexec_b64 s[14:15], vcc
	s_cbranch_execnz .LBB348_35
; %bb.20:
	s_or_b64 exec, exec, s[14:15]
	s_and_saveexec_b64 s[14:15], s[0:1]
	s_cbranch_execnz .LBB348_36
.LBB348_21:
	s_or_b64 exec, exec, s[14:15]
	s_mov_b32 s14, 0xffff
	s_and_saveexec_b64 s[0:1], s[2:3]
	s_cbranch_execz .LBB348_23
.LBB348_22:
	global_store_short v[8:9], v3, off offset:1024
.LBB348_23:
	s_or_b64 exec, exec, s[0:1]
	v_bfi_b32 v0, s14, v3, v3
	v_cndmask_b32_e64 v0, v0, v3, s[4:5]
	s_and_saveexec_b64 s[0:1], s[4:5]
	s_cbranch_execz .LBB348_25
; %bb.24:
	global_store_short_d16_hi v[8:9], v0, off offset:1536
.LBB348_25:
	s_or_b64 exec, exec, s[0:1]
	s_mov_b32 s2, 0xffff
	v_cndmask_b32_e64 v0, v4, v4, s[6:7]
	s_and_saveexec_b64 s[0:1], s[6:7]
	s_cbranch_execz .LBB348_27
; %bb.26:
	global_store_short v[8:9], v0, off offset:2048
.LBB348_27:
	s_or_b64 exec, exec, s[0:1]
	v_bfi_b32 v0, s2, v0, v4
	v_cndmask_b32_e64 v0, v0, v4, s[8:9]
	s_and_saveexec_b64 s[0:1], s[8:9]
	s_cbranch_execnz .LBB348_37
; %bb.28:
	s_or_b64 exec, exec, s[0:1]
	s_and_saveexec_b64 s[0:1], s[10:11]
	s_cbranch_execnz .LBB348_38
.LBB348_29:
	s_or_b64 exec, exec, s[0:1]
                                        ; implicit-def: $vgpr2
	s_and_saveexec_b64 s[0:1], s[12:13]
	s_cbranch_execz .LBB348_31
.LBB348_30:
	v_cndmask_b32_e64 v0, v5, v5, s[12:13]
	s_waitcnt vmcnt(0)
	v_lshrrev_b32_e32 v2, 16, v0
	s_or_b64 s[16:17], s[16:17], exec
.LBB348_31:
	s_or_b64 exec, exec, s[0:1]
.LBB348_32:
	s_and_saveexec_b64 s[0:1], s[16:17]
	s_cbranch_execnz .LBB348_34
; %bb.33:
	s_endpgm
.LBB348_34:
	s_waitcnt vmcnt(0)
	global_store_short v[8:9], v2, off offset:3584
	s_endpgm
.LBB348_35:
	s_waitcnt vmcnt(0)
	global_store_short v[8:9], v2, off
	s_or_b64 exec, exec, s[14:15]
	s_and_saveexec_b64 s[14:15], s[0:1]
	s_cbranch_execz .LBB348_21
.LBB348_36:
	s_waitcnt vmcnt(0)
	global_store_short_d16_hi v[8:9], v2, off offset:512
	s_or_b64 exec, exec, s[14:15]
	s_mov_b32 s14, 0xffff
	s_and_saveexec_b64 s[0:1], s[2:3]
	s_cbranch_execnz .LBB348_22
	s_branch .LBB348_23
.LBB348_37:
	global_store_short_d16_hi v[8:9], v0, off offset:2560
	s_or_b64 exec, exec, s[0:1]
	s_and_saveexec_b64 s[0:1], s[10:11]
	s_cbranch_execz .LBB348_29
.LBB348_38:
	v_cndmask_b32_e64 v0, v5, v5, s[10:11]
	global_store_short v[8:9], v0, off offset:3072
	s_or_b64 exec, exec, s[0:1]
                                        ; implicit-def: $vgpr2
	s_and_saveexec_b64 s[0:1], s[12:13]
	s_cbranch_execnz .LBB348_30
	s_branch .LBB348_31
	.section	.rodata,"a",@progbits
	.p2align	6, 0x0
	.amdhsa_kernel _ZN7rocprim17ROCPRIM_400000_NS6detail17trampoline_kernelINS0_14default_configENS1_25transform_config_selectorItLb0EEEZNS1_14transform_implILb0ES3_S5_NS0_18transform_iteratorINS0_17counting_iteratorImlEEZNS1_24adjacent_difference_implIS3_Lb1ELb0EPtSB_N6thrust23THRUST_200600_302600_NS4plusItEEEE10hipError_tPvRmT2_T3_mT4_P12ihipStream_tbEUlmE_tEESB_NS0_8identityIvEEEESG_SJ_SK_mSL_SN_bEUlT_E_NS1_11comp_targetILNS1_3genE5ELNS1_11target_archE942ELNS1_3gpuE9ELNS1_3repE0EEENS1_30default_config_static_selectorELNS0_4arch9wavefront6targetE1EEEvT1_
		.amdhsa_group_segment_fixed_size 0
		.amdhsa_private_segment_fixed_size 0
		.amdhsa_kernarg_size 312
		.amdhsa_user_sgpr_count 2
		.amdhsa_user_sgpr_dispatch_ptr 0
		.amdhsa_user_sgpr_queue_ptr 0
		.amdhsa_user_sgpr_kernarg_segment_ptr 1
		.amdhsa_user_sgpr_dispatch_id 0
		.amdhsa_user_sgpr_kernarg_preload_length 0
		.amdhsa_user_sgpr_kernarg_preload_offset 0
		.amdhsa_user_sgpr_private_segment_size 0
		.amdhsa_uses_dynamic_stack 0
		.amdhsa_enable_private_segment 0
		.amdhsa_system_sgpr_workgroup_id_x 1
		.amdhsa_system_sgpr_workgroup_id_y 0
		.amdhsa_system_sgpr_workgroup_id_z 0
		.amdhsa_system_sgpr_workgroup_info 0
		.amdhsa_system_vgpr_workitem_id 0
		.amdhsa_next_free_vgpr 19
		.amdhsa_next_free_sgpr 28
		.amdhsa_accum_offset 20
		.amdhsa_reserve_vcc 1
		.amdhsa_float_round_mode_32 0
		.amdhsa_float_round_mode_16_64 0
		.amdhsa_float_denorm_mode_32 3
		.amdhsa_float_denorm_mode_16_64 3
		.amdhsa_dx10_clamp 1
		.amdhsa_ieee_mode 1
		.amdhsa_fp16_overflow 0
		.amdhsa_tg_split 0
		.amdhsa_exception_fp_ieee_invalid_op 0
		.amdhsa_exception_fp_denorm_src 0
		.amdhsa_exception_fp_ieee_div_zero 0
		.amdhsa_exception_fp_ieee_overflow 0
		.amdhsa_exception_fp_ieee_underflow 0
		.amdhsa_exception_fp_ieee_inexact 0
		.amdhsa_exception_int_div_zero 0
	.end_amdhsa_kernel
	.section	.text._ZN7rocprim17ROCPRIM_400000_NS6detail17trampoline_kernelINS0_14default_configENS1_25transform_config_selectorItLb0EEEZNS1_14transform_implILb0ES3_S5_NS0_18transform_iteratorINS0_17counting_iteratorImlEEZNS1_24adjacent_difference_implIS3_Lb1ELb0EPtSB_N6thrust23THRUST_200600_302600_NS4plusItEEEE10hipError_tPvRmT2_T3_mT4_P12ihipStream_tbEUlmE_tEESB_NS0_8identityIvEEEESG_SJ_SK_mSL_SN_bEUlT_E_NS1_11comp_targetILNS1_3genE5ELNS1_11target_archE942ELNS1_3gpuE9ELNS1_3repE0EEENS1_30default_config_static_selectorELNS0_4arch9wavefront6targetE1EEEvT1_,"axG",@progbits,_ZN7rocprim17ROCPRIM_400000_NS6detail17trampoline_kernelINS0_14default_configENS1_25transform_config_selectorItLb0EEEZNS1_14transform_implILb0ES3_S5_NS0_18transform_iteratorINS0_17counting_iteratorImlEEZNS1_24adjacent_difference_implIS3_Lb1ELb0EPtSB_N6thrust23THRUST_200600_302600_NS4plusItEEEE10hipError_tPvRmT2_T3_mT4_P12ihipStream_tbEUlmE_tEESB_NS0_8identityIvEEEESG_SJ_SK_mSL_SN_bEUlT_E_NS1_11comp_targetILNS1_3genE5ELNS1_11target_archE942ELNS1_3gpuE9ELNS1_3repE0EEENS1_30default_config_static_selectorELNS0_4arch9wavefront6targetE1EEEvT1_,comdat
.Lfunc_end348:
	.size	_ZN7rocprim17ROCPRIM_400000_NS6detail17trampoline_kernelINS0_14default_configENS1_25transform_config_selectorItLb0EEEZNS1_14transform_implILb0ES3_S5_NS0_18transform_iteratorINS0_17counting_iteratorImlEEZNS1_24adjacent_difference_implIS3_Lb1ELb0EPtSB_N6thrust23THRUST_200600_302600_NS4plusItEEEE10hipError_tPvRmT2_T3_mT4_P12ihipStream_tbEUlmE_tEESB_NS0_8identityIvEEEESG_SJ_SK_mSL_SN_bEUlT_E_NS1_11comp_targetILNS1_3genE5ELNS1_11target_archE942ELNS1_3gpuE9ELNS1_3repE0EEENS1_30default_config_static_selectorELNS0_4arch9wavefront6targetE1EEEvT1_, .Lfunc_end348-_ZN7rocprim17ROCPRIM_400000_NS6detail17trampoline_kernelINS0_14default_configENS1_25transform_config_selectorItLb0EEEZNS1_14transform_implILb0ES3_S5_NS0_18transform_iteratorINS0_17counting_iteratorImlEEZNS1_24adjacent_difference_implIS3_Lb1ELb0EPtSB_N6thrust23THRUST_200600_302600_NS4plusItEEEE10hipError_tPvRmT2_T3_mT4_P12ihipStream_tbEUlmE_tEESB_NS0_8identityIvEEEESG_SJ_SK_mSL_SN_bEUlT_E_NS1_11comp_targetILNS1_3genE5ELNS1_11target_archE942ELNS1_3gpuE9ELNS1_3repE0EEENS1_30default_config_static_selectorELNS0_4arch9wavefront6targetE1EEEvT1_
                                        ; -- End function
	.section	.AMDGPU.csdata,"",@progbits
; Kernel info:
; codeLenInByte = 1528
; NumSgprs: 34
; NumVgprs: 19
; NumAgprs: 0
; TotalNumVgprs: 19
; ScratchSize: 0
; MemoryBound: 0
; FloatMode: 240
; IeeeMode: 1
; LDSByteSize: 0 bytes/workgroup (compile time only)
; SGPRBlocks: 4
; VGPRBlocks: 2
; NumSGPRsForWavesPerEU: 34
; NumVGPRsForWavesPerEU: 19
; AccumOffset: 20
; Occupancy: 8
; WaveLimiterHint : 1
; COMPUTE_PGM_RSRC2:SCRATCH_EN: 0
; COMPUTE_PGM_RSRC2:USER_SGPR: 2
; COMPUTE_PGM_RSRC2:TRAP_HANDLER: 0
; COMPUTE_PGM_RSRC2:TGID_X_EN: 1
; COMPUTE_PGM_RSRC2:TGID_Y_EN: 0
; COMPUTE_PGM_RSRC2:TGID_Z_EN: 0
; COMPUTE_PGM_RSRC2:TIDIG_COMP_CNT: 0
; COMPUTE_PGM_RSRC3_GFX90A:ACCUM_OFFSET: 4
; COMPUTE_PGM_RSRC3_GFX90A:TG_SPLIT: 0
	.section	.text._ZN7rocprim17ROCPRIM_400000_NS6detail17trampoline_kernelINS0_14default_configENS1_25transform_config_selectorItLb0EEEZNS1_14transform_implILb0ES3_S5_NS0_18transform_iteratorINS0_17counting_iteratorImlEEZNS1_24adjacent_difference_implIS3_Lb1ELb0EPtSB_N6thrust23THRUST_200600_302600_NS4plusItEEEE10hipError_tPvRmT2_T3_mT4_P12ihipStream_tbEUlmE_tEESB_NS0_8identityIvEEEESG_SJ_SK_mSL_SN_bEUlT_E_NS1_11comp_targetILNS1_3genE4ELNS1_11target_archE910ELNS1_3gpuE8ELNS1_3repE0EEENS1_30default_config_static_selectorELNS0_4arch9wavefront6targetE1EEEvT1_,"axG",@progbits,_ZN7rocprim17ROCPRIM_400000_NS6detail17trampoline_kernelINS0_14default_configENS1_25transform_config_selectorItLb0EEEZNS1_14transform_implILb0ES3_S5_NS0_18transform_iteratorINS0_17counting_iteratorImlEEZNS1_24adjacent_difference_implIS3_Lb1ELb0EPtSB_N6thrust23THRUST_200600_302600_NS4plusItEEEE10hipError_tPvRmT2_T3_mT4_P12ihipStream_tbEUlmE_tEESB_NS0_8identityIvEEEESG_SJ_SK_mSL_SN_bEUlT_E_NS1_11comp_targetILNS1_3genE4ELNS1_11target_archE910ELNS1_3gpuE8ELNS1_3repE0EEENS1_30default_config_static_selectorELNS0_4arch9wavefront6targetE1EEEvT1_,comdat
	.protected	_ZN7rocprim17ROCPRIM_400000_NS6detail17trampoline_kernelINS0_14default_configENS1_25transform_config_selectorItLb0EEEZNS1_14transform_implILb0ES3_S5_NS0_18transform_iteratorINS0_17counting_iteratorImlEEZNS1_24adjacent_difference_implIS3_Lb1ELb0EPtSB_N6thrust23THRUST_200600_302600_NS4plusItEEEE10hipError_tPvRmT2_T3_mT4_P12ihipStream_tbEUlmE_tEESB_NS0_8identityIvEEEESG_SJ_SK_mSL_SN_bEUlT_E_NS1_11comp_targetILNS1_3genE4ELNS1_11target_archE910ELNS1_3gpuE8ELNS1_3repE0EEENS1_30default_config_static_selectorELNS0_4arch9wavefront6targetE1EEEvT1_ ; -- Begin function _ZN7rocprim17ROCPRIM_400000_NS6detail17trampoline_kernelINS0_14default_configENS1_25transform_config_selectorItLb0EEEZNS1_14transform_implILb0ES3_S5_NS0_18transform_iteratorINS0_17counting_iteratorImlEEZNS1_24adjacent_difference_implIS3_Lb1ELb0EPtSB_N6thrust23THRUST_200600_302600_NS4plusItEEEE10hipError_tPvRmT2_T3_mT4_P12ihipStream_tbEUlmE_tEESB_NS0_8identityIvEEEESG_SJ_SK_mSL_SN_bEUlT_E_NS1_11comp_targetILNS1_3genE4ELNS1_11target_archE910ELNS1_3gpuE8ELNS1_3repE0EEENS1_30default_config_static_selectorELNS0_4arch9wavefront6targetE1EEEvT1_
	.globl	_ZN7rocprim17ROCPRIM_400000_NS6detail17trampoline_kernelINS0_14default_configENS1_25transform_config_selectorItLb0EEEZNS1_14transform_implILb0ES3_S5_NS0_18transform_iteratorINS0_17counting_iteratorImlEEZNS1_24adjacent_difference_implIS3_Lb1ELb0EPtSB_N6thrust23THRUST_200600_302600_NS4plusItEEEE10hipError_tPvRmT2_T3_mT4_P12ihipStream_tbEUlmE_tEESB_NS0_8identityIvEEEESG_SJ_SK_mSL_SN_bEUlT_E_NS1_11comp_targetILNS1_3genE4ELNS1_11target_archE910ELNS1_3gpuE8ELNS1_3repE0EEENS1_30default_config_static_selectorELNS0_4arch9wavefront6targetE1EEEvT1_
	.p2align	8
	.type	_ZN7rocprim17ROCPRIM_400000_NS6detail17trampoline_kernelINS0_14default_configENS1_25transform_config_selectorItLb0EEEZNS1_14transform_implILb0ES3_S5_NS0_18transform_iteratorINS0_17counting_iteratorImlEEZNS1_24adjacent_difference_implIS3_Lb1ELb0EPtSB_N6thrust23THRUST_200600_302600_NS4plusItEEEE10hipError_tPvRmT2_T3_mT4_P12ihipStream_tbEUlmE_tEESB_NS0_8identityIvEEEESG_SJ_SK_mSL_SN_bEUlT_E_NS1_11comp_targetILNS1_3genE4ELNS1_11target_archE910ELNS1_3gpuE8ELNS1_3repE0EEENS1_30default_config_static_selectorELNS0_4arch9wavefront6targetE1EEEvT1_,@function
_ZN7rocprim17ROCPRIM_400000_NS6detail17trampoline_kernelINS0_14default_configENS1_25transform_config_selectorItLb0EEEZNS1_14transform_implILb0ES3_S5_NS0_18transform_iteratorINS0_17counting_iteratorImlEEZNS1_24adjacent_difference_implIS3_Lb1ELb0EPtSB_N6thrust23THRUST_200600_302600_NS4plusItEEEE10hipError_tPvRmT2_T3_mT4_P12ihipStream_tbEUlmE_tEESB_NS0_8identityIvEEEESG_SJ_SK_mSL_SN_bEUlT_E_NS1_11comp_targetILNS1_3genE4ELNS1_11target_archE910ELNS1_3gpuE8ELNS1_3repE0EEENS1_30default_config_static_selectorELNS0_4arch9wavefront6targetE1EEEvT1_: ; @_ZN7rocprim17ROCPRIM_400000_NS6detail17trampoline_kernelINS0_14default_configENS1_25transform_config_selectorItLb0EEEZNS1_14transform_implILb0ES3_S5_NS0_18transform_iteratorINS0_17counting_iteratorImlEEZNS1_24adjacent_difference_implIS3_Lb1ELb0EPtSB_N6thrust23THRUST_200600_302600_NS4plusItEEEE10hipError_tPvRmT2_T3_mT4_P12ihipStream_tbEUlmE_tEESB_NS0_8identityIvEEEESG_SJ_SK_mSL_SN_bEUlT_E_NS1_11comp_targetILNS1_3genE4ELNS1_11target_archE910ELNS1_3gpuE8ELNS1_3repE0EEENS1_30default_config_static_selectorELNS0_4arch9wavefront6targetE1EEEvT1_
; %bb.0:
	.section	.rodata,"a",@progbits
	.p2align	6, 0x0
	.amdhsa_kernel _ZN7rocprim17ROCPRIM_400000_NS6detail17trampoline_kernelINS0_14default_configENS1_25transform_config_selectorItLb0EEEZNS1_14transform_implILb0ES3_S5_NS0_18transform_iteratorINS0_17counting_iteratorImlEEZNS1_24adjacent_difference_implIS3_Lb1ELb0EPtSB_N6thrust23THRUST_200600_302600_NS4plusItEEEE10hipError_tPvRmT2_T3_mT4_P12ihipStream_tbEUlmE_tEESB_NS0_8identityIvEEEESG_SJ_SK_mSL_SN_bEUlT_E_NS1_11comp_targetILNS1_3genE4ELNS1_11target_archE910ELNS1_3gpuE8ELNS1_3repE0EEENS1_30default_config_static_selectorELNS0_4arch9wavefront6targetE1EEEvT1_
		.amdhsa_group_segment_fixed_size 0
		.amdhsa_private_segment_fixed_size 0
		.amdhsa_kernarg_size 56
		.amdhsa_user_sgpr_count 2
		.amdhsa_user_sgpr_dispatch_ptr 0
		.amdhsa_user_sgpr_queue_ptr 0
		.amdhsa_user_sgpr_kernarg_segment_ptr 1
		.amdhsa_user_sgpr_dispatch_id 0
		.amdhsa_user_sgpr_kernarg_preload_length 0
		.amdhsa_user_sgpr_kernarg_preload_offset 0
		.amdhsa_user_sgpr_private_segment_size 0
		.amdhsa_uses_dynamic_stack 0
		.amdhsa_enable_private_segment 0
		.amdhsa_system_sgpr_workgroup_id_x 1
		.amdhsa_system_sgpr_workgroup_id_y 0
		.amdhsa_system_sgpr_workgroup_id_z 0
		.amdhsa_system_sgpr_workgroup_info 0
		.amdhsa_system_vgpr_workitem_id 0
		.amdhsa_next_free_vgpr 1
		.amdhsa_next_free_sgpr 0
		.amdhsa_accum_offset 4
		.amdhsa_reserve_vcc 0
		.amdhsa_float_round_mode_32 0
		.amdhsa_float_round_mode_16_64 0
		.amdhsa_float_denorm_mode_32 3
		.amdhsa_float_denorm_mode_16_64 3
		.amdhsa_dx10_clamp 1
		.amdhsa_ieee_mode 1
		.amdhsa_fp16_overflow 0
		.amdhsa_tg_split 0
		.amdhsa_exception_fp_ieee_invalid_op 0
		.amdhsa_exception_fp_denorm_src 0
		.amdhsa_exception_fp_ieee_div_zero 0
		.amdhsa_exception_fp_ieee_overflow 0
		.amdhsa_exception_fp_ieee_underflow 0
		.amdhsa_exception_fp_ieee_inexact 0
		.amdhsa_exception_int_div_zero 0
	.end_amdhsa_kernel
	.section	.text._ZN7rocprim17ROCPRIM_400000_NS6detail17trampoline_kernelINS0_14default_configENS1_25transform_config_selectorItLb0EEEZNS1_14transform_implILb0ES3_S5_NS0_18transform_iteratorINS0_17counting_iteratorImlEEZNS1_24adjacent_difference_implIS3_Lb1ELb0EPtSB_N6thrust23THRUST_200600_302600_NS4plusItEEEE10hipError_tPvRmT2_T3_mT4_P12ihipStream_tbEUlmE_tEESB_NS0_8identityIvEEEESG_SJ_SK_mSL_SN_bEUlT_E_NS1_11comp_targetILNS1_3genE4ELNS1_11target_archE910ELNS1_3gpuE8ELNS1_3repE0EEENS1_30default_config_static_selectorELNS0_4arch9wavefront6targetE1EEEvT1_,"axG",@progbits,_ZN7rocprim17ROCPRIM_400000_NS6detail17trampoline_kernelINS0_14default_configENS1_25transform_config_selectorItLb0EEEZNS1_14transform_implILb0ES3_S5_NS0_18transform_iteratorINS0_17counting_iteratorImlEEZNS1_24adjacent_difference_implIS3_Lb1ELb0EPtSB_N6thrust23THRUST_200600_302600_NS4plusItEEEE10hipError_tPvRmT2_T3_mT4_P12ihipStream_tbEUlmE_tEESB_NS0_8identityIvEEEESG_SJ_SK_mSL_SN_bEUlT_E_NS1_11comp_targetILNS1_3genE4ELNS1_11target_archE910ELNS1_3gpuE8ELNS1_3repE0EEENS1_30default_config_static_selectorELNS0_4arch9wavefront6targetE1EEEvT1_,comdat
.Lfunc_end349:
	.size	_ZN7rocprim17ROCPRIM_400000_NS6detail17trampoline_kernelINS0_14default_configENS1_25transform_config_selectorItLb0EEEZNS1_14transform_implILb0ES3_S5_NS0_18transform_iteratorINS0_17counting_iteratorImlEEZNS1_24adjacent_difference_implIS3_Lb1ELb0EPtSB_N6thrust23THRUST_200600_302600_NS4plusItEEEE10hipError_tPvRmT2_T3_mT4_P12ihipStream_tbEUlmE_tEESB_NS0_8identityIvEEEESG_SJ_SK_mSL_SN_bEUlT_E_NS1_11comp_targetILNS1_3genE4ELNS1_11target_archE910ELNS1_3gpuE8ELNS1_3repE0EEENS1_30default_config_static_selectorELNS0_4arch9wavefront6targetE1EEEvT1_, .Lfunc_end349-_ZN7rocprim17ROCPRIM_400000_NS6detail17trampoline_kernelINS0_14default_configENS1_25transform_config_selectorItLb0EEEZNS1_14transform_implILb0ES3_S5_NS0_18transform_iteratorINS0_17counting_iteratorImlEEZNS1_24adjacent_difference_implIS3_Lb1ELb0EPtSB_N6thrust23THRUST_200600_302600_NS4plusItEEEE10hipError_tPvRmT2_T3_mT4_P12ihipStream_tbEUlmE_tEESB_NS0_8identityIvEEEESG_SJ_SK_mSL_SN_bEUlT_E_NS1_11comp_targetILNS1_3genE4ELNS1_11target_archE910ELNS1_3gpuE8ELNS1_3repE0EEENS1_30default_config_static_selectorELNS0_4arch9wavefront6targetE1EEEvT1_
                                        ; -- End function
	.section	.AMDGPU.csdata,"",@progbits
; Kernel info:
; codeLenInByte = 0
; NumSgprs: 6
; NumVgprs: 0
; NumAgprs: 0
; TotalNumVgprs: 0
; ScratchSize: 0
; MemoryBound: 0
; FloatMode: 240
; IeeeMode: 1
; LDSByteSize: 0 bytes/workgroup (compile time only)
; SGPRBlocks: 0
; VGPRBlocks: 0
; NumSGPRsForWavesPerEU: 6
; NumVGPRsForWavesPerEU: 1
; AccumOffset: 4
; Occupancy: 8
; WaveLimiterHint : 0
; COMPUTE_PGM_RSRC2:SCRATCH_EN: 0
; COMPUTE_PGM_RSRC2:USER_SGPR: 2
; COMPUTE_PGM_RSRC2:TRAP_HANDLER: 0
; COMPUTE_PGM_RSRC2:TGID_X_EN: 1
; COMPUTE_PGM_RSRC2:TGID_Y_EN: 0
; COMPUTE_PGM_RSRC2:TGID_Z_EN: 0
; COMPUTE_PGM_RSRC2:TIDIG_COMP_CNT: 0
; COMPUTE_PGM_RSRC3_GFX90A:ACCUM_OFFSET: 0
; COMPUTE_PGM_RSRC3_GFX90A:TG_SPLIT: 0
	.section	.text._ZN7rocprim17ROCPRIM_400000_NS6detail17trampoline_kernelINS0_14default_configENS1_25transform_config_selectorItLb0EEEZNS1_14transform_implILb0ES3_S5_NS0_18transform_iteratorINS0_17counting_iteratorImlEEZNS1_24adjacent_difference_implIS3_Lb1ELb0EPtSB_N6thrust23THRUST_200600_302600_NS4plusItEEEE10hipError_tPvRmT2_T3_mT4_P12ihipStream_tbEUlmE_tEESB_NS0_8identityIvEEEESG_SJ_SK_mSL_SN_bEUlT_E_NS1_11comp_targetILNS1_3genE3ELNS1_11target_archE908ELNS1_3gpuE7ELNS1_3repE0EEENS1_30default_config_static_selectorELNS0_4arch9wavefront6targetE1EEEvT1_,"axG",@progbits,_ZN7rocprim17ROCPRIM_400000_NS6detail17trampoline_kernelINS0_14default_configENS1_25transform_config_selectorItLb0EEEZNS1_14transform_implILb0ES3_S5_NS0_18transform_iteratorINS0_17counting_iteratorImlEEZNS1_24adjacent_difference_implIS3_Lb1ELb0EPtSB_N6thrust23THRUST_200600_302600_NS4plusItEEEE10hipError_tPvRmT2_T3_mT4_P12ihipStream_tbEUlmE_tEESB_NS0_8identityIvEEEESG_SJ_SK_mSL_SN_bEUlT_E_NS1_11comp_targetILNS1_3genE3ELNS1_11target_archE908ELNS1_3gpuE7ELNS1_3repE0EEENS1_30default_config_static_selectorELNS0_4arch9wavefront6targetE1EEEvT1_,comdat
	.protected	_ZN7rocprim17ROCPRIM_400000_NS6detail17trampoline_kernelINS0_14default_configENS1_25transform_config_selectorItLb0EEEZNS1_14transform_implILb0ES3_S5_NS0_18transform_iteratorINS0_17counting_iteratorImlEEZNS1_24adjacent_difference_implIS3_Lb1ELb0EPtSB_N6thrust23THRUST_200600_302600_NS4plusItEEEE10hipError_tPvRmT2_T3_mT4_P12ihipStream_tbEUlmE_tEESB_NS0_8identityIvEEEESG_SJ_SK_mSL_SN_bEUlT_E_NS1_11comp_targetILNS1_3genE3ELNS1_11target_archE908ELNS1_3gpuE7ELNS1_3repE0EEENS1_30default_config_static_selectorELNS0_4arch9wavefront6targetE1EEEvT1_ ; -- Begin function _ZN7rocprim17ROCPRIM_400000_NS6detail17trampoline_kernelINS0_14default_configENS1_25transform_config_selectorItLb0EEEZNS1_14transform_implILb0ES3_S5_NS0_18transform_iteratorINS0_17counting_iteratorImlEEZNS1_24adjacent_difference_implIS3_Lb1ELb0EPtSB_N6thrust23THRUST_200600_302600_NS4plusItEEEE10hipError_tPvRmT2_T3_mT4_P12ihipStream_tbEUlmE_tEESB_NS0_8identityIvEEEESG_SJ_SK_mSL_SN_bEUlT_E_NS1_11comp_targetILNS1_3genE3ELNS1_11target_archE908ELNS1_3gpuE7ELNS1_3repE0EEENS1_30default_config_static_selectorELNS0_4arch9wavefront6targetE1EEEvT1_
	.globl	_ZN7rocprim17ROCPRIM_400000_NS6detail17trampoline_kernelINS0_14default_configENS1_25transform_config_selectorItLb0EEEZNS1_14transform_implILb0ES3_S5_NS0_18transform_iteratorINS0_17counting_iteratorImlEEZNS1_24adjacent_difference_implIS3_Lb1ELb0EPtSB_N6thrust23THRUST_200600_302600_NS4plusItEEEE10hipError_tPvRmT2_T3_mT4_P12ihipStream_tbEUlmE_tEESB_NS0_8identityIvEEEESG_SJ_SK_mSL_SN_bEUlT_E_NS1_11comp_targetILNS1_3genE3ELNS1_11target_archE908ELNS1_3gpuE7ELNS1_3repE0EEENS1_30default_config_static_selectorELNS0_4arch9wavefront6targetE1EEEvT1_
	.p2align	8
	.type	_ZN7rocprim17ROCPRIM_400000_NS6detail17trampoline_kernelINS0_14default_configENS1_25transform_config_selectorItLb0EEEZNS1_14transform_implILb0ES3_S5_NS0_18transform_iteratorINS0_17counting_iteratorImlEEZNS1_24adjacent_difference_implIS3_Lb1ELb0EPtSB_N6thrust23THRUST_200600_302600_NS4plusItEEEE10hipError_tPvRmT2_T3_mT4_P12ihipStream_tbEUlmE_tEESB_NS0_8identityIvEEEESG_SJ_SK_mSL_SN_bEUlT_E_NS1_11comp_targetILNS1_3genE3ELNS1_11target_archE908ELNS1_3gpuE7ELNS1_3repE0EEENS1_30default_config_static_selectorELNS0_4arch9wavefront6targetE1EEEvT1_,@function
_ZN7rocprim17ROCPRIM_400000_NS6detail17trampoline_kernelINS0_14default_configENS1_25transform_config_selectorItLb0EEEZNS1_14transform_implILb0ES3_S5_NS0_18transform_iteratorINS0_17counting_iteratorImlEEZNS1_24adjacent_difference_implIS3_Lb1ELb0EPtSB_N6thrust23THRUST_200600_302600_NS4plusItEEEE10hipError_tPvRmT2_T3_mT4_P12ihipStream_tbEUlmE_tEESB_NS0_8identityIvEEEESG_SJ_SK_mSL_SN_bEUlT_E_NS1_11comp_targetILNS1_3genE3ELNS1_11target_archE908ELNS1_3gpuE7ELNS1_3repE0EEENS1_30default_config_static_selectorELNS0_4arch9wavefront6targetE1EEEvT1_: ; @_ZN7rocprim17ROCPRIM_400000_NS6detail17trampoline_kernelINS0_14default_configENS1_25transform_config_selectorItLb0EEEZNS1_14transform_implILb0ES3_S5_NS0_18transform_iteratorINS0_17counting_iteratorImlEEZNS1_24adjacent_difference_implIS3_Lb1ELb0EPtSB_N6thrust23THRUST_200600_302600_NS4plusItEEEE10hipError_tPvRmT2_T3_mT4_P12ihipStream_tbEUlmE_tEESB_NS0_8identityIvEEEESG_SJ_SK_mSL_SN_bEUlT_E_NS1_11comp_targetILNS1_3genE3ELNS1_11target_archE908ELNS1_3gpuE7ELNS1_3repE0EEENS1_30default_config_static_selectorELNS0_4arch9wavefront6targetE1EEEvT1_
; %bb.0:
	.section	.rodata,"a",@progbits
	.p2align	6, 0x0
	.amdhsa_kernel _ZN7rocprim17ROCPRIM_400000_NS6detail17trampoline_kernelINS0_14default_configENS1_25transform_config_selectorItLb0EEEZNS1_14transform_implILb0ES3_S5_NS0_18transform_iteratorINS0_17counting_iteratorImlEEZNS1_24adjacent_difference_implIS3_Lb1ELb0EPtSB_N6thrust23THRUST_200600_302600_NS4plusItEEEE10hipError_tPvRmT2_T3_mT4_P12ihipStream_tbEUlmE_tEESB_NS0_8identityIvEEEESG_SJ_SK_mSL_SN_bEUlT_E_NS1_11comp_targetILNS1_3genE3ELNS1_11target_archE908ELNS1_3gpuE7ELNS1_3repE0EEENS1_30default_config_static_selectorELNS0_4arch9wavefront6targetE1EEEvT1_
		.amdhsa_group_segment_fixed_size 0
		.amdhsa_private_segment_fixed_size 0
		.amdhsa_kernarg_size 56
		.amdhsa_user_sgpr_count 2
		.amdhsa_user_sgpr_dispatch_ptr 0
		.amdhsa_user_sgpr_queue_ptr 0
		.amdhsa_user_sgpr_kernarg_segment_ptr 1
		.amdhsa_user_sgpr_dispatch_id 0
		.amdhsa_user_sgpr_kernarg_preload_length 0
		.amdhsa_user_sgpr_kernarg_preload_offset 0
		.amdhsa_user_sgpr_private_segment_size 0
		.amdhsa_uses_dynamic_stack 0
		.amdhsa_enable_private_segment 0
		.amdhsa_system_sgpr_workgroup_id_x 1
		.amdhsa_system_sgpr_workgroup_id_y 0
		.amdhsa_system_sgpr_workgroup_id_z 0
		.amdhsa_system_sgpr_workgroup_info 0
		.amdhsa_system_vgpr_workitem_id 0
		.amdhsa_next_free_vgpr 1
		.amdhsa_next_free_sgpr 0
		.amdhsa_accum_offset 4
		.amdhsa_reserve_vcc 0
		.amdhsa_float_round_mode_32 0
		.amdhsa_float_round_mode_16_64 0
		.amdhsa_float_denorm_mode_32 3
		.amdhsa_float_denorm_mode_16_64 3
		.amdhsa_dx10_clamp 1
		.amdhsa_ieee_mode 1
		.amdhsa_fp16_overflow 0
		.amdhsa_tg_split 0
		.amdhsa_exception_fp_ieee_invalid_op 0
		.amdhsa_exception_fp_denorm_src 0
		.amdhsa_exception_fp_ieee_div_zero 0
		.amdhsa_exception_fp_ieee_overflow 0
		.amdhsa_exception_fp_ieee_underflow 0
		.amdhsa_exception_fp_ieee_inexact 0
		.amdhsa_exception_int_div_zero 0
	.end_amdhsa_kernel
	.section	.text._ZN7rocprim17ROCPRIM_400000_NS6detail17trampoline_kernelINS0_14default_configENS1_25transform_config_selectorItLb0EEEZNS1_14transform_implILb0ES3_S5_NS0_18transform_iteratorINS0_17counting_iteratorImlEEZNS1_24adjacent_difference_implIS3_Lb1ELb0EPtSB_N6thrust23THRUST_200600_302600_NS4plusItEEEE10hipError_tPvRmT2_T3_mT4_P12ihipStream_tbEUlmE_tEESB_NS0_8identityIvEEEESG_SJ_SK_mSL_SN_bEUlT_E_NS1_11comp_targetILNS1_3genE3ELNS1_11target_archE908ELNS1_3gpuE7ELNS1_3repE0EEENS1_30default_config_static_selectorELNS0_4arch9wavefront6targetE1EEEvT1_,"axG",@progbits,_ZN7rocprim17ROCPRIM_400000_NS6detail17trampoline_kernelINS0_14default_configENS1_25transform_config_selectorItLb0EEEZNS1_14transform_implILb0ES3_S5_NS0_18transform_iteratorINS0_17counting_iteratorImlEEZNS1_24adjacent_difference_implIS3_Lb1ELb0EPtSB_N6thrust23THRUST_200600_302600_NS4plusItEEEE10hipError_tPvRmT2_T3_mT4_P12ihipStream_tbEUlmE_tEESB_NS0_8identityIvEEEESG_SJ_SK_mSL_SN_bEUlT_E_NS1_11comp_targetILNS1_3genE3ELNS1_11target_archE908ELNS1_3gpuE7ELNS1_3repE0EEENS1_30default_config_static_selectorELNS0_4arch9wavefront6targetE1EEEvT1_,comdat
.Lfunc_end350:
	.size	_ZN7rocprim17ROCPRIM_400000_NS6detail17trampoline_kernelINS0_14default_configENS1_25transform_config_selectorItLb0EEEZNS1_14transform_implILb0ES3_S5_NS0_18transform_iteratorINS0_17counting_iteratorImlEEZNS1_24adjacent_difference_implIS3_Lb1ELb0EPtSB_N6thrust23THRUST_200600_302600_NS4plusItEEEE10hipError_tPvRmT2_T3_mT4_P12ihipStream_tbEUlmE_tEESB_NS0_8identityIvEEEESG_SJ_SK_mSL_SN_bEUlT_E_NS1_11comp_targetILNS1_3genE3ELNS1_11target_archE908ELNS1_3gpuE7ELNS1_3repE0EEENS1_30default_config_static_selectorELNS0_4arch9wavefront6targetE1EEEvT1_, .Lfunc_end350-_ZN7rocprim17ROCPRIM_400000_NS6detail17trampoline_kernelINS0_14default_configENS1_25transform_config_selectorItLb0EEEZNS1_14transform_implILb0ES3_S5_NS0_18transform_iteratorINS0_17counting_iteratorImlEEZNS1_24adjacent_difference_implIS3_Lb1ELb0EPtSB_N6thrust23THRUST_200600_302600_NS4plusItEEEE10hipError_tPvRmT2_T3_mT4_P12ihipStream_tbEUlmE_tEESB_NS0_8identityIvEEEESG_SJ_SK_mSL_SN_bEUlT_E_NS1_11comp_targetILNS1_3genE3ELNS1_11target_archE908ELNS1_3gpuE7ELNS1_3repE0EEENS1_30default_config_static_selectorELNS0_4arch9wavefront6targetE1EEEvT1_
                                        ; -- End function
	.section	.AMDGPU.csdata,"",@progbits
; Kernel info:
; codeLenInByte = 0
; NumSgprs: 6
; NumVgprs: 0
; NumAgprs: 0
; TotalNumVgprs: 0
; ScratchSize: 0
; MemoryBound: 0
; FloatMode: 240
; IeeeMode: 1
; LDSByteSize: 0 bytes/workgroup (compile time only)
; SGPRBlocks: 0
; VGPRBlocks: 0
; NumSGPRsForWavesPerEU: 6
; NumVGPRsForWavesPerEU: 1
; AccumOffset: 4
; Occupancy: 8
; WaveLimiterHint : 0
; COMPUTE_PGM_RSRC2:SCRATCH_EN: 0
; COMPUTE_PGM_RSRC2:USER_SGPR: 2
; COMPUTE_PGM_RSRC2:TRAP_HANDLER: 0
; COMPUTE_PGM_RSRC2:TGID_X_EN: 1
; COMPUTE_PGM_RSRC2:TGID_Y_EN: 0
; COMPUTE_PGM_RSRC2:TGID_Z_EN: 0
; COMPUTE_PGM_RSRC2:TIDIG_COMP_CNT: 0
; COMPUTE_PGM_RSRC3_GFX90A:ACCUM_OFFSET: 0
; COMPUTE_PGM_RSRC3_GFX90A:TG_SPLIT: 0
	.section	.text._ZN7rocprim17ROCPRIM_400000_NS6detail17trampoline_kernelINS0_14default_configENS1_25transform_config_selectorItLb0EEEZNS1_14transform_implILb0ES3_S5_NS0_18transform_iteratorINS0_17counting_iteratorImlEEZNS1_24adjacent_difference_implIS3_Lb1ELb0EPtSB_N6thrust23THRUST_200600_302600_NS4plusItEEEE10hipError_tPvRmT2_T3_mT4_P12ihipStream_tbEUlmE_tEESB_NS0_8identityIvEEEESG_SJ_SK_mSL_SN_bEUlT_E_NS1_11comp_targetILNS1_3genE2ELNS1_11target_archE906ELNS1_3gpuE6ELNS1_3repE0EEENS1_30default_config_static_selectorELNS0_4arch9wavefront6targetE1EEEvT1_,"axG",@progbits,_ZN7rocprim17ROCPRIM_400000_NS6detail17trampoline_kernelINS0_14default_configENS1_25transform_config_selectorItLb0EEEZNS1_14transform_implILb0ES3_S5_NS0_18transform_iteratorINS0_17counting_iteratorImlEEZNS1_24adjacent_difference_implIS3_Lb1ELb0EPtSB_N6thrust23THRUST_200600_302600_NS4plusItEEEE10hipError_tPvRmT2_T3_mT4_P12ihipStream_tbEUlmE_tEESB_NS0_8identityIvEEEESG_SJ_SK_mSL_SN_bEUlT_E_NS1_11comp_targetILNS1_3genE2ELNS1_11target_archE906ELNS1_3gpuE6ELNS1_3repE0EEENS1_30default_config_static_selectorELNS0_4arch9wavefront6targetE1EEEvT1_,comdat
	.protected	_ZN7rocprim17ROCPRIM_400000_NS6detail17trampoline_kernelINS0_14default_configENS1_25transform_config_selectorItLb0EEEZNS1_14transform_implILb0ES3_S5_NS0_18transform_iteratorINS0_17counting_iteratorImlEEZNS1_24adjacent_difference_implIS3_Lb1ELb0EPtSB_N6thrust23THRUST_200600_302600_NS4plusItEEEE10hipError_tPvRmT2_T3_mT4_P12ihipStream_tbEUlmE_tEESB_NS0_8identityIvEEEESG_SJ_SK_mSL_SN_bEUlT_E_NS1_11comp_targetILNS1_3genE2ELNS1_11target_archE906ELNS1_3gpuE6ELNS1_3repE0EEENS1_30default_config_static_selectorELNS0_4arch9wavefront6targetE1EEEvT1_ ; -- Begin function _ZN7rocprim17ROCPRIM_400000_NS6detail17trampoline_kernelINS0_14default_configENS1_25transform_config_selectorItLb0EEEZNS1_14transform_implILb0ES3_S5_NS0_18transform_iteratorINS0_17counting_iteratorImlEEZNS1_24adjacent_difference_implIS3_Lb1ELb0EPtSB_N6thrust23THRUST_200600_302600_NS4plusItEEEE10hipError_tPvRmT2_T3_mT4_P12ihipStream_tbEUlmE_tEESB_NS0_8identityIvEEEESG_SJ_SK_mSL_SN_bEUlT_E_NS1_11comp_targetILNS1_3genE2ELNS1_11target_archE906ELNS1_3gpuE6ELNS1_3repE0EEENS1_30default_config_static_selectorELNS0_4arch9wavefront6targetE1EEEvT1_
	.globl	_ZN7rocprim17ROCPRIM_400000_NS6detail17trampoline_kernelINS0_14default_configENS1_25transform_config_selectorItLb0EEEZNS1_14transform_implILb0ES3_S5_NS0_18transform_iteratorINS0_17counting_iteratorImlEEZNS1_24adjacent_difference_implIS3_Lb1ELb0EPtSB_N6thrust23THRUST_200600_302600_NS4plusItEEEE10hipError_tPvRmT2_T3_mT4_P12ihipStream_tbEUlmE_tEESB_NS0_8identityIvEEEESG_SJ_SK_mSL_SN_bEUlT_E_NS1_11comp_targetILNS1_3genE2ELNS1_11target_archE906ELNS1_3gpuE6ELNS1_3repE0EEENS1_30default_config_static_selectorELNS0_4arch9wavefront6targetE1EEEvT1_
	.p2align	8
	.type	_ZN7rocprim17ROCPRIM_400000_NS6detail17trampoline_kernelINS0_14default_configENS1_25transform_config_selectorItLb0EEEZNS1_14transform_implILb0ES3_S5_NS0_18transform_iteratorINS0_17counting_iteratorImlEEZNS1_24adjacent_difference_implIS3_Lb1ELb0EPtSB_N6thrust23THRUST_200600_302600_NS4plusItEEEE10hipError_tPvRmT2_T3_mT4_P12ihipStream_tbEUlmE_tEESB_NS0_8identityIvEEEESG_SJ_SK_mSL_SN_bEUlT_E_NS1_11comp_targetILNS1_3genE2ELNS1_11target_archE906ELNS1_3gpuE6ELNS1_3repE0EEENS1_30default_config_static_selectorELNS0_4arch9wavefront6targetE1EEEvT1_,@function
_ZN7rocprim17ROCPRIM_400000_NS6detail17trampoline_kernelINS0_14default_configENS1_25transform_config_selectorItLb0EEEZNS1_14transform_implILb0ES3_S5_NS0_18transform_iteratorINS0_17counting_iteratorImlEEZNS1_24adjacent_difference_implIS3_Lb1ELb0EPtSB_N6thrust23THRUST_200600_302600_NS4plusItEEEE10hipError_tPvRmT2_T3_mT4_P12ihipStream_tbEUlmE_tEESB_NS0_8identityIvEEEESG_SJ_SK_mSL_SN_bEUlT_E_NS1_11comp_targetILNS1_3genE2ELNS1_11target_archE906ELNS1_3gpuE6ELNS1_3repE0EEENS1_30default_config_static_selectorELNS0_4arch9wavefront6targetE1EEEvT1_: ; @_ZN7rocprim17ROCPRIM_400000_NS6detail17trampoline_kernelINS0_14default_configENS1_25transform_config_selectorItLb0EEEZNS1_14transform_implILb0ES3_S5_NS0_18transform_iteratorINS0_17counting_iteratorImlEEZNS1_24adjacent_difference_implIS3_Lb1ELb0EPtSB_N6thrust23THRUST_200600_302600_NS4plusItEEEE10hipError_tPvRmT2_T3_mT4_P12ihipStream_tbEUlmE_tEESB_NS0_8identityIvEEEESG_SJ_SK_mSL_SN_bEUlT_E_NS1_11comp_targetILNS1_3genE2ELNS1_11target_archE906ELNS1_3gpuE6ELNS1_3repE0EEENS1_30default_config_static_selectorELNS0_4arch9wavefront6targetE1EEEvT1_
; %bb.0:
	.section	.rodata,"a",@progbits
	.p2align	6, 0x0
	.amdhsa_kernel _ZN7rocprim17ROCPRIM_400000_NS6detail17trampoline_kernelINS0_14default_configENS1_25transform_config_selectorItLb0EEEZNS1_14transform_implILb0ES3_S5_NS0_18transform_iteratorINS0_17counting_iteratorImlEEZNS1_24adjacent_difference_implIS3_Lb1ELb0EPtSB_N6thrust23THRUST_200600_302600_NS4plusItEEEE10hipError_tPvRmT2_T3_mT4_P12ihipStream_tbEUlmE_tEESB_NS0_8identityIvEEEESG_SJ_SK_mSL_SN_bEUlT_E_NS1_11comp_targetILNS1_3genE2ELNS1_11target_archE906ELNS1_3gpuE6ELNS1_3repE0EEENS1_30default_config_static_selectorELNS0_4arch9wavefront6targetE1EEEvT1_
		.amdhsa_group_segment_fixed_size 0
		.amdhsa_private_segment_fixed_size 0
		.amdhsa_kernarg_size 56
		.amdhsa_user_sgpr_count 2
		.amdhsa_user_sgpr_dispatch_ptr 0
		.amdhsa_user_sgpr_queue_ptr 0
		.amdhsa_user_sgpr_kernarg_segment_ptr 1
		.amdhsa_user_sgpr_dispatch_id 0
		.amdhsa_user_sgpr_kernarg_preload_length 0
		.amdhsa_user_sgpr_kernarg_preload_offset 0
		.amdhsa_user_sgpr_private_segment_size 0
		.amdhsa_uses_dynamic_stack 0
		.amdhsa_enable_private_segment 0
		.amdhsa_system_sgpr_workgroup_id_x 1
		.amdhsa_system_sgpr_workgroup_id_y 0
		.amdhsa_system_sgpr_workgroup_id_z 0
		.amdhsa_system_sgpr_workgroup_info 0
		.amdhsa_system_vgpr_workitem_id 0
		.amdhsa_next_free_vgpr 1
		.amdhsa_next_free_sgpr 0
		.amdhsa_accum_offset 4
		.amdhsa_reserve_vcc 0
		.amdhsa_float_round_mode_32 0
		.amdhsa_float_round_mode_16_64 0
		.amdhsa_float_denorm_mode_32 3
		.amdhsa_float_denorm_mode_16_64 3
		.amdhsa_dx10_clamp 1
		.amdhsa_ieee_mode 1
		.amdhsa_fp16_overflow 0
		.amdhsa_tg_split 0
		.amdhsa_exception_fp_ieee_invalid_op 0
		.amdhsa_exception_fp_denorm_src 0
		.amdhsa_exception_fp_ieee_div_zero 0
		.amdhsa_exception_fp_ieee_overflow 0
		.amdhsa_exception_fp_ieee_underflow 0
		.amdhsa_exception_fp_ieee_inexact 0
		.amdhsa_exception_int_div_zero 0
	.end_amdhsa_kernel
	.section	.text._ZN7rocprim17ROCPRIM_400000_NS6detail17trampoline_kernelINS0_14default_configENS1_25transform_config_selectorItLb0EEEZNS1_14transform_implILb0ES3_S5_NS0_18transform_iteratorINS0_17counting_iteratorImlEEZNS1_24adjacent_difference_implIS3_Lb1ELb0EPtSB_N6thrust23THRUST_200600_302600_NS4plusItEEEE10hipError_tPvRmT2_T3_mT4_P12ihipStream_tbEUlmE_tEESB_NS0_8identityIvEEEESG_SJ_SK_mSL_SN_bEUlT_E_NS1_11comp_targetILNS1_3genE2ELNS1_11target_archE906ELNS1_3gpuE6ELNS1_3repE0EEENS1_30default_config_static_selectorELNS0_4arch9wavefront6targetE1EEEvT1_,"axG",@progbits,_ZN7rocprim17ROCPRIM_400000_NS6detail17trampoline_kernelINS0_14default_configENS1_25transform_config_selectorItLb0EEEZNS1_14transform_implILb0ES3_S5_NS0_18transform_iteratorINS0_17counting_iteratorImlEEZNS1_24adjacent_difference_implIS3_Lb1ELb0EPtSB_N6thrust23THRUST_200600_302600_NS4plusItEEEE10hipError_tPvRmT2_T3_mT4_P12ihipStream_tbEUlmE_tEESB_NS0_8identityIvEEEESG_SJ_SK_mSL_SN_bEUlT_E_NS1_11comp_targetILNS1_3genE2ELNS1_11target_archE906ELNS1_3gpuE6ELNS1_3repE0EEENS1_30default_config_static_selectorELNS0_4arch9wavefront6targetE1EEEvT1_,comdat
.Lfunc_end351:
	.size	_ZN7rocprim17ROCPRIM_400000_NS6detail17trampoline_kernelINS0_14default_configENS1_25transform_config_selectorItLb0EEEZNS1_14transform_implILb0ES3_S5_NS0_18transform_iteratorINS0_17counting_iteratorImlEEZNS1_24adjacent_difference_implIS3_Lb1ELb0EPtSB_N6thrust23THRUST_200600_302600_NS4plusItEEEE10hipError_tPvRmT2_T3_mT4_P12ihipStream_tbEUlmE_tEESB_NS0_8identityIvEEEESG_SJ_SK_mSL_SN_bEUlT_E_NS1_11comp_targetILNS1_3genE2ELNS1_11target_archE906ELNS1_3gpuE6ELNS1_3repE0EEENS1_30default_config_static_selectorELNS0_4arch9wavefront6targetE1EEEvT1_, .Lfunc_end351-_ZN7rocprim17ROCPRIM_400000_NS6detail17trampoline_kernelINS0_14default_configENS1_25transform_config_selectorItLb0EEEZNS1_14transform_implILb0ES3_S5_NS0_18transform_iteratorINS0_17counting_iteratorImlEEZNS1_24adjacent_difference_implIS3_Lb1ELb0EPtSB_N6thrust23THRUST_200600_302600_NS4plusItEEEE10hipError_tPvRmT2_T3_mT4_P12ihipStream_tbEUlmE_tEESB_NS0_8identityIvEEEESG_SJ_SK_mSL_SN_bEUlT_E_NS1_11comp_targetILNS1_3genE2ELNS1_11target_archE906ELNS1_3gpuE6ELNS1_3repE0EEENS1_30default_config_static_selectorELNS0_4arch9wavefront6targetE1EEEvT1_
                                        ; -- End function
	.section	.AMDGPU.csdata,"",@progbits
; Kernel info:
; codeLenInByte = 0
; NumSgprs: 6
; NumVgprs: 0
; NumAgprs: 0
; TotalNumVgprs: 0
; ScratchSize: 0
; MemoryBound: 0
; FloatMode: 240
; IeeeMode: 1
; LDSByteSize: 0 bytes/workgroup (compile time only)
; SGPRBlocks: 0
; VGPRBlocks: 0
; NumSGPRsForWavesPerEU: 6
; NumVGPRsForWavesPerEU: 1
; AccumOffset: 4
; Occupancy: 8
; WaveLimiterHint : 0
; COMPUTE_PGM_RSRC2:SCRATCH_EN: 0
; COMPUTE_PGM_RSRC2:USER_SGPR: 2
; COMPUTE_PGM_RSRC2:TRAP_HANDLER: 0
; COMPUTE_PGM_RSRC2:TGID_X_EN: 1
; COMPUTE_PGM_RSRC2:TGID_Y_EN: 0
; COMPUTE_PGM_RSRC2:TGID_Z_EN: 0
; COMPUTE_PGM_RSRC2:TIDIG_COMP_CNT: 0
; COMPUTE_PGM_RSRC3_GFX90A:ACCUM_OFFSET: 0
; COMPUTE_PGM_RSRC3_GFX90A:TG_SPLIT: 0
	.section	.text._ZN7rocprim17ROCPRIM_400000_NS6detail17trampoline_kernelINS0_14default_configENS1_25transform_config_selectorItLb0EEEZNS1_14transform_implILb0ES3_S5_NS0_18transform_iteratorINS0_17counting_iteratorImlEEZNS1_24adjacent_difference_implIS3_Lb1ELb0EPtSB_N6thrust23THRUST_200600_302600_NS4plusItEEEE10hipError_tPvRmT2_T3_mT4_P12ihipStream_tbEUlmE_tEESB_NS0_8identityIvEEEESG_SJ_SK_mSL_SN_bEUlT_E_NS1_11comp_targetILNS1_3genE10ELNS1_11target_archE1201ELNS1_3gpuE5ELNS1_3repE0EEENS1_30default_config_static_selectorELNS0_4arch9wavefront6targetE1EEEvT1_,"axG",@progbits,_ZN7rocprim17ROCPRIM_400000_NS6detail17trampoline_kernelINS0_14default_configENS1_25transform_config_selectorItLb0EEEZNS1_14transform_implILb0ES3_S5_NS0_18transform_iteratorINS0_17counting_iteratorImlEEZNS1_24adjacent_difference_implIS3_Lb1ELb0EPtSB_N6thrust23THRUST_200600_302600_NS4plusItEEEE10hipError_tPvRmT2_T3_mT4_P12ihipStream_tbEUlmE_tEESB_NS0_8identityIvEEEESG_SJ_SK_mSL_SN_bEUlT_E_NS1_11comp_targetILNS1_3genE10ELNS1_11target_archE1201ELNS1_3gpuE5ELNS1_3repE0EEENS1_30default_config_static_selectorELNS0_4arch9wavefront6targetE1EEEvT1_,comdat
	.protected	_ZN7rocprim17ROCPRIM_400000_NS6detail17trampoline_kernelINS0_14default_configENS1_25transform_config_selectorItLb0EEEZNS1_14transform_implILb0ES3_S5_NS0_18transform_iteratorINS0_17counting_iteratorImlEEZNS1_24adjacent_difference_implIS3_Lb1ELb0EPtSB_N6thrust23THRUST_200600_302600_NS4plusItEEEE10hipError_tPvRmT2_T3_mT4_P12ihipStream_tbEUlmE_tEESB_NS0_8identityIvEEEESG_SJ_SK_mSL_SN_bEUlT_E_NS1_11comp_targetILNS1_3genE10ELNS1_11target_archE1201ELNS1_3gpuE5ELNS1_3repE0EEENS1_30default_config_static_selectorELNS0_4arch9wavefront6targetE1EEEvT1_ ; -- Begin function _ZN7rocprim17ROCPRIM_400000_NS6detail17trampoline_kernelINS0_14default_configENS1_25transform_config_selectorItLb0EEEZNS1_14transform_implILb0ES3_S5_NS0_18transform_iteratorINS0_17counting_iteratorImlEEZNS1_24adjacent_difference_implIS3_Lb1ELb0EPtSB_N6thrust23THRUST_200600_302600_NS4plusItEEEE10hipError_tPvRmT2_T3_mT4_P12ihipStream_tbEUlmE_tEESB_NS0_8identityIvEEEESG_SJ_SK_mSL_SN_bEUlT_E_NS1_11comp_targetILNS1_3genE10ELNS1_11target_archE1201ELNS1_3gpuE5ELNS1_3repE0EEENS1_30default_config_static_selectorELNS0_4arch9wavefront6targetE1EEEvT1_
	.globl	_ZN7rocprim17ROCPRIM_400000_NS6detail17trampoline_kernelINS0_14default_configENS1_25transform_config_selectorItLb0EEEZNS1_14transform_implILb0ES3_S5_NS0_18transform_iteratorINS0_17counting_iteratorImlEEZNS1_24adjacent_difference_implIS3_Lb1ELb0EPtSB_N6thrust23THRUST_200600_302600_NS4plusItEEEE10hipError_tPvRmT2_T3_mT4_P12ihipStream_tbEUlmE_tEESB_NS0_8identityIvEEEESG_SJ_SK_mSL_SN_bEUlT_E_NS1_11comp_targetILNS1_3genE10ELNS1_11target_archE1201ELNS1_3gpuE5ELNS1_3repE0EEENS1_30default_config_static_selectorELNS0_4arch9wavefront6targetE1EEEvT1_
	.p2align	8
	.type	_ZN7rocprim17ROCPRIM_400000_NS6detail17trampoline_kernelINS0_14default_configENS1_25transform_config_selectorItLb0EEEZNS1_14transform_implILb0ES3_S5_NS0_18transform_iteratorINS0_17counting_iteratorImlEEZNS1_24adjacent_difference_implIS3_Lb1ELb0EPtSB_N6thrust23THRUST_200600_302600_NS4plusItEEEE10hipError_tPvRmT2_T3_mT4_P12ihipStream_tbEUlmE_tEESB_NS0_8identityIvEEEESG_SJ_SK_mSL_SN_bEUlT_E_NS1_11comp_targetILNS1_3genE10ELNS1_11target_archE1201ELNS1_3gpuE5ELNS1_3repE0EEENS1_30default_config_static_selectorELNS0_4arch9wavefront6targetE1EEEvT1_,@function
_ZN7rocprim17ROCPRIM_400000_NS6detail17trampoline_kernelINS0_14default_configENS1_25transform_config_selectorItLb0EEEZNS1_14transform_implILb0ES3_S5_NS0_18transform_iteratorINS0_17counting_iteratorImlEEZNS1_24adjacent_difference_implIS3_Lb1ELb0EPtSB_N6thrust23THRUST_200600_302600_NS4plusItEEEE10hipError_tPvRmT2_T3_mT4_P12ihipStream_tbEUlmE_tEESB_NS0_8identityIvEEEESG_SJ_SK_mSL_SN_bEUlT_E_NS1_11comp_targetILNS1_3genE10ELNS1_11target_archE1201ELNS1_3gpuE5ELNS1_3repE0EEENS1_30default_config_static_selectorELNS0_4arch9wavefront6targetE1EEEvT1_: ; @_ZN7rocprim17ROCPRIM_400000_NS6detail17trampoline_kernelINS0_14default_configENS1_25transform_config_selectorItLb0EEEZNS1_14transform_implILb0ES3_S5_NS0_18transform_iteratorINS0_17counting_iteratorImlEEZNS1_24adjacent_difference_implIS3_Lb1ELb0EPtSB_N6thrust23THRUST_200600_302600_NS4plusItEEEE10hipError_tPvRmT2_T3_mT4_P12ihipStream_tbEUlmE_tEESB_NS0_8identityIvEEEESG_SJ_SK_mSL_SN_bEUlT_E_NS1_11comp_targetILNS1_3genE10ELNS1_11target_archE1201ELNS1_3gpuE5ELNS1_3repE0EEENS1_30default_config_static_selectorELNS0_4arch9wavefront6targetE1EEEvT1_
; %bb.0:
	.section	.rodata,"a",@progbits
	.p2align	6, 0x0
	.amdhsa_kernel _ZN7rocprim17ROCPRIM_400000_NS6detail17trampoline_kernelINS0_14default_configENS1_25transform_config_selectorItLb0EEEZNS1_14transform_implILb0ES3_S5_NS0_18transform_iteratorINS0_17counting_iteratorImlEEZNS1_24adjacent_difference_implIS3_Lb1ELb0EPtSB_N6thrust23THRUST_200600_302600_NS4plusItEEEE10hipError_tPvRmT2_T3_mT4_P12ihipStream_tbEUlmE_tEESB_NS0_8identityIvEEEESG_SJ_SK_mSL_SN_bEUlT_E_NS1_11comp_targetILNS1_3genE10ELNS1_11target_archE1201ELNS1_3gpuE5ELNS1_3repE0EEENS1_30default_config_static_selectorELNS0_4arch9wavefront6targetE1EEEvT1_
		.amdhsa_group_segment_fixed_size 0
		.amdhsa_private_segment_fixed_size 0
		.amdhsa_kernarg_size 56
		.amdhsa_user_sgpr_count 2
		.amdhsa_user_sgpr_dispatch_ptr 0
		.amdhsa_user_sgpr_queue_ptr 0
		.amdhsa_user_sgpr_kernarg_segment_ptr 1
		.amdhsa_user_sgpr_dispatch_id 0
		.amdhsa_user_sgpr_kernarg_preload_length 0
		.amdhsa_user_sgpr_kernarg_preload_offset 0
		.amdhsa_user_sgpr_private_segment_size 0
		.amdhsa_uses_dynamic_stack 0
		.amdhsa_enable_private_segment 0
		.amdhsa_system_sgpr_workgroup_id_x 1
		.amdhsa_system_sgpr_workgroup_id_y 0
		.amdhsa_system_sgpr_workgroup_id_z 0
		.amdhsa_system_sgpr_workgroup_info 0
		.amdhsa_system_vgpr_workitem_id 0
		.amdhsa_next_free_vgpr 1
		.amdhsa_next_free_sgpr 0
		.amdhsa_accum_offset 4
		.amdhsa_reserve_vcc 0
		.amdhsa_float_round_mode_32 0
		.amdhsa_float_round_mode_16_64 0
		.amdhsa_float_denorm_mode_32 3
		.amdhsa_float_denorm_mode_16_64 3
		.amdhsa_dx10_clamp 1
		.amdhsa_ieee_mode 1
		.amdhsa_fp16_overflow 0
		.amdhsa_tg_split 0
		.amdhsa_exception_fp_ieee_invalid_op 0
		.amdhsa_exception_fp_denorm_src 0
		.amdhsa_exception_fp_ieee_div_zero 0
		.amdhsa_exception_fp_ieee_overflow 0
		.amdhsa_exception_fp_ieee_underflow 0
		.amdhsa_exception_fp_ieee_inexact 0
		.amdhsa_exception_int_div_zero 0
	.end_amdhsa_kernel
	.section	.text._ZN7rocprim17ROCPRIM_400000_NS6detail17trampoline_kernelINS0_14default_configENS1_25transform_config_selectorItLb0EEEZNS1_14transform_implILb0ES3_S5_NS0_18transform_iteratorINS0_17counting_iteratorImlEEZNS1_24adjacent_difference_implIS3_Lb1ELb0EPtSB_N6thrust23THRUST_200600_302600_NS4plusItEEEE10hipError_tPvRmT2_T3_mT4_P12ihipStream_tbEUlmE_tEESB_NS0_8identityIvEEEESG_SJ_SK_mSL_SN_bEUlT_E_NS1_11comp_targetILNS1_3genE10ELNS1_11target_archE1201ELNS1_3gpuE5ELNS1_3repE0EEENS1_30default_config_static_selectorELNS0_4arch9wavefront6targetE1EEEvT1_,"axG",@progbits,_ZN7rocprim17ROCPRIM_400000_NS6detail17trampoline_kernelINS0_14default_configENS1_25transform_config_selectorItLb0EEEZNS1_14transform_implILb0ES3_S5_NS0_18transform_iteratorINS0_17counting_iteratorImlEEZNS1_24adjacent_difference_implIS3_Lb1ELb0EPtSB_N6thrust23THRUST_200600_302600_NS4plusItEEEE10hipError_tPvRmT2_T3_mT4_P12ihipStream_tbEUlmE_tEESB_NS0_8identityIvEEEESG_SJ_SK_mSL_SN_bEUlT_E_NS1_11comp_targetILNS1_3genE10ELNS1_11target_archE1201ELNS1_3gpuE5ELNS1_3repE0EEENS1_30default_config_static_selectorELNS0_4arch9wavefront6targetE1EEEvT1_,comdat
.Lfunc_end352:
	.size	_ZN7rocprim17ROCPRIM_400000_NS6detail17trampoline_kernelINS0_14default_configENS1_25transform_config_selectorItLb0EEEZNS1_14transform_implILb0ES3_S5_NS0_18transform_iteratorINS0_17counting_iteratorImlEEZNS1_24adjacent_difference_implIS3_Lb1ELb0EPtSB_N6thrust23THRUST_200600_302600_NS4plusItEEEE10hipError_tPvRmT2_T3_mT4_P12ihipStream_tbEUlmE_tEESB_NS0_8identityIvEEEESG_SJ_SK_mSL_SN_bEUlT_E_NS1_11comp_targetILNS1_3genE10ELNS1_11target_archE1201ELNS1_3gpuE5ELNS1_3repE0EEENS1_30default_config_static_selectorELNS0_4arch9wavefront6targetE1EEEvT1_, .Lfunc_end352-_ZN7rocprim17ROCPRIM_400000_NS6detail17trampoline_kernelINS0_14default_configENS1_25transform_config_selectorItLb0EEEZNS1_14transform_implILb0ES3_S5_NS0_18transform_iteratorINS0_17counting_iteratorImlEEZNS1_24adjacent_difference_implIS3_Lb1ELb0EPtSB_N6thrust23THRUST_200600_302600_NS4plusItEEEE10hipError_tPvRmT2_T3_mT4_P12ihipStream_tbEUlmE_tEESB_NS0_8identityIvEEEESG_SJ_SK_mSL_SN_bEUlT_E_NS1_11comp_targetILNS1_3genE10ELNS1_11target_archE1201ELNS1_3gpuE5ELNS1_3repE0EEENS1_30default_config_static_selectorELNS0_4arch9wavefront6targetE1EEEvT1_
                                        ; -- End function
	.section	.AMDGPU.csdata,"",@progbits
; Kernel info:
; codeLenInByte = 0
; NumSgprs: 6
; NumVgprs: 0
; NumAgprs: 0
; TotalNumVgprs: 0
; ScratchSize: 0
; MemoryBound: 0
; FloatMode: 240
; IeeeMode: 1
; LDSByteSize: 0 bytes/workgroup (compile time only)
; SGPRBlocks: 0
; VGPRBlocks: 0
; NumSGPRsForWavesPerEU: 6
; NumVGPRsForWavesPerEU: 1
; AccumOffset: 4
; Occupancy: 8
; WaveLimiterHint : 0
; COMPUTE_PGM_RSRC2:SCRATCH_EN: 0
; COMPUTE_PGM_RSRC2:USER_SGPR: 2
; COMPUTE_PGM_RSRC2:TRAP_HANDLER: 0
; COMPUTE_PGM_RSRC2:TGID_X_EN: 1
; COMPUTE_PGM_RSRC2:TGID_Y_EN: 0
; COMPUTE_PGM_RSRC2:TGID_Z_EN: 0
; COMPUTE_PGM_RSRC2:TIDIG_COMP_CNT: 0
; COMPUTE_PGM_RSRC3_GFX90A:ACCUM_OFFSET: 0
; COMPUTE_PGM_RSRC3_GFX90A:TG_SPLIT: 0
	.section	.text._ZN7rocprim17ROCPRIM_400000_NS6detail17trampoline_kernelINS0_14default_configENS1_25transform_config_selectorItLb0EEEZNS1_14transform_implILb0ES3_S5_NS0_18transform_iteratorINS0_17counting_iteratorImlEEZNS1_24adjacent_difference_implIS3_Lb1ELb0EPtSB_N6thrust23THRUST_200600_302600_NS4plusItEEEE10hipError_tPvRmT2_T3_mT4_P12ihipStream_tbEUlmE_tEESB_NS0_8identityIvEEEESG_SJ_SK_mSL_SN_bEUlT_E_NS1_11comp_targetILNS1_3genE10ELNS1_11target_archE1200ELNS1_3gpuE4ELNS1_3repE0EEENS1_30default_config_static_selectorELNS0_4arch9wavefront6targetE1EEEvT1_,"axG",@progbits,_ZN7rocprim17ROCPRIM_400000_NS6detail17trampoline_kernelINS0_14default_configENS1_25transform_config_selectorItLb0EEEZNS1_14transform_implILb0ES3_S5_NS0_18transform_iteratorINS0_17counting_iteratorImlEEZNS1_24adjacent_difference_implIS3_Lb1ELb0EPtSB_N6thrust23THRUST_200600_302600_NS4plusItEEEE10hipError_tPvRmT2_T3_mT4_P12ihipStream_tbEUlmE_tEESB_NS0_8identityIvEEEESG_SJ_SK_mSL_SN_bEUlT_E_NS1_11comp_targetILNS1_3genE10ELNS1_11target_archE1200ELNS1_3gpuE4ELNS1_3repE0EEENS1_30default_config_static_selectorELNS0_4arch9wavefront6targetE1EEEvT1_,comdat
	.protected	_ZN7rocprim17ROCPRIM_400000_NS6detail17trampoline_kernelINS0_14default_configENS1_25transform_config_selectorItLb0EEEZNS1_14transform_implILb0ES3_S5_NS0_18transform_iteratorINS0_17counting_iteratorImlEEZNS1_24adjacent_difference_implIS3_Lb1ELb0EPtSB_N6thrust23THRUST_200600_302600_NS4plusItEEEE10hipError_tPvRmT2_T3_mT4_P12ihipStream_tbEUlmE_tEESB_NS0_8identityIvEEEESG_SJ_SK_mSL_SN_bEUlT_E_NS1_11comp_targetILNS1_3genE10ELNS1_11target_archE1200ELNS1_3gpuE4ELNS1_3repE0EEENS1_30default_config_static_selectorELNS0_4arch9wavefront6targetE1EEEvT1_ ; -- Begin function _ZN7rocprim17ROCPRIM_400000_NS6detail17trampoline_kernelINS0_14default_configENS1_25transform_config_selectorItLb0EEEZNS1_14transform_implILb0ES3_S5_NS0_18transform_iteratorINS0_17counting_iteratorImlEEZNS1_24adjacent_difference_implIS3_Lb1ELb0EPtSB_N6thrust23THRUST_200600_302600_NS4plusItEEEE10hipError_tPvRmT2_T3_mT4_P12ihipStream_tbEUlmE_tEESB_NS0_8identityIvEEEESG_SJ_SK_mSL_SN_bEUlT_E_NS1_11comp_targetILNS1_3genE10ELNS1_11target_archE1200ELNS1_3gpuE4ELNS1_3repE0EEENS1_30default_config_static_selectorELNS0_4arch9wavefront6targetE1EEEvT1_
	.globl	_ZN7rocprim17ROCPRIM_400000_NS6detail17trampoline_kernelINS0_14default_configENS1_25transform_config_selectorItLb0EEEZNS1_14transform_implILb0ES3_S5_NS0_18transform_iteratorINS0_17counting_iteratorImlEEZNS1_24adjacent_difference_implIS3_Lb1ELb0EPtSB_N6thrust23THRUST_200600_302600_NS4plusItEEEE10hipError_tPvRmT2_T3_mT4_P12ihipStream_tbEUlmE_tEESB_NS0_8identityIvEEEESG_SJ_SK_mSL_SN_bEUlT_E_NS1_11comp_targetILNS1_3genE10ELNS1_11target_archE1200ELNS1_3gpuE4ELNS1_3repE0EEENS1_30default_config_static_selectorELNS0_4arch9wavefront6targetE1EEEvT1_
	.p2align	8
	.type	_ZN7rocprim17ROCPRIM_400000_NS6detail17trampoline_kernelINS0_14default_configENS1_25transform_config_selectorItLb0EEEZNS1_14transform_implILb0ES3_S5_NS0_18transform_iteratorINS0_17counting_iteratorImlEEZNS1_24adjacent_difference_implIS3_Lb1ELb0EPtSB_N6thrust23THRUST_200600_302600_NS4plusItEEEE10hipError_tPvRmT2_T3_mT4_P12ihipStream_tbEUlmE_tEESB_NS0_8identityIvEEEESG_SJ_SK_mSL_SN_bEUlT_E_NS1_11comp_targetILNS1_3genE10ELNS1_11target_archE1200ELNS1_3gpuE4ELNS1_3repE0EEENS1_30default_config_static_selectorELNS0_4arch9wavefront6targetE1EEEvT1_,@function
_ZN7rocprim17ROCPRIM_400000_NS6detail17trampoline_kernelINS0_14default_configENS1_25transform_config_selectorItLb0EEEZNS1_14transform_implILb0ES3_S5_NS0_18transform_iteratorINS0_17counting_iteratorImlEEZNS1_24adjacent_difference_implIS3_Lb1ELb0EPtSB_N6thrust23THRUST_200600_302600_NS4plusItEEEE10hipError_tPvRmT2_T3_mT4_P12ihipStream_tbEUlmE_tEESB_NS0_8identityIvEEEESG_SJ_SK_mSL_SN_bEUlT_E_NS1_11comp_targetILNS1_3genE10ELNS1_11target_archE1200ELNS1_3gpuE4ELNS1_3repE0EEENS1_30default_config_static_selectorELNS0_4arch9wavefront6targetE1EEEvT1_: ; @_ZN7rocprim17ROCPRIM_400000_NS6detail17trampoline_kernelINS0_14default_configENS1_25transform_config_selectorItLb0EEEZNS1_14transform_implILb0ES3_S5_NS0_18transform_iteratorINS0_17counting_iteratorImlEEZNS1_24adjacent_difference_implIS3_Lb1ELb0EPtSB_N6thrust23THRUST_200600_302600_NS4plusItEEEE10hipError_tPvRmT2_T3_mT4_P12ihipStream_tbEUlmE_tEESB_NS0_8identityIvEEEESG_SJ_SK_mSL_SN_bEUlT_E_NS1_11comp_targetILNS1_3genE10ELNS1_11target_archE1200ELNS1_3gpuE4ELNS1_3repE0EEENS1_30default_config_static_selectorELNS0_4arch9wavefront6targetE1EEEvT1_
; %bb.0:
	.section	.rodata,"a",@progbits
	.p2align	6, 0x0
	.amdhsa_kernel _ZN7rocprim17ROCPRIM_400000_NS6detail17trampoline_kernelINS0_14default_configENS1_25transform_config_selectorItLb0EEEZNS1_14transform_implILb0ES3_S5_NS0_18transform_iteratorINS0_17counting_iteratorImlEEZNS1_24adjacent_difference_implIS3_Lb1ELb0EPtSB_N6thrust23THRUST_200600_302600_NS4plusItEEEE10hipError_tPvRmT2_T3_mT4_P12ihipStream_tbEUlmE_tEESB_NS0_8identityIvEEEESG_SJ_SK_mSL_SN_bEUlT_E_NS1_11comp_targetILNS1_3genE10ELNS1_11target_archE1200ELNS1_3gpuE4ELNS1_3repE0EEENS1_30default_config_static_selectorELNS0_4arch9wavefront6targetE1EEEvT1_
		.amdhsa_group_segment_fixed_size 0
		.amdhsa_private_segment_fixed_size 0
		.amdhsa_kernarg_size 56
		.amdhsa_user_sgpr_count 2
		.amdhsa_user_sgpr_dispatch_ptr 0
		.amdhsa_user_sgpr_queue_ptr 0
		.amdhsa_user_sgpr_kernarg_segment_ptr 1
		.amdhsa_user_sgpr_dispatch_id 0
		.amdhsa_user_sgpr_kernarg_preload_length 0
		.amdhsa_user_sgpr_kernarg_preload_offset 0
		.amdhsa_user_sgpr_private_segment_size 0
		.amdhsa_uses_dynamic_stack 0
		.amdhsa_enable_private_segment 0
		.amdhsa_system_sgpr_workgroup_id_x 1
		.amdhsa_system_sgpr_workgroup_id_y 0
		.amdhsa_system_sgpr_workgroup_id_z 0
		.amdhsa_system_sgpr_workgroup_info 0
		.amdhsa_system_vgpr_workitem_id 0
		.amdhsa_next_free_vgpr 1
		.amdhsa_next_free_sgpr 0
		.amdhsa_accum_offset 4
		.amdhsa_reserve_vcc 0
		.amdhsa_float_round_mode_32 0
		.amdhsa_float_round_mode_16_64 0
		.amdhsa_float_denorm_mode_32 3
		.amdhsa_float_denorm_mode_16_64 3
		.amdhsa_dx10_clamp 1
		.amdhsa_ieee_mode 1
		.amdhsa_fp16_overflow 0
		.amdhsa_tg_split 0
		.amdhsa_exception_fp_ieee_invalid_op 0
		.amdhsa_exception_fp_denorm_src 0
		.amdhsa_exception_fp_ieee_div_zero 0
		.amdhsa_exception_fp_ieee_overflow 0
		.amdhsa_exception_fp_ieee_underflow 0
		.amdhsa_exception_fp_ieee_inexact 0
		.amdhsa_exception_int_div_zero 0
	.end_amdhsa_kernel
	.section	.text._ZN7rocprim17ROCPRIM_400000_NS6detail17trampoline_kernelINS0_14default_configENS1_25transform_config_selectorItLb0EEEZNS1_14transform_implILb0ES3_S5_NS0_18transform_iteratorINS0_17counting_iteratorImlEEZNS1_24adjacent_difference_implIS3_Lb1ELb0EPtSB_N6thrust23THRUST_200600_302600_NS4plusItEEEE10hipError_tPvRmT2_T3_mT4_P12ihipStream_tbEUlmE_tEESB_NS0_8identityIvEEEESG_SJ_SK_mSL_SN_bEUlT_E_NS1_11comp_targetILNS1_3genE10ELNS1_11target_archE1200ELNS1_3gpuE4ELNS1_3repE0EEENS1_30default_config_static_selectorELNS0_4arch9wavefront6targetE1EEEvT1_,"axG",@progbits,_ZN7rocprim17ROCPRIM_400000_NS6detail17trampoline_kernelINS0_14default_configENS1_25transform_config_selectorItLb0EEEZNS1_14transform_implILb0ES3_S5_NS0_18transform_iteratorINS0_17counting_iteratorImlEEZNS1_24adjacent_difference_implIS3_Lb1ELb0EPtSB_N6thrust23THRUST_200600_302600_NS4plusItEEEE10hipError_tPvRmT2_T3_mT4_P12ihipStream_tbEUlmE_tEESB_NS0_8identityIvEEEESG_SJ_SK_mSL_SN_bEUlT_E_NS1_11comp_targetILNS1_3genE10ELNS1_11target_archE1200ELNS1_3gpuE4ELNS1_3repE0EEENS1_30default_config_static_selectorELNS0_4arch9wavefront6targetE1EEEvT1_,comdat
.Lfunc_end353:
	.size	_ZN7rocprim17ROCPRIM_400000_NS6detail17trampoline_kernelINS0_14default_configENS1_25transform_config_selectorItLb0EEEZNS1_14transform_implILb0ES3_S5_NS0_18transform_iteratorINS0_17counting_iteratorImlEEZNS1_24adjacent_difference_implIS3_Lb1ELb0EPtSB_N6thrust23THRUST_200600_302600_NS4plusItEEEE10hipError_tPvRmT2_T3_mT4_P12ihipStream_tbEUlmE_tEESB_NS0_8identityIvEEEESG_SJ_SK_mSL_SN_bEUlT_E_NS1_11comp_targetILNS1_3genE10ELNS1_11target_archE1200ELNS1_3gpuE4ELNS1_3repE0EEENS1_30default_config_static_selectorELNS0_4arch9wavefront6targetE1EEEvT1_, .Lfunc_end353-_ZN7rocprim17ROCPRIM_400000_NS6detail17trampoline_kernelINS0_14default_configENS1_25transform_config_selectorItLb0EEEZNS1_14transform_implILb0ES3_S5_NS0_18transform_iteratorINS0_17counting_iteratorImlEEZNS1_24adjacent_difference_implIS3_Lb1ELb0EPtSB_N6thrust23THRUST_200600_302600_NS4plusItEEEE10hipError_tPvRmT2_T3_mT4_P12ihipStream_tbEUlmE_tEESB_NS0_8identityIvEEEESG_SJ_SK_mSL_SN_bEUlT_E_NS1_11comp_targetILNS1_3genE10ELNS1_11target_archE1200ELNS1_3gpuE4ELNS1_3repE0EEENS1_30default_config_static_selectorELNS0_4arch9wavefront6targetE1EEEvT1_
                                        ; -- End function
	.section	.AMDGPU.csdata,"",@progbits
; Kernel info:
; codeLenInByte = 0
; NumSgprs: 6
; NumVgprs: 0
; NumAgprs: 0
; TotalNumVgprs: 0
; ScratchSize: 0
; MemoryBound: 0
; FloatMode: 240
; IeeeMode: 1
; LDSByteSize: 0 bytes/workgroup (compile time only)
; SGPRBlocks: 0
; VGPRBlocks: 0
; NumSGPRsForWavesPerEU: 6
; NumVGPRsForWavesPerEU: 1
; AccumOffset: 4
; Occupancy: 8
; WaveLimiterHint : 0
; COMPUTE_PGM_RSRC2:SCRATCH_EN: 0
; COMPUTE_PGM_RSRC2:USER_SGPR: 2
; COMPUTE_PGM_RSRC2:TRAP_HANDLER: 0
; COMPUTE_PGM_RSRC2:TGID_X_EN: 1
; COMPUTE_PGM_RSRC2:TGID_Y_EN: 0
; COMPUTE_PGM_RSRC2:TGID_Z_EN: 0
; COMPUTE_PGM_RSRC2:TIDIG_COMP_CNT: 0
; COMPUTE_PGM_RSRC3_GFX90A:ACCUM_OFFSET: 0
; COMPUTE_PGM_RSRC3_GFX90A:TG_SPLIT: 0
	.section	.text._ZN7rocprim17ROCPRIM_400000_NS6detail17trampoline_kernelINS0_14default_configENS1_25transform_config_selectorItLb0EEEZNS1_14transform_implILb0ES3_S5_NS0_18transform_iteratorINS0_17counting_iteratorImlEEZNS1_24adjacent_difference_implIS3_Lb1ELb0EPtSB_N6thrust23THRUST_200600_302600_NS4plusItEEEE10hipError_tPvRmT2_T3_mT4_P12ihipStream_tbEUlmE_tEESB_NS0_8identityIvEEEESG_SJ_SK_mSL_SN_bEUlT_E_NS1_11comp_targetILNS1_3genE9ELNS1_11target_archE1100ELNS1_3gpuE3ELNS1_3repE0EEENS1_30default_config_static_selectorELNS0_4arch9wavefront6targetE1EEEvT1_,"axG",@progbits,_ZN7rocprim17ROCPRIM_400000_NS6detail17trampoline_kernelINS0_14default_configENS1_25transform_config_selectorItLb0EEEZNS1_14transform_implILb0ES3_S5_NS0_18transform_iteratorINS0_17counting_iteratorImlEEZNS1_24adjacent_difference_implIS3_Lb1ELb0EPtSB_N6thrust23THRUST_200600_302600_NS4plusItEEEE10hipError_tPvRmT2_T3_mT4_P12ihipStream_tbEUlmE_tEESB_NS0_8identityIvEEEESG_SJ_SK_mSL_SN_bEUlT_E_NS1_11comp_targetILNS1_3genE9ELNS1_11target_archE1100ELNS1_3gpuE3ELNS1_3repE0EEENS1_30default_config_static_selectorELNS0_4arch9wavefront6targetE1EEEvT1_,comdat
	.protected	_ZN7rocprim17ROCPRIM_400000_NS6detail17trampoline_kernelINS0_14default_configENS1_25transform_config_selectorItLb0EEEZNS1_14transform_implILb0ES3_S5_NS0_18transform_iteratorINS0_17counting_iteratorImlEEZNS1_24adjacent_difference_implIS3_Lb1ELb0EPtSB_N6thrust23THRUST_200600_302600_NS4plusItEEEE10hipError_tPvRmT2_T3_mT4_P12ihipStream_tbEUlmE_tEESB_NS0_8identityIvEEEESG_SJ_SK_mSL_SN_bEUlT_E_NS1_11comp_targetILNS1_3genE9ELNS1_11target_archE1100ELNS1_3gpuE3ELNS1_3repE0EEENS1_30default_config_static_selectorELNS0_4arch9wavefront6targetE1EEEvT1_ ; -- Begin function _ZN7rocprim17ROCPRIM_400000_NS6detail17trampoline_kernelINS0_14default_configENS1_25transform_config_selectorItLb0EEEZNS1_14transform_implILb0ES3_S5_NS0_18transform_iteratorINS0_17counting_iteratorImlEEZNS1_24adjacent_difference_implIS3_Lb1ELb0EPtSB_N6thrust23THRUST_200600_302600_NS4plusItEEEE10hipError_tPvRmT2_T3_mT4_P12ihipStream_tbEUlmE_tEESB_NS0_8identityIvEEEESG_SJ_SK_mSL_SN_bEUlT_E_NS1_11comp_targetILNS1_3genE9ELNS1_11target_archE1100ELNS1_3gpuE3ELNS1_3repE0EEENS1_30default_config_static_selectorELNS0_4arch9wavefront6targetE1EEEvT1_
	.globl	_ZN7rocprim17ROCPRIM_400000_NS6detail17trampoline_kernelINS0_14default_configENS1_25transform_config_selectorItLb0EEEZNS1_14transform_implILb0ES3_S5_NS0_18transform_iteratorINS0_17counting_iteratorImlEEZNS1_24adjacent_difference_implIS3_Lb1ELb0EPtSB_N6thrust23THRUST_200600_302600_NS4plusItEEEE10hipError_tPvRmT2_T3_mT4_P12ihipStream_tbEUlmE_tEESB_NS0_8identityIvEEEESG_SJ_SK_mSL_SN_bEUlT_E_NS1_11comp_targetILNS1_3genE9ELNS1_11target_archE1100ELNS1_3gpuE3ELNS1_3repE0EEENS1_30default_config_static_selectorELNS0_4arch9wavefront6targetE1EEEvT1_
	.p2align	8
	.type	_ZN7rocprim17ROCPRIM_400000_NS6detail17trampoline_kernelINS0_14default_configENS1_25transform_config_selectorItLb0EEEZNS1_14transform_implILb0ES3_S5_NS0_18transform_iteratorINS0_17counting_iteratorImlEEZNS1_24adjacent_difference_implIS3_Lb1ELb0EPtSB_N6thrust23THRUST_200600_302600_NS4plusItEEEE10hipError_tPvRmT2_T3_mT4_P12ihipStream_tbEUlmE_tEESB_NS0_8identityIvEEEESG_SJ_SK_mSL_SN_bEUlT_E_NS1_11comp_targetILNS1_3genE9ELNS1_11target_archE1100ELNS1_3gpuE3ELNS1_3repE0EEENS1_30default_config_static_selectorELNS0_4arch9wavefront6targetE1EEEvT1_,@function
_ZN7rocprim17ROCPRIM_400000_NS6detail17trampoline_kernelINS0_14default_configENS1_25transform_config_selectorItLb0EEEZNS1_14transform_implILb0ES3_S5_NS0_18transform_iteratorINS0_17counting_iteratorImlEEZNS1_24adjacent_difference_implIS3_Lb1ELb0EPtSB_N6thrust23THRUST_200600_302600_NS4plusItEEEE10hipError_tPvRmT2_T3_mT4_P12ihipStream_tbEUlmE_tEESB_NS0_8identityIvEEEESG_SJ_SK_mSL_SN_bEUlT_E_NS1_11comp_targetILNS1_3genE9ELNS1_11target_archE1100ELNS1_3gpuE3ELNS1_3repE0EEENS1_30default_config_static_selectorELNS0_4arch9wavefront6targetE1EEEvT1_: ; @_ZN7rocprim17ROCPRIM_400000_NS6detail17trampoline_kernelINS0_14default_configENS1_25transform_config_selectorItLb0EEEZNS1_14transform_implILb0ES3_S5_NS0_18transform_iteratorINS0_17counting_iteratorImlEEZNS1_24adjacent_difference_implIS3_Lb1ELb0EPtSB_N6thrust23THRUST_200600_302600_NS4plusItEEEE10hipError_tPvRmT2_T3_mT4_P12ihipStream_tbEUlmE_tEESB_NS0_8identityIvEEEESG_SJ_SK_mSL_SN_bEUlT_E_NS1_11comp_targetILNS1_3genE9ELNS1_11target_archE1100ELNS1_3gpuE3ELNS1_3repE0EEENS1_30default_config_static_selectorELNS0_4arch9wavefront6targetE1EEEvT1_
; %bb.0:
	.section	.rodata,"a",@progbits
	.p2align	6, 0x0
	.amdhsa_kernel _ZN7rocprim17ROCPRIM_400000_NS6detail17trampoline_kernelINS0_14default_configENS1_25transform_config_selectorItLb0EEEZNS1_14transform_implILb0ES3_S5_NS0_18transform_iteratorINS0_17counting_iteratorImlEEZNS1_24adjacent_difference_implIS3_Lb1ELb0EPtSB_N6thrust23THRUST_200600_302600_NS4plusItEEEE10hipError_tPvRmT2_T3_mT4_P12ihipStream_tbEUlmE_tEESB_NS0_8identityIvEEEESG_SJ_SK_mSL_SN_bEUlT_E_NS1_11comp_targetILNS1_3genE9ELNS1_11target_archE1100ELNS1_3gpuE3ELNS1_3repE0EEENS1_30default_config_static_selectorELNS0_4arch9wavefront6targetE1EEEvT1_
		.amdhsa_group_segment_fixed_size 0
		.amdhsa_private_segment_fixed_size 0
		.amdhsa_kernarg_size 56
		.amdhsa_user_sgpr_count 2
		.amdhsa_user_sgpr_dispatch_ptr 0
		.amdhsa_user_sgpr_queue_ptr 0
		.amdhsa_user_sgpr_kernarg_segment_ptr 1
		.amdhsa_user_sgpr_dispatch_id 0
		.amdhsa_user_sgpr_kernarg_preload_length 0
		.amdhsa_user_sgpr_kernarg_preload_offset 0
		.amdhsa_user_sgpr_private_segment_size 0
		.amdhsa_uses_dynamic_stack 0
		.amdhsa_enable_private_segment 0
		.amdhsa_system_sgpr_workgroup_id_x 1
		.amdhsa_system_sgpr_workgroup_id_y 0
		.amdhsa_system_sgpr_workgroup_id_z 0
		.amdhsa_system_sgpr_workgroup_info 0
		.amdhsa_system_vgpr_workitem_id 0
		.amdhsa_next_free_vgpr 1
		.amdhsa_next_free_sgpr 0
		.amdhsa_accum_offset 4
		.amdhsa_reserve_vcc 0
		.amdhsa_float_round_mode_32 0
		.amdhsa_float_round_mode_16_64 0
		.amdhsa_float_denorm_mode_32 3
		.amdhsa_float_denorm_mode_16_64 3
		.amdhsa_dx10_clamp 1
		.amdhsa_ieee_mode 1
		.amdhsa_fp16_overflow 0
		.amdhsa_tg_split 0
		.amdhsa_exception_fp_ieee_invalid_op 0
		.amdhsa_exception_fp_denorm_src 0
		.amdhsa_exception_fp_ieee_div_zero 0
		.amdhsa_exception_fp_ieee_overflow 0
		.amdhsa_exception_fp_ieee_underflow 0
		.amdhsa_exception_fp_ieee_inexact 0
		.amdhsa_exception_int_div_zero 0
	.end_amdhsa_kernel
	.section	.text._ZN7rocprim17ROCPRIM_400000_NS6detail17trampoline_kernelINS0_14default_configENS1_25transform_config_selectorItLb0EEEZNS1_14transform_implILb0ES3_S5_NS0_18transform_iteratorINS0_17counting_iteratorImlEEZNS1_24adjacent_difference_implIS3_Lb1ELb0EPtSB_N6thrust23THRUST_200600_302600_NS4plusItEEEE10hipError_tPvRmT2_T3_mT4_P12ihipStream_tbEUlmE_tEESB_NS0_8identityIvEEEESG_SJ_SK_mSL_SN_bEUlT_E_NS1_11comp_targetILNS1_3genE9ELNS1_11target_archE1100ELNS1_3gpuE3ELNS1_3repE0EEENS1_30default_config_static_selectorELNS0_4arch9wavefront6targetE1EEEvT1_,"axG",@progbits,_ZN7rocprim17ROCPRIM_400000_NS6detail17trampoline_kernelINS0_14default_configENS1_25transform_config_selectorItLb0EEEZNS1_14transform_implILb0ES3_S5_NS0_18transform_iteratorINS0_17counting_iteratorImlEEZNS1_24adjacent_difference_implIS3_Lb1ELb0EPtSB_N6thrust23THRUST_200600_302600_NS4plusItEEEE10hipError_tPvRmT2_T3_mT4_P12ihipStream_tbEUlmE_tEESB_NS0_8identityIvEEEESG_SJ_SK_mSL_SN_bEUlT_E_NS1_11comp_targetILNS1_3genE9ELNS1_11target_archE1100ELNS1_3gpuE3ELNS1_3repE0EEENS1_30default_config_static_selectorELNS0_4arch9wavefront6targetE1EEEvT1_,comdat
.Lfunc_end354:
	.size	_ZN7rocprim17ROCPRIM_400000_NS6detail17trampoline_kernelINS0_14default_configENS1_25transform_config_selectorItLb0EEEZNS1_14transform_implILb0ES3_S5_NS0_18transform_iteratorINS0_17counting_iteratorImlEEZNS1_24adjacent_difference_implIS3_Lb1ELb0EPtSB_N6thrust23THRUST_200600_302600_NS4plusItEEEE10hipError_tPvRmT2_T3_mT4_P12ihipStream_tbEUlmE_tEESB_NS0_8identityIvEEEESG_SJ_SK_mSL_SN_bEUlT_E_NS1_11comp_targetILNS1_3genE9ELNS1_11target_archE1100ELNS1_3gpuE3ELNS1_3repE0EEENS1_30default_config_static_selectorELNS0_4arch9wavefront6targetE1EEEvT1_, .Lfunc_end354-_ZN7rocprim17ROCPRIM_400000_NS6detail17trampoline_kernelINS0_14default_configENS1_25transform_config_selectorItLb0EEEZNS1_14transform_implILb0ES3_S5_NS0_18transform_iteratorINS0_17counting_iteratorImlEEZNS1_24adjacent_difference_implIS3_Lb1ELb0EPtSB_N6thrust23THRUST_200600_302600_NS4plusItEEEE10hipError_tPvRmT2_T3_mT4_P12ihipStream_tbEUlmE_tEESB_NS0_8identityIvEEEESG_SJ_SK_mSL_SN_bEUlT_E_NS1_11comp_targetILNS1_3genE9ELNS1_11target_archE1100ELNS1_3gpuE3ELNS1_3repE0EEENS1_30default_config_static_selectorELNS0_4arch9wavefront6targetE1EEEvT1_
                                        ; -- End function
	.section	.AMDGPU.csdata,"",@progbits
; Kernel info:
; codeLenInByte = 0
; NumSgprs: 6
; NumVgprs: 0
; NumAgprs: 0
; TotalNumVgprs: 0
; ScratchSize: 0
; MemoryBound: 0
; FloatMode: 240
; IeeeMode: 1
; LDSByteSize: 0 bytes/workgroup (compile time only)
; SGPRBlocks: 0
; VGPRBlocks: 0
; NumSGPRsForWavesPerEU: 6
; NumVGPRsForWavesPerEU: 1
; AccumOffset: 4
; Occupancy: 8
; WaveLimiterHint : 0
; COMPUTE_PGM_RSRC2:SCRATCH_EN: 0
; COMPUTE_PGM_RSRC2:USER_SGPR: 2
; COMPUTE_PGM_RSRC2:TRAP_HANDLER: 0
; COMPUTE_PGM_RSRC2:TGID_X_EN: 1
; COMPUTE_PGM_RSRC2:TGID_Y_EN: 0
; COMPUTE_PGM_RSRC2:TGID_Z_EN: 0
; COMPUTE_PGM_RSRC2:TIDIG_COMP_CNT: 0
; COMPUTE_PGM_RSRC3_GFX90A:ACCUM_OFFSET: 0
; COMPUTE_PGM_RSRC3_GFX90A:TG_SPLIT: 0
	.section	.text._ZN7rocprim17ROCPRIM_400000_NS6detail17trampoline_kernelINS0_14default_configENS1_25transform_config_selectorItLb0EEEZNS1_14transform_implILb0ES3_S5_NS0_18transform_iteratorINS0_17counting_iteratorImlEEZNS1_24adjacent_difference_implIS3_Lb1ELb0EPtSB_N6thrust23THRUST_200600_302600_NS4plusItEEEE10hipError_tPvRmT2_T3_mT4_P12ihipStream_tbEUlmE_tEESB_NS0_8identityIvEEEESG_SJ_SK_mSL_SN_bEUlT_E_NS1_11comp_targetILNS1_3genE8ELNS1_11target_archE1030ELNS1_3gpuE2ELNS1_3repE0EEENS1_30default_config_static_selectorELNS0_4arch9wavefront6targetE1EEEvT1_,"axG",@progbits,_ZN7rocprim17ROCPRIM_400000_NS6detail17trampoline_kernelINS0_14default_configENS1_25transform_config_selectorItLb0EEEZNS1_14transform_implILb0ES3_S5_NS0_18transform_iteratorINS0_17counting_iteratorImlEEZNS1_24adjacent_difference_implIS3_Lb1ELb0EPtSB_N6thrust23THRUST_200600_302600_NS4plusItEEEE10hipError_tPvRmT2_T3_mT4_P12ihipStream_tbEUlmE_tEESB_NS0_8identityIvEEEESG_SJ_SK_mSL_SN_bEUlT_E_NS1_11comp_targetILNS1_3genE8ELNS1_11target_archE1030ELNS1_3gpuE2ELNS1_3repE0EEENS1_30default_config_static_selectorELNS0_4arch9wavefront6targetE1EEEvT1_,comdat
	.protected	_ZN7rocprim17ROCPRIM_400000_NS6detail17trampoline_kernelINS0_14default_configENS1_25transform_config_selectorItLb0EEEZNS1_14transform_implILb0ES3_S5_NS0_18transform_iteratorINS0_17counting_iteratorImlEEZNS1_24adjacent_difference_implIS3_Lb1ELb0EPtSB_N6thrust23THRUST_200600_302600_NS4plusItEEEE10hipError_tPvRmT2_T3_mT4_P12ihipStream_tbEUlmE_tEESB_NS0_8identityIvEEEESG_SJ_SK_mSL_SN_bEUlT_E_NS1_11comp_targetILNS1_3genE8ELNS1_11target_archE1030ELNS1_3gpuE2ELNS1_3repE0EEENS1_30default_config_static_selectorELNS0_4arch9wavefront6targetE1EEEvT1_ ; -- Begin function _ZN7rocprim17ROCPRIM_400000_NS6detail17trampoline_kernelINS0_14default_configENS1_25transform_config_selectorItLb0EEEZNS1_14transform_implILb0ES3_S5_NS0_18transform_iteratorINS0_17counting_iteratorImlEEZNS1_24adjacent_difference_implIS3_Lb1ELb0EPtSB_N6thrust23THRUST_200600_302600_NS4plusItEEEE10hipError_tPvRmT2_T3_mT4_P12ihipStream_tbEUlmE_tEESB_NS0_8identityIvEEEESG_SJ_SK_mSL_SN_bEUlT_E_NS1_11comp_targetILNS1_3genE8ELNS1_11target_archE1030ELNS1_3gpuE2ELNS1_3repE0EEENS1_30default_config_static_selectorELNS0_4arch9wavefront6targetE1EEEvT1_
	.globl	_ZN7rocprim17ROCPRIM_400000_NS6detail17trampoline_kernelINS0_14default_configENS1_25transform_config_selectorItLb0EEEZNS1_14transform_implILb0ES3_S5_NS0_18transform_iteratorINS0_17counting_iteratorImlEEZNS1_24adjacent_difference_implIS3_Lb1ELb0EPtSB_N6thrust23THRUST_200600_302600_NS4plusItEEEE10hipError_tPvRmT2_T3_mT4_P12ihipStream_tbEUlmE_tEESB_NS0_8identityIvEEEESG_SJ_SK_mSL_SN_bEUlT_E_NS1_11comp_targetILNS1_3genE8ELNS1_11target_archE1030ELNS1_3gpuE2ELNS1_3repE0EEENS1_30default_config_static_selectorELNS0_4arch9wavefront6targetE1EEEvT1_
	.p2align	8
	.type	_ZN7rocprim17ROCPRIM_400000_NS6detail17trampoline_kernelINS0_14default_configENS1_25transform_config_selectorItLb0EEEZNS1_14transform_implILb0ES3_S5_NS0_18transform_iteratorINS0_17counting_iteratorImlEEZNS1_24adjacent_difference_implIS3_Lb1ELb0EPtSB_N6thrust23THRUST_200600_302600_NS4plusItEEEE10hipError_tPvRmT2_T3_mT4_P12ihipStream_tbEUlmE_tEESB_NS0_8identityIvEEEESG_SJ_SK_mSL_SN_bEUlT_E_NS1_11comp_targetILNS1_3genE8ELNS1_11target_archE1030ELNS1_3gpuE2ELNS1_3repE0EEENS1_30default_config_static_selectorELNS0_4arch9wavefront6targetE1EEEvT1_,@function
_ZN7rocprim17ROCPRIM_400000_NS6detail17trampoline_kernelINS0_14default_configENS1_25transform_config_selectorItLb0EEEZNS1_14transform_implILb0ES3_S5_NS0_18transform_iteratorINS0_17counting_iteratorImlEEZNS1_24adjacent_difference_implIS3_Lb1ELb0EPtSB_N6thrust23THRUST_200600_302600_NS4plusItEEEE10hipError_tPvRmT2_T3_mT4_P12ihipStream_tbEUlmE_tEESB_NS0_8identityIvEEEESG_SJ_SK_mSL_SN_bEUlT_E_NS1_11comp_targetILNS1_3genE8ELNS1_11target_archE1030ELNS1_3gpuE2ELNS1_3repE0EEENS1_30default_config_static_selectorELNS0_4arch9wavefront6targetE1EEEvT1_: ; @_ZN7rocprim17ROCPRIM_400000_NS6detail17trampoline_kernelINS0_14default_configENS1_25transform_config_selectorItLb0EEEZNS1_14transform_implILb0ES3_S5_NS0_18transform_iteratorINS0_17counting_iteratorImlEEZNS1_24adjacent_difference_implIS3_Lb1ELb0EPtSB_N6thrust23THRUST_200600_302600_NS4plusItEEEE10hipError_tPvRmT2_T3_mT4_P12ihipStream_tbEUlmE_tEESB_NS0_8identityIvEEEESG_SJ_SK_mSL_SN_bEUlT_E_NS1_11comp_targetILNS1_3genE8ELNS1_11target_archE1030ELNS1_3gpuE2ELNS1_3repE0EEENS1_30default_config_static_selectorELNS0_4arch9wavefront6targetE1EEEvT1_
; %bb.0:
	.section	.rodata,"a",@progbits
	.p2align	6, 0x0
	.amdhsa_kernel _ZN7rocprim17ROCPRIM_400000_NS6detail17trampoline_kernelINS0_14default_configENS1_25transform_config_selectorItLb0EEEZNS1_14transform_implILb0ES3_S5_NS0_18transform_iteratorINS0_17counting_iteratorImlEEZNS1_24adjacent_difference_implIS3_Lb1ELb0EPtSB_N6thrust23THRUST_200600_302600_NS4plusItEEEE10hipError_tPvRmT2_T3_mT4_P12ihipStream_tbEUlmE_tEESB_NS0_8identityIvEEEESG_SJ_SK_mSL_SN_bEUlT_E_NS1_11comp_targetILNS1_3genE8ELNS1_11target_archE1030ELNS1_3gpuE2ELNS1_3repE0EEENS1_30default_config_static_selectorELNS0_4arch9wavefront6targetE1EEEvT1_
		.amdhsa_group_segment_fixed_size 0
		.amdhsa_private_segment_fixed_size 0
		.amdhsa_kernarg_size 56
		.amdhsa_user_sgpr_count 2
		.amdhsa_user_sgpr_dispatch_ptr 0
		.amdhsa_user_sgpr_queue_ptr 0
		.amdhsa_user_sgpr_kernarg_segment_ptr 1
		.amdhsa_user_sgpr_dispatch_id 0
		.amdhsa_user_sgpr_kernarg_preload_length 0
		.amdhsa_user_sgpr_kernarg_preload_offset 0
		.amdhsa_user_sgpr_private_segment_size 0
		.amdhsa_uses_dynamic_stack 0
		.amdhsa_enable_private_segment 0
		.amdhsa_system_sgpr_workgroup_id_x 1
		.amdhsa_system_sgpr_workgroup_id_y 0
		.amdhsa_system_sgpr_workgroup_id_z 0
		.amdhsa_system_sgpr_workgroup_info 0
		.amdhsa_system_vgpr_workitem_id 0
		.amdhsa_next_free_vgpr 1
		.amdhsa_next_free_sgpr 0
		.amdhsa_accum_offset 4
		.amdhsa_reserve_vcc 0
		.amdhsa_float_round_mode_32 0
		.amdhsa_float_round_mode_16_64 0
		.amdhsa_float_denorm_mode_32 3
		.amdhsa_float_denorm_mode_16_64 3
		.amdhsa_dx10_clamp 1
		.amdhsa_ieee_mode 1
		.amdhsa_fp16_overflow 0
		.amdhsa_tg_split 0
		.amdhsa_exception_fp_ieee_invalid_op 0
		.amdhsa_exception_fp_denorm_src 0
		.amdhsa_exception_fp_ieee_div_zero 0
		.amdhsa_exception_fp_ieee_overflow 0
		.amdhsa_exception_fp_ieee_underflow 0
		.amdhsa_exception_fp_ieee_inexact 0
		.amdhsa_exception_int_div_zero 0
	.end_amdhsa_kernel
	.section	.text._ZN7rocprim17ROCPRIM_400000_NS6detail17trampoline_kernelINS0_14default_configENS1_25transform_config_selectorItLb0EEEZNS1_14transform_implILb0ES3_S5_NS0_18transform_iteratorINS0_17counting_iteratorImlEEZNS1_24adjacent_difference_implIS3_Lb1ELb0EPtSB_N6thrust23THRUST_200600_302600_NS4plusItEEEE10hipError_tPvRmT2_T3_mT4_P12ihipStream_tbEUlmE_tEESB_NS0_8identityIvEEEESG_SJ_SK_mSL_SN_bEUlT_E_NS1_11comp_targetILNS1_3genE8ELNS1_11target_archE1030ELNS1_3gpuE2ELNS1_3repE0EEENS1_30default_config_static_selectorELNS0_4arch9wavefront6targetE1EEEvT1_,"axG",@progbits,_ZN7rocprim17ROCPRIM_400000_NS6detail17trampoline_kernelINS0_14default_configENS1_25transform_config_selectorItLb0EEEZNS1_14transform_implILb0ES3_S5_NS0_18transform_iteratorINS0_17counting_iteratorImlEEZNS1_24adjacent_difference_implIS3_Lb1ELb0EPtSB_N6thrust23THRUST_200600_302600_NS4plusItEEEE10hipError_tPvRmT2_T3_mT4_P12ihipStream_tbEUlmE_tEESB_NS0_8identityIvEEEESG_SJ_SK_mSL_SN_bEUlT_E_NS1_11comp_targetILNS1_3genE8ELNS1_11target_archE1030ELNS1_3gpuE2ELNS1_3repE0EEENS1_30default_config_static_selectorELNS0_4arch9wavefront6targetE1EEEvT1_,comdat
.Lfunc_end355:
	.size	_ZN7rocprim17ROCPRIM_400000_NS6detail17trampoline_kernelINS0_14default_configENS1_25transform_config_selectorItLb0EEEZNS1_14transform_implILb0ES3_S5_NS0_18transform_iteratorINS0_17counting_iteratorImlEEZNS1_24adjacent_difference_implIS3_Lb1ELb0EPtSB_N6thrust23THRUST_200600_302600_NS4plusItEEEE10hipError_tPvRmT2_T3_mT4_P12ihipStream_tbEUlmE_tEESB_NS0_8identityIvEEEESG_SJ_SK_mSL_SN_bEUlT_E_NS1_11comp_targetILNS1_3genE8ELNS1_11target_archE1030ELNS1_3gpuE2ELNS1_3repE0EEENS1_30default_config_static_selectorELNS0_4arch9wavefront6targetE1EEEvT1_, .Lfunc_end355-_ZN7rocprim17ROCPRIM_400000_NS6detail17trampoline_kernelINS0_14default_configENS1_25transform_config_selectorItLb0EEEZNS1_14transform_implILb0ES3_S5_NS0_18transform_iteratorINS0_17counting_iteratorImlEEZNS1_24adjacent_difference_implIS3_Lb1ELb0EPtSB_N6thrust23THRUST_200600_302600_NS4plusItEEEE10hipError_tPvRmT2_T3_mT4_P12ihipStream_tbEUlmE_tEESB_NS0_8identityIvEEEESG_SJ_SK_mSL_SN_bEUlT_E_NS1_11comp_targetILNS1_3genE8ELNS1_11target_archE1030ELNS1_3gpuE2ELNS1_3repE0EEENS1_30default_config_static_selectorELNS0_4arch9wavefront6targetE1EEEvT1_
                                        ; -- End function
	.section	.AMDGPU.csdata,"",@progbits
; Kernel info:
; codeLenInByte = 0
; NumSgprs: 6
; NumVgprs: 0
; NumAgprs: 0
; TotalNumVgprs: 0
; ScratchSize: 0
; MemoryBound: 0
; FloatMode: 240
; IeeeMode: 1
; LDSByteSize: 0 bytes/workgroup (compile time only)
; SGPRBlocks: 0
; VGPRBlocks: 0
; NumSGPRsForWavesPerEU: 6
; NumVGPRsForWavesPerEU: 1
; AccumOffset: 4
; Occupancy: 8
; WaveLimiterHint : 0
; COMPUTE_PGM_RSRC2:SCRATCH_EN: 0
; COMPUTE_PGM_RSRC2:USER_SGPR: 2
; COMPUTE_PGM_RSRC2:TRAP_HANDLER: 0
; COMPUTE_PGM_RSRC2:TGID_X_EN: 1
; COMPUTE_PGM_RSRC2:TGID_Y_EN: 0
; COMPUTE_PGM_RSRC2:TGID_Z_EN: 0
; COMPUTE_PGM_RSRC2:TIDIG_COMP_CNT: 0
; COMPUTE_PGM_RSRC3_GFX90A:ACCUM_OFFSET: 0
; COMPUTE_PGM_RSRC3_GFX90A:TG_SPLIT: 0
	.section	.text._ZN7rocprim17ROCPRIM_400000_NS6detail17trampoline_kernelINS0_14default_configENS1_35adjacent_difference_config_selectorILb1EtEEZNS1_24adjacent_difference_implIS3_Lb1ELb0EPtS7_N6thrust23THRUST_200600_302600_NS4plusItEEEE10hipError_tPvRmT2_T3_mT4_P12ihipStream_tbEUlT_E_NS1_11comp_targetILNS1_3genE0ELNS1_11target_archE4294967295ELNS1_3gpuE0ELNS1_3repE0EEENS1_30default_config_static_selectorELNS0_4arch9wavefront6targetE1EEEvT1_,"axG",@progbits,_ZN7rocprim17ROCPRIM_400000_NS6detail17trampoline_kernelINS0_14default_configENS1_35adjacent_difference_config_selectorILb1EtEEZNS1_24adjacent_difference_implIS3_Lb1ELb0EPtS7_N6thrust23THRUST_200600_302600_NS4plusItEEEE10hipError_tPvRmT2_T3_mT4_P12ihipStream_tbEUlT_E_NS1_11comp_targetILNS1_3genE0ELNS1_11target_archE4294967295ELNS1_3gpuE0ELNS1_3repE0EEENS1_30default_config_static_selectorELNS0_4arch9wavefront6targetE1EEEvT1_,comdat
	.protected	_ZN7rocprim17ROCPRIM_400000_NS6detail17trampoline_kernelINS0_14default_configENS1_35adjacent_difference_config_selectorILb1EtEEZNS1_24adjacent_difference_implIS3_Lb1ELb0EPtS7_N6thrust23THRUST_200600_302600_NS4plusItEEEE10hipError_tPvRmT2_T3_mT4_P12ihipStream_tbEUlT_E_NS1_11comp_targetILNS1_3genE0ELNS1_11target_archE4294967295ELNS1_3gpuE0ELNS1_3repE0EEENS1_30default_config_static_selectorELNS0_4arch9wavefront6targetE1EEEvT1_ ; -- Begin function _ZN7rocprim17ROCPRIM_400000_NS6detail17trampoline_kernelINS0_14default_configENS1_35adjacent_difference_config_selectorILb1EtEEZNS1_24adjacent_difference_implIS3_Lb1ELb0EPtS7_N6thrust23THRUST_200600_302600_NS4plusItEEEE10hipError_tPvRmT2_T3_mT4_P12ihipStream_tbEUlT_E_NS1_11comp_targetILNS1_3genE0ELNS1_11target_archE4294967295ELNS1_3gpuE0ELNS1_3repE0EEENS1_30default_config_static_selectorELNS0_4arch9wavefront6targetE1EEEvT1_
	.globl	_ZN7rocprim17ROCPRIM_400000_NS6detail17trampoline_kernelINS0_14default_configENS1_35adjacent_difference_config_selectorILb1EtEEZNS1_24adjacent_difference_implIS3_Lb1ELb0EPtS7_N6thrust23THRUST_200600_302600_NS4plusItEEEE10hipError_tPvRmT2_T3_mT4_P12ihipStream_tbEUlT_E_NS1_11comp_targetILNS1_3genE0ELNS1_11target_archE4294967295ELNS1_3gpuE0ELNS1_3repE0EEENS1_30default_config_static_selectorELNS0_4arch9wavefront6targetE1EEEvT1_
	.p2align	8
	.type	_ZN7rocprim17ROCPRIM_400000_NS6detail17trampoline_kernelINS0_14default_configENS1_35adjacent_difference_config_selectorILb1EtEEZNS1_24adjacent_difference_implIS3_Lb1ELb0EPtS7_N6thrust23THRUST_200600_302600_NS4plusItEEEE10hipError_tPvRmT2_T3_mT4_P12ihipStream_tbEUlT_E_NS1_11comp_targetILNS1_3genE0ELNS1_11target_archE4294967295ELNS1_3gpuE0ELNS1_3repE0EEENS1_30default_config_static_selectorELNS0_4arch9wavefront6targetE1EEEvT1_,@function
_ZN7rocprim17ROCPRIM_400000_NS6detail17trampoline_kernelINS0_14default_configENS1_35adjacent_difference_config_selectorILb1EtEEZNS1_24adjacent_difference_implIS3_Lb1ELb0EPtS7_N6thrust23THRUST_200600_302600_NS4plusItEEEE10hipError_tPvRmT2_T3_mT4_P12ihipStream_tbEUlT_E_NS1_11comp_targetILNS1_3genE0ELNS1_11target_archE4294967295ELNS1_3gpuE0ELNS1_3repE0EEENS1_30default_config_static_selectorELNS0_4arch9wavefront6targetE1EEEvT1_: ; @_ZN7rocprim17ROCPRIM_400000_NS6detail17trampoline_kernelINS0_14default_configENS1_35adjacent_difference_config_selectorILb1EtEEZNS1_24adjacent_difference_implIS3_Lb1ELb0EPtS7_N6thrust23THRUST_200600_302600_NS4plusItEEEE10hipError_tPvRmT2_T3_mT4_P12ihipStream_tbEUlT_E_NS1_11comp_targetILNS1_3genE0ELNS1_11target_archE4294967295ELNS1_3gpuE0ELNS1_3repE0EEENS1_30default_config_static_selectorELNS0_4arch9wavefront6targetE1EEEvT1_
; %bb.0:
	.section	.rodata,"a",@progbits
	.p2align	6, 0x0
	.amdhsa_kernel _ZN7rocprim17ROCPRIM_400000_NS6detail17trampoline_kernelINS0_14default_configENS1_35adjacent_difference_config_selectorILb1EtEEZNS1_24adjacent_difference_implIS3_Lb1ELb0EPtS7_N6thrust23THRUST_200600_302600_NS4plusItEEEE10hipError_tPvRmT2_T3_mT4_P12ihipStream_tbEUlT_E_NS1_11comp_targetILNS1_3genE0ELNS1_11target_archE4294967295ELNS1_3gpuE0ELNS1_3repE0EEENS1_30default_config_static_selectorELNS0_4arch9wavefront6targetE1EEEvT1_
		.amdhsa_group_segment_fixed_size 0
		.amdhsa_private_segment_fixed_size 0
		.amdhsa_kernarg_size 56
		.amdhsa_user_sgpr_count 2
		.amdhsa_user_sgpr_dispatch_ptr 0
		.amdhsa_user_sgpr_queue_ptr 0
		.amdhsa_user_sgpr_kernarg_segment_ptr 1
		.amdhsa_user_sgpr_dispatch_id 0
		.amdhsa_user_sgpr_kernarg_preload_length 0
		.amdhsa_user_sgpr_kernarg_preload_offset 0
		.amdhsa_user_sgpr_private_segment_size 0
		.amdhsa_uses_dynamic_stack 0
		.amdhsa_enable_private_segment 0
		.amdhsa_system_sgpr_workgroup_id_x 1
		.amdhsa_system_sgpr_workgroup_id_y 0
		.amdhsa_system_sgpr_workgroup_id_z 0
		.amdhsa_system_sgpr_workgroup_info 0
		.amdhsa_system_vgpr_workitem_id 0
		.amdhsa_next_free_vgpr 1
		.amdhsa_next_free_sgpr 0
		.amdhsa_accum_offset 4
		.amdhsa_reserve_vcc 0
		.amdhsa_float_round_mode_32 0
		.amdhsa_float_round_mode_16_64 0
		.amdhsa_float_denorm_mode_32 3
		.amdhsa_float_denorm_mode_16_64 3
		.amdhsa_dx10_clamp 1
		.amdhsa_ieee_mode 1
		.amdhsa_fp16_overflow 0
		.amdhsa_tg_split 0
		.amdhsa_exception_fp_ieee_invalid_op 0
		.amdhsa_exception_fp_denorm_src 0
		.amdhsa_exception_fp_ieee_div_zero 0
		.amdhsa_exception_fp_ieee_overflow 0
		.amdhsa_exception_fp_ieee_underflow 0
		.amdhsa_exception_fp_ieee_inexact 0
		.amdhsa_exception_int_div_zero 0
	.end_amdhsa_kernel
	.section	.text._ZN7rocprim17ROCPRIM_400000_NS6detail17trampoline_kernelINS0_14default_configENS1_35adjacent_difference_config_selectorILb1EtEEZNS1_24adjacent_difference_implIS3_Lb1ELb0EPtS7_N6thrust23THRUST_200600_302600_NS4plusItEEEE10hipError_tPvRmT2_T3_mT4_P12ihipStream_tbEUlT_E_NS1_11comp_targetILNS1_3genE0ELNS1_11target_archE4294967295ELNS1_3gpuE0ELNS1_3repE0EEENS1_30default_config_static_selectorELNS0_4arch9wavefront6targetE1EEEvT1_,"axG",@progbits,_ZN7rocprim17ROCPRIM_400000_NS6detail17trampoline_kernelINS0_14default_configENS1_35adjacent_difference_config_selectorILb1EtEEZNS1_24adjacent_difference_implIS3_Lb1ELb0EPtS7_N6thrust23THRUST_200600_302600_NS4plusItEEEE10hipError_tPvRmT2_T3_mT4_P12ihipStream_tbEUlT_E_NS1_11comp_targetILNS1_3genE0ELNS1_11target_archE4294967295ELNS1_3gpuE0ELNS1_3repE0EEENS1_30default_config_static_selectorELNS0_4arch9wavefront6targetE1EEEvT1_,comdat
.Lfunc_end356:
	.size	_ZN7rocprim17ROCPRIM_400000_NS6detail17trampoline_kernelINS0_14default_configENS1_35adjacent_difference_config_selectorILb1EtEEZNS1_24adjacent_difference_implIS3_Lb1ELb0EPtS7_N6thrust23THRUST_200600_302600_NS4plusItEEEE10hipError_tPvRmT2_T3_mT4_P12ihipStream_tbEUlT_E_NS1_11comp_targetILNS1_3genE0ELNS1_11target_archE4294967295ELNS1_3gpuE0ELNS1_3repE0EEENS1_30default_config_static_selectorELNS0_4arch9wavefront6targetE1EEEvT1_, .Lfunc_end356-_ZN7rocprim17ROCPRIM_400000_NS6detail17trampoline_kernelINS0_14default_configENS1_35adjacent_difference_config_selectorILb1EtEEZNS1_24adjacent_difference_implIS3_Lb1ELb0EPtS7_N6thrust23THRUST_200600_302600_NS4plusItEEEE10hipError_tPvRmT2_T3_mT4_P12ihipStream_tbEUlT_E_NS1_11comp_targetILNS1_3genE0ELNS1_11target_archE4294967295ELNS1_3gpuE0ELNS1_3repE0EEENS1_30default_config_static_selectorELNS0_4arch9wavefront6targetE1EEEvT1_
                                        ; -- End function
	.section	.AMDGPU.csdata,"",@progbits
; Kernel info:
; codeLenInByte = 0
; NumSgprs: 6
; NumVgprs: 0
; NumAgprs: 0
; TotalNumVgprs: 0
; ScratchSize: 0
; MemoryBound: 0
; FloatMode: 240
; IeeeMode: 1
; LDSByteSize: 0 bytes/workgroup (compile time only)
; SGPRBlocks: 0
; VGPRBlocks: 0
; NumSGPRsForWavesPerEU: 6
; NumVGPRsForWavesPerEU: 1
; AccumOffset: 4
; Occupancy: 8
; WaveLimiterHint : 0
; COMPUTE_PGM_RSRC2:SCRATCH_EN: 0
; COMPUTE_PGM_RSRC2:USER_SGPR: 2
; COMPUTE_PGM_RSRC2:TRAP_HANDLER: 0
; COMPUTE_PGM_RSRC2:TGID_X_EN: 1
; COMPUTE_PGM_RSRC2:TGID_Y_EN: 0
; COMPUTE_PGM_RSRC2:TGID_Z_EN: 0
; COMPUTE_PGM_RSRC2:TIDIG_COMP_CNT: 0
; COMPUTE_PGM_RSRC3_GFX90A:ACCUM_OFFSET: 0
; COMPUTE_PGM_RSRC3_GFX90A:TG_SPLIT: 0
	.section	.text._ZN7rocprim17ROCPRIM_400000_NS6detail17trampoline_kernelINS0_14default_configENS1_35adjacent_difference_config_selectorILb1EtEEZNS1_24adjacent_difference_implIS3_Lb1ELb0EPtS7_N6thrust23THRUST_200600_302600_NS4plusItEEEE10hipError_tPvRmT2_T3_mT4_P12ihipStream_tbEUlT_E_NS1_11comp_targetILNS1_3genE10ELNS1_11target_archE1201ELNS1_3gpuE5ELNS1_3repE0EEENS1_30default_config_static_selectorELNS0_4arch9wavefront6targetE1EEEvT1_,"axG",@progbits,_ZN7rocprim17ROCPRIM_400000_NS6detail17trampoline_kernelINS0_14default_configENS1_35adjacent_difference_config_selectorILb1EtEEZNS1_24adjacent_difference_implIS3_Lb1ELb0EPtS7_N6thrust23THRUST_200600_302600_NS4plusItEEEE10hipError_tPvRmT2_T3_mT4_P12ihipStream_tbEUlT_E_NS1_11comp_targetILNS1_3genE10ELNS1_11target_archE1201ELNS1_3gpuE5ELNS1_3repE0EEENS1_30default_config_static_selectorELNS0_4arch9wavefront6targetE1EEEvT1_,comdat
	.protected	_ZN7rocprim17ROCPRIM_400000_NS6detail17trampoline_kernelINS0_14default_configENS1_35adjacent_difference_config_selectorILb1EtEEZNS1_24adjacent_difference_implIS3_Lb1ELb0EPtS7_N6thrust23THRUST_200600_302600_NS4plusItEEEE10hipError_tPvRmT2_T3_mT4_P12ihipStream_tbEUlT_E_NS1_11comp_targetILNS1_3genE10ELNS1_11target_archE1201ELNS1_3gpuE5ELNS1_3repE0EEENS1_30default_config_static_selectorELNS0_4arch9wavefront6targetE1EEEvT1_ ; -- Begin function _ZN7rocprim17ROCPRIM_400000_NS6detail17trampoline_kernelINS0_14default_configENS1_35adjacent_difference_config_selectorILb1EtEEZNS1_24adjacent_difference_implIS3_Lb1ELb0EPtS7_N6thrust23THRUST_200600_302600_NS4plusItEEEE10hipError_tPvRmT2_T3_mT4_P12ihipStream_tbEUlT_E_NS1_11comp_targetILNS1_3genE10ELNS1_11target_archE1201ELNS1_3gpuE5ELNS1_3repE0EEENS1_30default_config_static_selectorELNS0_4arch9wavefront6targetE1EEEvT1_
	.globl	_ZN7rocprim17ROCPRIM_400000_NS6detail17trampoline_kernelINS0_14default_configENS1_35adjacent_difference_config_selectorILb1EtEEZNS1_24adjacent_difference_implIS3_Lb1ELb0EPtS7_N6thrust23THRUST_200600_302600_NS4plusItEEEE10hipError_tPvRmT2_T3_mT4_P12ihipStream_tbEUlT_E_NS1_11comp_targetILNS1_3genE10ELNS1_11target_archE1201ELNS1_3gpuE5ELNS1_3repE0EEENS1_30default_config_static_selectorELNS0_4arch9wavefront6targetE1EEEvT1_
	.p2align	8
	.type	_ZN7rocprim17ROCPRIM_400000_NS6detail17trampoline_kernelINS0_14default_configENS1_35adjacent_difference_config_selectorILb1EtEEZNS1_24adjacent_difference_implIS3_Lb1ELb0EPtS7_N6thrust23THRUST_200600_302600_NS4plusItEEEE10hipError_tPvRmT2_T3_mT4_P12ihipStream_tbEUlT_E_NS1_11comp_targetILNS1_3genE10ELNS1_11target_archE1201ELNS1_3gpuE5ELNS1_3repE0EEENS1_30default_config_static_selectorELNS0_4arch9wavefront6targetE1EEEvT1_,@function
_ZN7rocprim17ROCPRIM_400000_NS6detail17trampoline_kernelINS0_14default_configENS1_35adjacent_difference_config_selectorILb1EtEEZNS1_24adjacent_difference_implIS3_Lb1ELb0EPtS7_N6thrust23THRUST_200600_302600_NS4plusItEEEE10hipError_tPvRmT2_T3_mT4_P12ihipStream_tbEUlT_E_NS1_11comp_targetILNS1_3genE10ELNS1_11target_archE1201ELNS1_3gpuE5ELNS1_3repE0EEENS1_30default_config_static_selectorELNS0_4arch9wavefront6targetE1EEEvT1_: ; @_ZN7rocprim17ROCPRIM_400000_NS6detail17trampoline_kernelINS0_14default_configENS1_35adjacent_difference_config_selectorILb1EtEEZNS1_24adjacent_difference_implIS3_Lb1ELb0EPtS7_N6thrust23THRUST_200600_302600_NS4plusItEEEE10hipError_tPvRmT2_T3_mT4_P12ihipStream_tbEUlT_E_NS1_11comp_targetILNS1_3genE10ELNS1_11target_archE1201ELNS1_3gpuE5ELNS1_3repE0EEENS1_30default_config_static_selectorELNS0_4arch9wavefront6targetE1EEEvT1_
; %bb.0:
	.section	.rodata,"a",@progbits
	.p2align	6, 0x0
	.amdhsa_kernel _ZN7rocprim17ROCPRIM_400000_NS6detail17trampoline_kernelINS0_14default_configENS1_35adjacent_difference_config_selectorILb1EtEEZNS1_24adjacent_difference_implIS3_Lb1ELb0EPtS7_N6thrust23THRUST_200600_302600_NS4plusItEEEE10hipError_tPvRmT2_T3_mT4_P12ihipStream_tbEUlT_E_NS1_11comp_targetILNS1_3genE10ELNS1_11target_archE1201ELNS1_3gpuE5ELNS1_3repE0EEENS1_30default_config_static_selectorELNS0_4arch9wavefront6targetE1EEEvT1_
		.amdhsa_group_segment_fixed_size 0
		.amdhsa_private_segment_fixed_size 0
		.amdhsa_kernarg_size 56
		.amdhsa_user_sgpr_count 2
		.amdhsa_user_sgpr_dispatch_ptr 0
		.amdhsa_user_sgpr_queue_ptr 0
		.amdhsa_user_sgpr_kernarg_segment_ptr 1
		.amdhsa_user_sgpr_dispatch_id 0
		.amdhsa_user_sgpr_kernarg_preload_length 0
		.amdhsa_user_sgpr_kernarg_preload_offset 0
		.amdhsa_user_sgpr_private_segment_size 0
		.amdhsa_uses_dynamic_stack 0
		.amdhsa_enable_private_segment 0
		.amdhsa_system_sgpr_workgroup_id_x 1
		.amdhsa_system_sgpr_workgroup_id_y 0
		.amdhsa_system_sgpr_workgroup_id_z 0
		.amdhsa_system_sgpr_workgroup_info 0
		.amdhsa_system_vgpr_workitem_id 0
		.amdhsa_next_free_vgpr 1
		.amdhsa_next_free_sgpr 0
		.amdhsa_accum_offset 4
		.amdhsa_reserve_vcc 0
		.amdhsa_float_round_mode_32 0
		.amdhsa_float_round_mode_16_64 0
		.amdhsa_float_denorm_mode_32 3
		.amdhsa_float_denorm_mode_16_64 3
		.amdhsa_dx10_clamp 1
		.amdhsa_ieee_mode 1
		.amdhsa_fp16_overflow 0
		.amdhsa_tg_split 0
		.amdhsa_exception_fp_ieee_invalid_op 0
		.amdhsa_exception_fp_denorm_src 0
		.amdhsa_exception_fp_ieee_div_zero 0
		.amdhsa_exception_fp_ieee_overflow 0
		.amdhsa_exception_fp_ieee_underflow 0
		.amdhsa_exception_fp_ieee_inexact 0
		.amdhsa_exception_int_div_zero 0
	.end_amdhsa_kernel
	.section	.text._ZN7rocprim17ROCPRIM_400000_NS6detail17trampoline_kernelINS0_14default_configENS1_35adjacent_difference_config_selectorILb1EtEEZNS1_24adjacent_difference_implIS3_Lb1ELb0EPtS7_N6thrust23THRUST_200600_302600_NS4plusItEEEE10hipError_tPvRmT2_T3_mT4_P12ihipStream_tbEUlT_E_NS1_11comp_targetILNS1_3genE10ELNS1_11target_archE1201ELNS1_3gpuE5ELNS1_3repE0EEENS1_30default_config_static_selectorELNS0_4arch9wavefront6targetE1EEEvT1_,"axG",@progbits,_ZN7rocprim17ROCPRIM_400000_NS6detail17trampoline_kernelINS0_14default_configENS1_35adjacent_difference_config_selectorILb1EtEEZNS1_24adjacent_difference_implIS3_Lb1ELb0EPtS7_N6thrust23THRUST_200600_302600_NS4plusItEEEE10hipError_tPvRmT2_T3_mT4_P12ihipStream_tbEUlT_E_NS1_11comp_targetILNS1_3genE10ELNS1_11target_archE1201ELNS1_3gpuE5ELNS1_3repE0EEENS1_30default_config_static_selectorELNS0_4arch9wavefront6targetE1EEEvT1_,comdat
.Lfunc_end357:
	.size	_ZN7rocprim17ROCPRIM_400000_NS6detail17trampoline_kernelINS0_14default_configENS1_35adjacent_difference_config_selectorILb1EtEEZNS1_24adjacent_difference_implIS3_Lb1ELb0EPtS7_N6thrust23THRUST_200600_302600_NS4plusItEEEE10hipError_tPvRmT2_T3_mT4_P12ihipStream_tbEUlT_E_NS1_11comp_targetILNS1_3genE10ELNS1_11target_archE1201ELNS1_3gpuE5ELNS1_3repE0EEENS1_30default_config_static_selectorELNS0_4arch9wavefront6targetE1EEEvT1_, .Lfunc_end357-_ZN7rocprim17ROCPRIM_400000_NS6detail17trampoline_kernelINS0_14default_configENS1_35adjacent_difference_config_selectorILb1EtEEZNS1_24adjacent_difference_implIS3_Lb1ELb0EPtS7_N6thrust23THRUST_200600_302600_NS4plusItEEEE10hipError_tPvRmT2_T3_mT4_P12ihipStream_tbEUlT_E_NS1_11comp_targetILNS1_3genE10ELNS1_11target_archE1201ELNS1_3gpuE5ELNS1_3repE0EEENS1_30default_config_static_selectorELNS0_4arch9wavefront6targetE1EEEvT1_
                                        ; -- End function
	.section	.AMDGPU.csdata,"",@progbits
; Kernel info:
; codeLenInByte = 0
; NumSgprs: 6
; NumVgprs: 0
; NumAgprs: 0
; TotalNumVgprs: 0
; ScratchSize: 0
; MemoryBound: 0
; FloatMode: 240
; IeeeMode: 1
; LDSByteSize: 0 bytes/workgroup (compile time only)
; SGPRBlocks: 0
; VGPRBlocks: 0
; NumSGPRsForWavesPerEU: 6
; NumVGPRsForWavesPerEU: 1
; AccumOffset: 4
; Occupancy: 8
; WaveLimiterHint : 0
; COMPUTE_PGM_RSRC2:SCRATCH_EN: 0
; COMPUTE_PGM_RSRC2:USER_SGPR: 2
; COMPUTE_PGM_RSRC2:TRAP_HANDLER: 0
; COMPUTE_PGM_RSRC2:TGID_X_EN: 1
; COMPUTE_PGM_RSRC2:TGID_Y_EN: 0
; COMPUTE_PGM_RSRC2:TGID_Z_EN: 0
; COMPUTE_PGM_RSRC2:TIDIG_COMP_CNT: 0
; COMPUTE_PGM_RSRC3_GFX90A:ACCUM_OFFSET: 0
; COMPUTE_PGM_RSRC3_GFX90A:TG_SPLIT: 0
	.section	.text._ZN7rocprim17ROCPRIM_400000_NS6detail17trampoline_kernelINS0_14default_configENS1_35adjacent_difference_config_selectorILb1EtEEZNS1_24adjacent_difference_implIS3_Lb1ELb0EPtS7_N6thrust23THRUST_200600_302600_NS4plusItEEEE10hipError_tPvRmT2_T3_mT4_P12ihipStream_tbEUlT_E_NS1_11comp_targetILNS1_3genE5ELNS1_11target_archE942ELNS1_3gpuE9ELNS1_3repE0EEENS1_30default_config_static_selectorELNS0_4arch9wavefront6targetE1EEEvT1_,"axG",@progbits,_ZN7rocprim17ROCPRIM_400000_NS6detail17trampoline_kernelINS0_14default_configENS1_35adjacent_difference_config_selectorILb1EtEEZNS1_24adjacent_difference_implIS3_Lb1ELb0EPtS7_N6thrust23THRUST_200600_302600_NS4plusItEEEE10hipError_tPvRmT2_T3_mT4_P12ihipStream_tbEUlT_E_NS1_11comp_targetILNS1_3genE5ELNS1_11target_archE942ELNS1_3gpuE9ELNS1_3repE0EEENS1_30default_config_static_selectorELNS0_4arch9wavefront6targetE1EEEvT1_,comdat
	.protected	_ZN7rocprim17ROCPRIM_400000_NS6detail17trampoline_kernelINS0_14default_configENS1_35adjacent_difference_config_selectorILb1EtEEZNS1_24adjacent_difference_implIS3_Lb1ELb0EPtS7_N6thrust23THRUST_200600_302600_NS4plusItEEEE10hipError_tPvRmT2_T3_mT4_P12ihipStream_tbEUlT_E_NS1_11comp_targetILNS1_3genE5ELNS1_11target_archE942ELNS1_3gpuE9ELNS1_3repE0EEENS1_30default_config_static_selectorELNS0_4arch9wavefront6targetE1EEEvT1_ ; -- Begin function _ZN7rocprim17ROCPRIM_400000_NS6detail17trampoline_kernelINS0_14default_configENS1_35adjacent_difference_config_selectorILb1EtEEZNS1_24adjacent_difference_implIS3_Lb1ELb0EPtS7_N6thrust23THRUST_200600_302600_NS4plusItEEEE10hipError_tPvRmT2_T3_mT4_P12ihipStream_tbEUlT_E_NS1_11comp_targetILNS1_3genE5ELNS1_11target_archE942ELNS1_3gpuE9ELNS1_3repE0EEENS1_30default_config_static_selectorELNS0_4arch9wavefront6targetE1EEEvT1_
	.globl	_ZN7rocprim17ROCPRIM_400000_NS6detail17trampoline_kernelINS0_14default_configENS1_35adjacent_difference_config_selectorILb1EtEEZNS1_24adjacent_difference_implIS3_Lb1ELb0EPtS7_N6thrust23THRUST_200600_302600_NS4plusItEEEE10hipError_tPvRmT2_T3_mT4_P12ihipStream_tbEUlT_E_NS1_11comp_targetILNS1_3genE5ELNS1_11target_archE942ELNS1_3gpuE9ELNS1_3repE0EEENS1_30default_config_static_selectorELNS0_4arch9wavefront6targetE1EEEvT1_
	.p2align	8
	.type	_ZN7rocprim17ROCPRIM_400000_NS6detail17trampoline_kernelINS0_14default_configENS1_35adjacent_difference_config_selectorILb1EtEEZNS1_24adjacent_difference_implIS3_Lb1ELb0EPtS7_N6thrust23THRUST_200600_302600_NS4plusItEEEE10hipError_tPvRmT2_T3_mT4_P12ihipStream_tbEUlT_E_NS1_11comp_targetILNS1_3genE5ELNS1_11target_archE942ELNS1_3gpuE9ELNS1_3repE0EEENS1_30default_config_static_selectorELNS0_4arch9wavefront6targetE1EEEvT1_,@function
_ZN7rocprim17ROCPRIM_400000_NS6detail17trampoline_kernelINS0_14default_configENS1_35adjacent_difference_config_selectorILb1EtEEZNS1_24adjacent_difference_implIS3_Lb1ELb0EPtS7_N6thrust23THRUST_200600_302600_NS4plusItEEEE10hipError_tPvRmT2_T3_mT4_P12ihipStream_tbEUlT_E_NS1_11comp_targetILNS1_3genE5ELNS1_11target_archE942ELNS1_3gpuE9ELNS1_3repE0EEENS1_30default_config_static_selectorELNS0_4arch9wavefront6targetE1EEEvT1_: ; @_ZN7rocprim17ROCPRIM_400000_NS6detail17trampoline_kernelINS0_14default_configENS1_35adjacent_difference_config_selectorILb1EtEEZNS1_24adjacent_difference_implIS3_Lb1ELb0EPtS7_N6thrust23THRUST_200600_302600_NS4plusItEEEE10hipError_tPvRmT2_T3_mT4_P12ihipStream_tbEUlT_E_NS1_11comp_targetILNS1_3genE5ELNS1_11target_archE942ELNS1_3gpuE9ELNS1_3repE0EEENS1_30default_config_static_selectorELNS0_4arch9wavefront6targetE1EEEvT1_
; %bb.0:
	s_load_dwordx8 s[4:11], s[0:1], 0x0
	s_load_dwordx4 s[12:15], s[0:1], 0x28
	s_mov_b32 s0, 0x90841c60
	v_bfrev_b32_e32 v1, 1
	s_movk_i32 s16, 0x7c0
	s_waitcnt lgkmcnt(0)
	s_lshl_b64 s[6:7], s[6:7], 1
	s_add_u32 s26, s4, s6
	s_addc_u32 s27, s5, s7
	s_add_u32 s0, 0x230, s0
	s_addc_u32 s1, 0, 0
	v_add_co_u32_e32 v1, vcc, s0, v1
	s_cmp_lg_u64 vcc, 0
	v_readfirstlane_b32 s5, v1
	s_addc_u32 s0, s1, 0x210841
	s_mul_hi_u32 s17, s5, 0xfffff840
	s_mul_i32 s1, s0, 0xfffff840
	s_sub_i32 s17, s17, s5
	s_add_i32 s17, s17, s1
	s_mul_i32 s19, s5, 0xfffff840
	s_mul_hi_u32 s1, s5, s17
	s_mul_i32 s18, s5, s17
	s_mul_hi_u32 s5, s5, s19
	s_add_u32 s5, s5, s18
	s_addc_u32 s1, 0, s1
	s_mul_hi_u32 s20, s0, s19
	s_mul_i32 s19, s0, s19
	s_add_u32 s5, s5, s19
	s_mul_hi_u32 s18, s0, s17
	s_addc_u32 s1, s1, s20
	s_addc_u32 s5, s18, 0
	s_mul_i32 s17, s0, s17
	s_add_u32 s1, s1, s17
	s_addc_u32 s5, 0, s5
	v_add_co_u32_e32 v1, vcc, s1, v1
	s_cmp_lg_u64 vcc, 0
	s_addc_u32 s0, s0, s5
	v_readfirstlane_b32 s17, v1
	s_mul_i32 s5, s10, s0
	s_mul_hi_u32 s18, s10, s17
	s_mul_hi_u32 s1, s10, s0
	s_add_u32 s5, s18, s5
	s_addc_u32 s1, 0, s1
	s_mul_hi_u32 s19, s11, s17
	s_mul_i32 s17, s11, s17
	s_add_u32 s5, s5, s17
	s_mul_hi_u32 s18, s11, s0
	s_addc_u32 s1, s1, s19
	s_addc_u32 s5, s18, 0
	s_mul_i32 s0, s11, s0
	s_add_u32 s0, s1, s0
	s_addc_u32 s1, 0, s5
	s_add_u32 s5, s0, 1
	s_addc_u32 s17, s1, 0
	s_add_u32 s18, s0, 2
	s_mul_i32 s20, s1, 0x7c0
	s_mul_hi_u32 s21, s0, 0x7c0
	s_addc_u32 s19, s1, 0
	s_add_i32 s21, s21, s20
	s_mul_i32 s20, s0, 0x7c0
	v_mov_b32_e32 v1, s20
	v_sub_co_u32_e32 v1, vcc, s10, v1
	s_cmp_lg_u64 vcc, 0
	s_subb_u32 s20, s11, s21
	v_subrev_co_u32_e32 v2, vcc, s16, v1
	s_cmp_lg_u64 vcc, 0
	s_subb_u32 s16, s20, 0
	v_readfirstlane_b32 s21, v2
	s_cmpk_gt_u32 s21, 0x7bf
	s_cselect_b32 s21, -1, 0
	s_cmp_eq_u32 s16, 0
	s_cselect_b32 s16, s21, -1
	s_cmp_lg_u32 s16, 0
	s_cselect_b32 s16, s19, s17
	v_readfirstlane_b32 s17, v1
	s_cselect_b32 s5, s18, s5
	s_cmpk_gt_u32 s17, 0x7bf
	s_cselect_b32 s17, -1, 0
	s_cmp_eq_u32 s20, 0
	s_cselect_b32 s17, s17, -1
	s_cmp_lg_u32 s17, 0
	s_cselect_b32 s17, s16, s1
	s_cselect_b32 s5, s5, s0
	s_mul_i32 s0, s17, 0x7c0
	s_mul_hi_u32 s1, s5, 0x7c0
	s_add_i32 s1, s1, s0
	s_mul_i32 s0, s5, 0x7c0
	s_sub_u32 s0, s10, s0
	s_subb_u32 s1, s11, s1
	s_cmp_lg_u64 s[0:1], 0
	s_cselect_b64 s[0:1], -1, 0
	v_cndmask_b32_e64 v1, 0, 1, s[0:1]
	s_mul_i32 s4, s2, 0x7c0
	v_readfirstlane_b32 s0, v1
	s_add_u32 s16, s5, s0
	s_addc_u32 s17, s17, 0
	s_add_u32 s18, s14, s2
	s_addc_u32 s19, s15, 0
	s_add_u32 s20, s16, -1
	s_addc_u32 s21, s17, -1
	v_mov_b64_e32 v[2:3], s[20:21]
	v_cmp_ge_u64_e64 s[0:1], s[18:19], v[2:3]
	s_mov_b32 s3, 0
	s_mov_b64 s[22:23], -1
	s_and_b64 vcc, exec, s[0:1]
	s_mul_i32 s11, s20, 0xfffff840
	s_cbranch_vccz .LBB358_64
; %bb.1:
	s_mov_b32 s5, s3
	s_add_i32 s28, s11, s10
	s_lshl_b64 s[22:23], s[4:5], 1
	s_add_u32 s22, s26, s22
	s_addc_u32 s23, s27, s23
	v_cmp_gt_u32_e32 vcc, s28, v0
                                        ; implicit-def: $vgpr1
	s_and_saveexec_b64 s[24:25], vcc
	s_cbranch_execz .LBB358_3
; %bb.2:
	v_lshlrev_b32_e32 v1, 1, v0
	global_load_ushort v1, v1, s[22:23]
.LBB358_3:
	s_or_b64 exec, exec, s[24:25]
	v_or_b32_e32 v2, 64, v0
	v_cmp_gt_u32_e32 vcc, s28, v2
                                        ; implicit-def: $vgpr2
	s_and_saveexec_b64 s[24:25], vcc
	s_cbranch_execz .LBB358_5
; %bb.4:
	v_lshlrev_b32_e32 v2, 1, v0
	global_load_ushort v2, v2, s[22:23] offset:128
.LBB358_5:
	s_or_b64 exec, exec, s[24:25]
	v_or_b32_e32 v3, 0x80, v0
	v_cmp_gt_u32_e32 vcc, s28, v3
                                        ; implicit-def: $vgpr3
	s_and_saveexec_b64 s[24:25], vcc
	s_cbranch_execz .LBB358_7
; %bb.6:
	v_lshlrev_b32_e32 v3, 1, v0
	global_load_ushort v3, v3, s[22:23] offset:256
.LBB358_7:
	s_or_b64 exec, exec, s[24:25]
	v_or_b32_e32 v4, 0xc0, v0
	v_cmp_gt_u32_e32 vcc, s28, v4
                                        ; implicit-def: $vgpr4
	s_and_saveexec_b64 s[24:25], vcc
	s_cbranch_execz .LBB358_9
; %bb.8:
	v_lshlrev_b32_e32 v4, 1, v0
	global_load_ushort v4, v4, s[22:23] offset:384
.LBB358_9:
	s_or_b64 exec, exec, s[24:25]
	v_or_b32_e32 v5, 0x100, v0
	v_cmp_gt_u32_e32 vcc, s28, v5
                                        ; implicit-def: $vgpr5
	s_and_saveexec_b64 s[24:25], vcc
	s_cbranch_execz .LBB358_11
; %bb.10:
	v_lshlrev_b32_e32 v5, 1, v0
	global_load_ushort v5, v5, s[22:23] offset:512
.LBB358_11:
	s_or_b64 exec, exec, s[24:25]
	v_or_b32_e32 v6, 0x140, v0
	v_cmp_gt_u32_e32 vcc, s28, v6
                                        ; implicit-def: $vgpr6
	s_and_saveexec_b64 s[24:25], vcc
	s_cbranch_execz .LBB358_13
; %bb.12:
	v_lshlrev_b32_e32 v6, 1, v0
	global_load_ushort v6, v6, s[22:23] offset:640
.LBB358_13:
	s_or_b64 exec, exec, s[24:25]
	v_or_b32_e32 v7, 0x180, v0
	v_cmp_gt_u32_e32 vcc, s28, v7
                                        ; implicit-def: $vgpr7
	s_and_saveexec_b64 s[24:25], vcc
	s_cbranch_execz .LBB358_15
; %bb.14:
	v_lshlrev_b32_e32 v7, 1, v0
	global_load_ushort v7, v7, s[22:23] offset:768
.LBB358_15:
	s_or_b64 exec, exec, s[24:25]
	v_or_b32_e32 v8, 0x1c0, v0
	v_cmp_gt_u32_e32 vcc, s28, v8
                                        ; implicit-def: $vgpr8
	s_and_saveexec_b64 s[24:25], vcc
	s_cbranch_execz .LBB358_17
; %bb.16:
	v_lshlrev_b32_e32 v8, 1, v0
	global_load_ushort v8, v8, s[22:23] offset:896
.LBB358_17:
	s_or_b64 exec, exec, s[24:25]
	v_or_b32_e32 v9, 0x200, v0
	v_cmp_gt_u32_e32 vcc, s28, v9
                                        ; implicit-def: $vgpr9
	s_and_saveexec_b64 s[24:25], vcc
	s_cbranch_execz .LBB358_19
; %bb.18:
	v_lshlrev_b32_e32 v9, 1, v0
	global_load_ushort v9, v9, s[22:23] offset:1024
.LBB358_19:
	s_or_b64 exec, exec, s[24:25]
	v_or_b32_e32 v10, 0x240, v0
	v_cmp_gt_u32_e32 vcc, s28, v10
                                        ; implicit-def: $vgpr10
	s_and_saveexec_b64 s[24:25], vcc
	s_cbranch_execz .LBB358_21
; %bb.20:
	v_lshlrev_b32_e32 v10, 1, v0
	global_load_ushort v10, v10, s[22:23] offset:1152
.LBB358_21:
	s_or_b64 exec, exec, s[24:25]
	v_or_b32_e32 v11, 0x280, v0
	v_cmp_gt_u32_e32 vcc, s28, v11
                                        ; implicit-def: $vgpr11
	s_and_saveexec_b64 s[24:25], vcc
	s_cbranch_execz .LBB358_23
; %bb.22:
	v_lshlrev_b32_e32 v11, 1, v0
	global_load_ushort v11, v11, s[22:23] offset:1280
.LBB358_23:
	s_or_b64 exec, exec, s[24:25]
	v_or_b32_e32 v12, 0x2c0, v0
	v_cmp_gt_u32_e32 vcc, s28, v12
                                        ; implicit-def: $vgpr12
	s_and_saveexec_b64 s[24:25], vcc
	s_cbranch_execz .LBB358_25
; %bb.24:
	v_lshlrev_b32_e32 v12, 1, v0
	global_load_ushort v12, v12, s[22:23] offset:1408
.LBB358_25:
	s_or_b64 exec, exec, s[24:25]
	v_or_b32_e32 v13, 0x300, v0
	v_cmp_gt_u32_e32 vcc, s28, v13
                                        ; implicit-def: $vgpr13
	s_and_saveexec_b64 s[24:25], vcc
	s_cbranch_execz .LBB358_27
; %bb.26:
	v_lshlrev_b32_e32 v13, 1, v0
	global_load_ushort v13, v13, s[22:23] offset:1536
.LBB358_27:
	s_or_b64 exec, exec, s[24:25]
	v_or_b32_e32 v14, 0x340, v0
	v_cmp_gt_u32_e32 vcc, s28, v14
                                        ; implicit-def: $vgpr14
	s_and_saveexec_b64 s[24:25], vcc
	s_cbranch_execz .LBB358_29
; %bb.28:
	v_lshlrev_b32_e32 v14, 1, v0
	global_load_ushort v14, v14, s[22:23] offset:1664
.LBB358_29:
	s_or_b64 exec, exec, s[24:25]
	v_or_b32_e32 v15, 0x380, v0
	v_cmp_gt_u32_e32 vcc, s28, v15
                                        ; implicit-def: $vgpr15
	s_and_saveexec_b64 s[24:25], vcc
	s_cbranch_execz .LBB358_31
; %bb.30:
	v_lshlrev_b32_e32 v15, 1, v0
	global_load_ushort v15, v15, s[22:23] offset:1792
.LBB358_31:
	s_or_b64 exec, exec, s[24:25]
	v_or_b32_e32 v16, 0x3c0, v0
	v_cmp_gt_u32_e32 vcc, s28, v16
                                        ; implicit-def: $vgpr16
	s_and_saveexec_b64 s[24:25], vcc
	s_cbranch_execz .LBB358_33
; %bb.32:
	v_lshlrev_b32_e32 v16, 1, v0
	global_load_ushort v16, v16, s[22:23] offset:1920
.LBB358_33:
	s_or_b64 exec, exec, s[24:25]
	v_or_b32_e32 v17, 0x400, v0
	v_cmp_gt_u32_e32 vcc, s28, v17
                                        ; implicit-def: $vgpr17
	s_and_saveexec_b64 s[24:25], vcc
	s_cbranch_execz .LBB358_35
; %bb.34:
	v_lshlrev_b32_e32 v17, 1, v0
	global_load_ushort v17, v17, s[22:23] offset:2048
.LBB358_35:
	s_or_b64 exec, exec, s[24:25]
	v_or_b32_e32 v18, 0x440, v0
	v_cmp_gt_u32_e32 vcc, s28, v18
                                        ; implicit-def: $vgpr18
	s_and_saveexec_b64 s[24:25], vcc
	s_cbranch_execz .LBB358_37
; %bb.36:
	v_lshlrev_b32_e32 v18, 1, v0
	global_load_ushort v18, v18, s[22:23] offset:2176
.LBB358_37:
	s_or_b64 exec, exec, s[24:25]
	v_or_b32_e32 v19, 0x480, v0
	v_cmp_gt_u32_e32 vcc, s28, v19
                                        ; implicit-def: $vgpr19
	s_and_saveexec_b64 s[24:25], vcc
	s_cbranch_execz .LBB358_39
; %bb.38:
	v_lshlrev_b32_e32 v19, 1, v0
	global_load_ushort v19, v19, s[22:23] offset:2304
.LBB358_39:
	s_or_b64 exec, exec, s[24:25]
	v_or_b32_e32 v20, 0x4c0, v0
	v_cmp_gt_u32_e32 vcc, s28, v20
                                        ; implicit-def: $vgpr20
	s_and_saveexec_b64 s[24:25], vcc
	s_cbranch_execz .LBB358_41
; %bb.40:
	v_lshlrev_b32_e32 v20, 1, v0
	global_load_ushort v20, v20, s[22:23] offset:2432
.LBB358_41:
	s_or_b64 exec, exec, s[24:25]
	v_or_b32_e32 v21, 0x500, v0
	v_cmp_gt_u32_e32 vcc, s28, v21
                                        ; implicit-def: $vgpr21
	s_and_saveexec_b64 s[24:25], vcc
	s_cbranch_execz .LBB358_43
; %bb.42:
	v_lshlrev_b32_e32 v21, 1, v0
	global_load_ushort v21, v21, s[22:23] offset:2560
.LBB358_43:
	s_or_b64 exec, exec, s[24:25]
	v_or_b32_e32 v22, 0x540, v0
	v_cmp_gt_u32_e32 vcc, s28, v22
                                        ; implicit-def: $vgpr22
	s_and_saveexec_b64 s[24:25], vcc
	s_cbranch_execz .LBB358_45
; %bb.44:
	v_lshlrev_b32_e32 v22, 1, v0
	global_load_ushort v22, v22, s[22:23] offset:2688
.LBB358_45:
	s_or_b64 exec, exec, s[24:25]
	v_or_b32_e32 v23, 0x580, v0
	v_cmp_gt_u32_e32 vcc, s28, v23
                                        ; implicit-def: $vgpr23
	s_and_saveexec_b64 s[24:25], vcc
	s_cbranch_execz .LBB358_47
; %bb.46:
	v_lshlrev_b32_e32 v23, 1, v0
	global_load_ushort v23, v23, s[22:23] offset:2816
.LBB358_47:
	s_or_b64 exec, exec, s[24:25]
	v_or_b32_e32 v24, 0x5c0, v0
	v_cmp_gt_u32_e32 vcc, s28, v24
                                        ; implicit-def: $vgpr24
	s_and_saveexec_b64 s[24:25], vcc
	s_cbranch_execz .LBB358_49
; %bb.48:
	v_lshlrev_b32_e32 v24, 1, v0
	global_load_ushort v24, v24, s[22:23] offset:2944
.LBB358_49:
	s_or_b64 exec, exec, s[24:25]
	v_or_b32_e32 v25, 0x600, v0
	v_cmp_gt_u32_e32 vcc, s28, v25
                                        ; implicit-def: $vgpr25
	s_and_saveexec_b64 s[24:25], vcc
	s_cbranch_execz .LBB358_51
; %bb.50:
	v_lshlrev_b32_e32 v25, 1, v0
	global_load_ushort v25, v25, s[22:23] offset:3072
.LBB358_51:
	s_or_b64 exec, exec, s[24:25]
	v_or_b32_e32 v26, 0x640, v0
	v_cmp_gt_u32_e32 vcc, s28, v26
                                        ; implicit-def: $vgpr26
	s_and_saveexec_b64 s[24:25], vcc
	s_cbranch_execz .LBB358_53
; %bb.52:
	v_lshlrev_b32_e32 v26, 1, v0
	global_load_ushort v26, v26, s[22:23] offset:3200
.LBB358_53:
	s_or_b64 exec, exec, s[24:25]
	v_or_b32_e32 v27, 0x680, v0
	v_cmp_gt_u32_e32 vcc, s28, v27
                                        ; implicit-def: $vgpr27
	s_and_saveexec_b64 s[24:25], vcc
	s_cbranch_execz .LBB358_55
; %bb.54:
	v_lshlrev_b32_e32 v27, 1, v0
	global_load_ushort v27, v27, s[22:23] offset:3328
.LBB358_55:
	s_or_b64 exec, exec, s[24:25]
	v_or_b32_e32 v28, 0x6c0, v0
	v_cmp_gt_u32_e32 vcc, s28, v28
                                        ; implicit-def: $vgpr28
	s_and_saveexec_b64 s[24:25], vcc
	s_cbranch_execz .LBB358_57
; %bb.56:
	v_lshlrev_b32_e32 v28, 1, v0
	global_load_ushort v28, v28, s[22:23] offset:3456
.LBB358_57:
	s_or_b64 exec, exec, s[24:25]
	v_or_b32_e32 v29, 0x700, v0
	v_cmp_gt_u32_e32 vcc, s28, v29
                                        ; implicit-def: $vgpr29
	s_and_saveexec_b64 s[24:25], vcc
	s_cbranch_execz .LBB358_59
; %bb.58:
	v_lshlrev_b32_e32 v29, 1, v0
	global_load_ushort v29, v29, s[22:23] offset:3584
.LBB358_59:
	s_or_b64 exec, exec, s[24:25]
	v_or_b32_e32 v30, 0x740, v0
	v_cmp_gt_u32_e32 vcc, s28, v30
                                        ; implicit-def: $vgpr30
	s_and_saveexec_b64 s[24:25], vcc
	s_cbranch_execz .LBB358_61
; %bb.60:
	v_lshlrev_b32_e32 v30, 1, v0
	global_load_ushort v30, v30, s[22:23] offset:3712
.LBB358_61:
	s_or_b64 exec, exec, s[24:25]
	v_or_b32_e32 v31, 0x780, v0
	v_cmp_gt_u32_e32 vcc, s28, v31
                                        ; implicit-def: $vgpr31
	s_and_saveexec_b64 s[24:25], vcc
	s_cbranch_execz .LBB358_63
; %bb.62:
	v_lshlrev_b32_e32 v31, 1, v0
	global_load_ushort v31, v31, s[22:23] offset:3840
.LBB358_63:
	s_or_b64 exec, exec, s[24:25]
	v_lshlrev_b32_e32 v32, 1, v0
	s_mov_b64 s[22:23], 0
	s_waitcnt vmcnt(0)
	ds_write_b16 v32, v1
	ds_write_b16 v32, v2 offset:128
	ds_write_b16 v32, v3 offset:256
	;; [unrolled: 1-line block ×30, first 2 shown]
	s_waitcnt lgkmcnt(0)
	; wave barrier
.LBB358_64:
	s_and_b64 vcc, exec, s[22:23]
	v_lshlrev_b32_e32 v18, 1, v0
	s_cbranch_vccz .LBB358_66
; %bb.65:
	s_mov_b32 s5, 0
	s_lshl_b64 s[22:23], s[4:5], 1
	s_add_u32 s22, s26, s22
	s_addc_u32 s23, s27, s23
	global_load_ushort v1, v18, s[22:23]
	global_load_ushort v2, v18, s[22:23] offset:128
	global_load_ushort v3, v18, s[22:23] offset:256
	;; [unrolled: 1-line block ×30, first 2 shown]
	s_waitcnt vmcnt(30)
	ds_write_b16 v18, v1
	s_waitcnt vmcnt(29)
	ds_write_b16 v18, v2 offset:128
	s_waitcnt vmcnt(28)
	ds_write_b16 v18, v3 offset:256
	;; [unrolled: 2-line block ×30, first 2 shown]
	s_waitcnt lgkmcnt(0)
	; wave barrier
.LBB358_66:
	v_mul_u32_u24_e32 v1, 31, v0
	v_lshlrev_b32_e32 v1, 1, v1
	s_waitcnt lgkmcnt(0)
	ds_read_b128 v[10:13], v1
	ds_read_b128 v[6:9], v1 offset:16
	ds_read_b128 v[2:5], v1 offset:32
	ds_read_b96 v[14:16], v1 offset:48
	ds_read_u16 v1, v1 offset:60
	s_cmp_eq_u64 s[18:19], 0
	s_waitcnt lgkmcnt(0)
	; wave barrier
	s_waitcnt lgkmcnt(0)
	s_cbranch_scc1 .LBB358_71
; %bb.67:
	s_lshl_b64 s[14:15], s[14:15], 1
	s_add_u32 s5, s12, s14
	s_addc_u32 s12, s13, s15
	s_lshl_b64 s[2:3], s[2:3], 1
	s_add_u32 s2, s5, s2
	s_addc_u32 s3, s12, s3
	v_mov_b32_e32 v17, 0
	global_load_ushort v34, v17, s[2:3] offset:-2
	s_cmp_eq_u64 s[18:19], s[20:21]
	s_cbranch_scc1 .LBB358_72
; %bb.68:
	v_cmp_ne_u32_e32 vcc, 0, v0
	s_waitcnt vmcnt(0)
	v_mov_b32_e32 v17, v34
	ds_write_b16 v18, v1
	s_waitcnt lgkmcnt(0)
	; wave barrier
	s_waitcnt lgkmcnt(0)
	s_and_saveexec_b64 s[2:3], vcc
	s_cbranch_execz .LBB358_70
; %bb.69:
	v_add_u32_e32 v17, -2, v18
	ds_read_u16 v17, v17
.LBB358_70:
	s_or_b64 exec, exec, s[2:3]
	s_waitcnt lgkmcnt(0)
	v_add_u16_e32 v17, v17, v10
	s_mov_b64 s[2:3], 0
	s_branch .LBB358_73
.LBB358_71:
                                        ; implicit-def: $vgpr19
                                        ; implicit-def: $vgpr20_vgpr21
                                        ; implicit-def: $vgpr22_vgpr23
                                        ; implicit-def: $vgpr24_vgpr25
                                        ; implicit-def: $vgpr26_vgpr27
                                        ; implicit-def: $vgpr28_vgpr29
                                        ; implicit-def: $vgpr30_vgpr31
                                        ; implicit-def: $vgpr32_vgpr33
                                        ; implicit-def: $vgpr17
	s_branch .LBB358_78
.LBB358_72:
	s_mov_b64 s[2:3], -1
                                        ; implicit-def: $vgpr17
.LBB358_73:
	s_and_b64 vcc, exec, s[2:3]
	v_mov_b32_e32 v19, v16
	v_mov_b64_e32 v[20:21], v[14:15]
	v_mov_b64_e32 v[22:23], v[4:5]
	;; [unrolled: 1-line block ×7, first 2 shown]
	s_cbranch_vccz .LBB358_77
; %bb.74:
	v_mul_u32_u24_e32 v17, 31, v0
	v_cmp_ne_u32_e32 vcc, 0, v0
	ds_write_b16 v18, v1
	s_waitcnt lgkmcnt(0)
	; wave barrier
	s_waitcnt lgkmcnt(0)
	s_and_saveexec_b64 s[2:3], vcc
	s_cbranch_execz .LBB358_76
; %bb.75:
	v_add_u32_e32 v19, -2, v18
	s_waitcnt vmcnt(0)
	ds_read_u16 v34, v19
.LBB358_76:
	s_or_b64 exec, exec, s[2:3]
	s_mul_i32 s2, s18, 0xfffff840
	s_add_i32 s2, s2, s10
	v_add_u32_e32 v19, 29, v17
	v_add_u32_e32 v20, 30, v17
	v_cmp_gt_u32_e32 vcc, s2, v19
	v_lshrrev_b32_e32 v21, 16, v16
	s_mov_b32 s3, 0x5040100
	v_cndmask_b32_e32 v19, 0, v16, vcc
	v_cmp_gt_u32_e32 vcc, s2, v20
	v_add_u32_e32 v22, 25, v17
	v_lshrrev_b32_e32 v24, 16, v15
	v_cndmask_b32_e32 v20, 0, v21, vcc
	v_perm_b32 v19, v20, v19, s3
	v_add_u32_e32 v20, 27, v17
	v_add_u32_e32 v21, 28, v17
	v_cmp_gt_u32_e32 vcc, s2, v20
	v_add_u32_e32 v23, 26, v17
	v_lshrrev_b32_e32 v26, 16, v5
	v_cndmask_b32_e32 v20, 0, v15, vcc
	v_cmp_gt_u32_e32 vcc, s2, v21
	v_add_u32_e32 v25, 22, v17
	v_lshrrev_b32_e32 v28, 16, v3
	v_cndmask_b32_e32 v21, 0, v24, vcc
	v_cmp_gt_u32_e32 vcc, s2, v22
	v_perm_b32 v21, v21, v20, s3
	v_lshrrev_b32_e32 v22, 16, v14
	v_cndmask_b32_e32 v20, 0, v14, vcc
	v_cmp_gt_u32_e32 vcc, s2, v23
	v_add_u32_e32 v23, 24, v17
	v_add_u32_e32 v24, 21, v17
	v_cndmask_b32_e32 v22, 0, v22, vcc
	v_perm_b32 v20, v22, v20, s3
	v_add_u32_e32 v22, 23, v17
	v_cmp_gt_u32_e32 vcc, s2, v22
	v_add_u32_e32 v27, 18, v17
	v_lshrrev_b32_e32 v30, 16, v9
	v_cndmask_b32_e32 v22, 0, v5, vcc
	v_cmp_gt_u32_e32 vcc, s2, v23
	v_add_u32_e32 v29, 14, v17
	v_lshrrev_b32_e32 v32, 16, v7
	v_cndmask_b32_e32 v23, 0, v26, vcc
	v_cmp_gt_u32_e32 vcc, s2, v24
	v_perm_b32 v23, v23, v22, s3
	v_lshrrev_b32_e32 v24, 16, v4
	v_cndmask_b32_e32 v22, 0, v4, vcc
	v_cmp_gt_u32_e32 vcc, s2, v25
	v_add_u32_e32 v25, 20, v17
	v_add_u32_e32 v26, 17, v17
	v_cndmask_b32_e32 v24, 0, v24, vcc
	v_perm_b32 v22, v24, v22, s3
	;; [unrolled: 18-line block ×3, first 2 shown]
	v_add_u32_e32 v26, 15, v17
	v_cmp_gt_u32_e32 vcc, s2, v26
	v_add_u32_e32 v36, 2, v17
	s_nop 0
	v_cndmask_b32_e32 v26, 0, v9, vcc
	v_cmp_gt_u32_e32 vcc, s2, v27
	s_nop 1
	v_cndmask_b32_e32 v27, 0, v30, vcc
	v_cmp_gt_u32_e32 vcc, s2, v28
	v_perm_b32 v27, v27, v26, s3
	v_lshrrev_b32_e32 v28, 16, v8
	v_cndmask_b32_e32 v26, 0, v8, vcc
	v_cmp_gt_u32_e32 vcc, s2, v29
	v_add_u32_e32 v29, 12, v17
	v_add_u32_e32 v30, 9, v17
	v_cndmask_b32_e32 v28, 0, v28, vcc
	v_perm_b32 v26, v28, v26, s3
	v_add_u32_e32 v28, 11, v17
	v_cmp_gt_u32_e32 vcc, s2, v28
	s_nop 1
	v_cndmask_b32_e32 v28, 0, v7, vcc
	v_cmp_gt_u32_e32 vcc, s2, v29
	s_nop 1
	v_cndmask_b32_e32 v29, 0, v32, vcc
	v_cmp_gt_u32_e32 vcc, s2, v30
	v_perm_b32 v29, v29, v28, s3
	v_lshrrev_b32_e32 v30, 16, v6
	v_cndmask_b32_e32 v28, 0, v6, vcc
	v_cmp_gt_u32_e32 vcc, s2, v31
	v_add_u32_e32 v31, 8, v17
	v_add_u32_e32 v32, 5, v17
	v_cndmask_b32_e32 v30, 0, v30, vcc
	v_perm_b32 v28, v30, v28, s3
	v_add_u32_e32 v30, 7, v17
	v_cmp_gt_u32_e32 vcc, s2, v30
	;; [unrolled: 16-line block ×3, first 2 shown]
	s_nop 1
	v_cndmask_b32_e32 v32, 0, v11, vcc
	v_cmp_gt_u32_e32 vcc, s2, v33
	s_nop 1
	v_cndmask_b32_e32 v33, 0, v37, vcc
	v_cmp_gt_u32_e32 vcc, s2, v35
	v_perm_b32 v33, v33, v32, s3
	v_lshrrev_b32_e32 v35, 16, v10
	v_cndmask_b32_e32 v32, 0, v10, vcc
	v_cmp_gt_u32_e32 vcc, s2, v36
	s_nop 1
	v_cndmask_b32_e32 v35, 0, v35, vcc
	v_cmp_gt_u32_e32 vcc, s2, v17
	v_perm_b32 v32, v35, v32, s3
	s_waitcnt vmcnt(0) lgkmcnt(0)
	v_cndmask_b32_e32 v17, 0, v34, vcc
	v_add_u16_e32 v17, v17, v10
.LBB358_77:
	s_cbranch_execnz .LBB358_87
.LBB358_78:
	s_cmp_eq_u64 s[16:17], 1
	v_cmp_ne_u32_e32 vcc, 0, v0
	s_cbranch_scc1 .LBB358_82
; %bb.79:
	v_mov_b32_e32 v17, v10
	ds_write_b16 v18, v1
	s_waitcnt lgkmcnt(0)
	; wave barrier
	s_waitcnt lgkmcnt(0)
	s_and_saveexec_b64 s[2:3], vcc
	s_cbranch_execz .LBB358_81
; %bb.80:
	v_add_u32_e32 v17, -2, v18
	ds_read_u16 v17, v17
	s_waitcnt lgkmcnt(0)
	v_add_u16_e32 v17, v17, v10
.LBB358_81:
	s_or_b64 exec, exec, s[2:3]
	s_mov_b64 s[2:3], 0
	s_branch .LBB358_83
.LBB358_82:
	s_mov_b64 s[2:3], -1
                                        ; implicit-def: $vgpr17
.LBB358_83:
	s_andn2_b64 vcc, exec, s[2:3]
	v_mov_b32_e32 v19, v16
	v_mov_b64_e32 v[20:21], v[14:15]
	v_mov_b64_e32 v[22:23], v[4:5]
	;; [unrolled: 1-line block ×7, first 2 shown]
	s_cbranch_vccnz .LBB358_87
; %bb.84:
	v_mad_u32_u24 v19, v0, 31, 29
	v_mad_u32_u24 v20, v0, 31, 30
	v_cmp_gt_u32_e32 vcc, s10, v19
	v_lshrrev_b32_e32 v21, 16, v16
	v_mad_u32_u24 v22, v0, 31, 25
	v_cndmask_b32_e32 v19, 0, v16, vcc
	v_cmp_gt_u32_e32 vcc, s10, v20
	v_mad_u32_u24 v20, v0, 31, 27
	v_lshrrev_b32_e32 v24, 16, v15
	s_waitcnt vmcnt(0)
	v_cndmask_b32_e32 v34, 0, v21, vcc
	v_mad_u32_u24 v21, v0, 31, 28
	v_cmp_gt_u32_e32 vcc, s10, v20
	s_mov_b32 s5, 0x5040100
	v_mad_u32_u24 v23, v0, 31, 26
	v_cndmask_b32_e32 v20, 0, v15, vcc
	v_cmp_gt_u32_e32 vcc, s10, v21
	v_lshrrev_b32_e32 v26, 16, v5
	v_mad_u32_u24 v25, v0, 31, 22
	v_cndmask_b32_e32 v21, 0, v24, vcc
	v_cmp_gt_u32_e32 vcc, s10, v22
	v_perm_b32 v21, v21, v20, s5
	v_lshrrev_b32_e32 v22, 16, v14
	v_cndmask_b32_e32 v20, 0, v14, vcc
	v_cmp_gt_u32_e32 vcc, s10, v23
	v_mad_u32_u24 v23, v0, 31, 24
	v_mad_u32_u24 v24, v0, 31, 21
	v_cndmask_b32_e32 v22, 0, v22, vcc
	v_perm_b32 v20, v22, v20, s5
	v_mad_u32_u24 v22, v0, 31, 23
	v_cmp_gt_u32_e32 vcc, s10, v22
	v_lshrrev_b32_e32 v28, 16, v3
	v_mad_u32_u24 v27, v0, 31, 18
	v_cndmask_b32_e32 v22, 0, v5, vcc
	v_cmp_gt_u32_e32 vcc, s10, v23
	v_lshrrev_b32_e32 v30, 16, v9
	v_mad_u32_u24 v29, v0, 31, 14
	v_cndmask_b32_e32 v23, 0, v26, vcc
	v_cmp_gt_u32_e32 vcc, s10, v24
	v_perm_b32 v23, v23, v22, s5
	v_lshrrev_b32_e32 v24, 16, v4
	v_cndmask_b32_e32 v22, 0, v4, vcc
	v_cmp_gt_u32_e32 vcc, s10, v25
	v_mad_u32_u24 v25, v0, 31, 20
	v_mad_u32_u24 v26, v0, 31, 17
	v_cndmask_b32_e32 v24, 0, v24, vcc
	v_perm_b32 v22, v24, v22, s5
	v_mad_u32_u24 v24, v0, 31, 19
	v_cmp_gt_u32_e32 vcc, s10, v24
	v_lshrrev_b32_e32 v32, 16, v7
	;; [unrolled: 18-line block ×3, first 2 shown]
	v_mad_u32_u24 v36, v0, 31, 2
	v_cndmask_b32_e32 v26, 0, v9, vcc
	v_cmp_gt_u32_e32 vcc, s10, v27
	v_mul_u32_u24_e32 v17, 31, v0
	v_cmp_gt_u32_e64 s[2:3], s10, v17
	v_cndmask_b32_e32 v27, 0, v30, vcc
	v_cmp_gt_u32_e32 vcc, s10, v28
	v_perm_b32 v27, v27, v26, s5
	v_lshrrev_b32_e32 v28, 16, v8
	v_cndmask_b32_e32 v26, 0, v8, vcc
	v_cmp_gt_u32_e32 vcc, s10, v29
	v_mad_u32_u24 v29, v0, 31, 12
	v_mad_u32_u24 v30, v0, 31, 9
	v_cndmask_b32_e32 v28, 0, v28, vcc
	v_perm_b32 v26, v28, v26, s5
	v_mad_u32_u24 v28, v0, 31, 11
	v_cmp_gt_u32_e32 vcc, s10, v28
	v_mov_b32_e32 v17, v10
	ds_write_b16 v18, v1
	v_cndmask_b32_e32 v28, 0, v7, vcc
	v_cmp_gt_u32_e32 vcc, s10, v29
	s_waitcnt lgkmcnt(0)
	; wave barrier
	s_waitcnt lgkmcnt(0)
	v_cndmask_b32_e32 v29, 0, v32, vcc
	v_cmp_gt_u32_e32 vcc, s10, v30
	v_perm_b32 v29, v29, v28, s5
	v_lshrrev_b32_e32 v30, 16, v6
	v_cndmask_b32_e32 v28, 0, v6, vcc
	v_cmp_gt_u32_e32 vcc, s10, v31
	v_mad_u32_u24 v31, v0, 31, 8
	v_mad_u32_u24 v32, v0, 31, 5
	v_cndmask_b32_e32 v30, 0, v30, vcc
	v_perm_b32 v28, v30, v28, s5
	v_mad_u32_u24 v30, v0, 31, 7
	v_cmp_gt_u32_e32 vcc, s10, v30
	s_nop 1
	v_cndmask_b32_e32 v30, 0, v13, vcc
	v_cmp_gt_u32_e32 vcc, s10, v31
	s_nop 1
	v_cndmask_b32_e32 v31, 0, v35, vcc
	v_cmp_gt_u32_e32 vcc, s10, v32
	v_perm_b32 v31, v31, v30, s5
	v_lshrrev_b32_e32 v32, 16, v12
	v_cndmask_b32_e32 v30, 0, v12, vcc
	v_cmp_gt_u32_e32 vcc, s10, v33
	v_mad_u32_u24 v33, v0, 31, 4
	v_mad_u32_u24 v35, v0, 31, 1
	v_cndmask_b32_e32 v32, 0, v32, vcc
	v_perm_b32 v30, v32, v30, s5
	v_mad_u32_u24 v32, v0, 31, 3
	v_cmp_gt_u32_e32 vcc, s10, v32
	s_nop 1
	v_cndmask_b32_e32 v32, 0, v11, vcc
	v_cmp_gt_u32_e32 vcc, s10, v33
	s_nop 1
	v_cndmask_b32_e32 v33, 0, v37, vcc
	v_cmp_gt_u32_e32 vcc, s10, v35
	v_perm_b32 v33, v33, v32, s5
	v_lshrrev_b32_e32 v35, 16, v10
	v_cndmask_b32_e32 v32, 0, v10, vcc
	v_cmp_gt_u32_e32 vcc, s10, v36
	s_nop 1
	v_cndmask_b32_e32 v35, 0, v35, vcc
	v_cmp_ne_u32_e32 vcc, 0, v0
	v_perm_b32 v32, v35, v32, s5
	s_and_b64 s[12:13], vcc, s[2:3]
	s_and_saveexec_b64 s[2:3], s[12:13]
	s_cbranch_execz .LBB358_86
; %bb.85:
	v_add_u32_e32 v17, -2, v18
	ds_read_u16 v17, v17
	s_waitcnt lgkmcnt(0)
	v_add_u16_e32 v17, v17, v10
.LBB358_86:
	s_or_b64 exec, exec, s[2:3]
	v_perm_b32 v19, v34, v19, s5
.LBB358_87:
	s_add_u32 s6, s8, s6
	v_alignbit_b32 v10, v11, v10, 16
	v_alignbit_b32 v11, v12, v11, 16
	;; [unrolled: 1-line block ×15, first 2 shown]
	s_addc_u32 s7, s9, s7
	v_pk_add_u16 v11, v33, v11
	v_pk_add_u16 v10, v32, v10
	;; [unrolled: 1-line block ×15, first 2 shown]
	s_and_b64 vcc, exec, s[0:1]
	v_mul_u32_u24_e32 v1, 62, v0
	s_waitcnt lgkmcnt(0)
	; wave barrier
	s_cbranch_vccz .LBB358_149
; %bb.88:
	v_mul_i32_i24_e32 v52, 0xffffffc4, v0
	v_mad_u32_u24 v19, v0, 62, v52
	ds_write_b16 v1, v17
	ds_write_b128 v1, v[10:13] offset:2
	ds_write_b128 v1, v[6:9] offset:18
	;; [unrolled: 1-line block ×3, first 2 shown]
	ds_write_b96 v1, v[14:16] offset:50
	s_waitcnt lgkmcnt(0)
	; wave barrier
	s_waitcnt lgkmcnt(0)
	ds_read_u16 v51, v19 offset:128
	ds_read_u16 v50, v19 offset:256
	;; [unrolled: 1-line block ×17, first 2 shown]
	s_waitcnt vmcnt(0)
	ds_read_u16 v34, v19 offset:2304
	ds_read_u16 v33, v19 offset:2432
	;; [unrolled: 1-line block ×13, first 2 shown]
	s_mov_b32 s5, 0
	s_add_i32 s11, s11, s10
	s_lshl_b64 s[0:1], s[4:5], 1
	s_add_u32 s0, s6, s0
	s_addc_u32 s1, s7, s1
	v_mov_b32_e32 v19, 0
	v_lshl_add_u64 v[20:21], s[0:1], 0, v[18:19]
	v_cmp_gt_u32_e32 vcc, s11, v0
	s_and_saveexec_b64 s[0:1], vcc
	s_cbranch_execz .LBB358_90
; %bb.89:
	v_add_u32_e32 v19, v1, v52
	ds_read_u16 v19, v19
	s_waitcnt lgkmcnt(0)
	global_store_short v[20:21], v19, off
.LBB358_90:
	s_or_b64 exec, exec, s[0:1]
	v_or_b32_e32 v19, 64, v0
	v_cmp_gt_u32_e32 vcc, s11, v19
	s_and_saveexec_b64 s[0:1], vcc
	s_cbranch_execz .LBB358_92
; %bb.91:
	s_waitcnt lgkmcnt(14)
	global_store_short v[20:21], v51, off offset:128
.LBB358_92:
	s_or_b64 exec, exec, s[0:1]
	v_or_b32_e32 v19, 0x80, v0
	v_cmp_gt_u32_e32 vcc, s11, v19
	s_and_saveexec_b64 s[0:1], vcc
	s_cbranch_execz .LBB358_94
; %bb.93:
	s_waitcnt lgkmcnt(14)
	global_store_short v[20:21], v50, off offset:256
.LBB358_94:
	;; [unrolled: 9-line block ×29, first 2 shown]
	s_or_b64 exec, exec, s[0:1]
	v_or_b32_e32 v19, 0x780, v0
	v_cmp_gt_u32_e64 s[0:1], s11, v19
	s_branch .LBB358_151
.LBB358_149:
	s_mov_b64 s[0:1], 0
                                        ; implicit-def: $vgpr22
                                        ; implicit-def: $vgpr20_vgpr21
	s_cbranch_execz .LBB358_151
; %bb.150:
	ds_write_b16 v1, v17
	ds_write_b128 v1, v[10:13] offset:2
	ds_write_b128 v1, v[6:9] offset:18
	;; [unrolled: 1-line block ×3, first 2 shown]
	ds_write_b96 v1, v[14:16] offset:50
	v_mul_i32_i24_e32 v1, 0xffffffc4, v0
	s_mov_b32 s5, 0
	v_mad_u32_u24 v0, v0, 62, v1
	s_lshl_b64 s[2:3], s[4:5], 1
	s_waitcnt lgkmcnt(0)
	; wave barrier
	s_waitcnt lgkmcnt(0)
	ds_read_u16 v1, v0
	ds_read_u16 v2, v0 offset:128
	ds_read_u16 v3, v0 offset:256
	;; [unrolled: 1-line block ×27, first 2 shown]
	s_waitcnt vmcnt(0)
	ds_read_u16 v34, v0 offset:3584
	ds_read_u16 v35, v0 offset:3712
	;; [unrolled: 1-line block ×3, first 2 shown]
	s_add_u32 s2, s6, s2
	s_addc_u32 s3, s7, s3
	v_mov_b32_e32 v19, 0
	v_lshl_add_u64 v[20:21], s[2:3], 0, v[18:19]
	s_or_b64 s[0:1], s[0:1], exec
	s_waitcnt lgkmcnt(14)
	global_store_short v18, v1, s[2:3]
	global_store_short v18, v2, s[2:3] offset:128
	global_store_short v18, v3, s[2:3] offset:256
	;; [unrolled: 1-line block ×16, first 2 shown]
	s_waitcnt lgkmcnt(13)
	global_store_short v18, v23, s[2:3] offset:2176
	s_waitcnt lgkmcnt(12)
	global_store_short v18, v24, s[2:3] offset:2304
	;; [unrolled: 2-line block ×13, first 2 shown]
.LBB358_151:
	s_and_saveexec_b64 s[2:3], s[0:1]
	s_cbranch_execnz .LBB358_153
; %bb.152:
	s_endpgm
.LBB358_153:
	s_waitcnt lgkmcnt(0)
	global_store_short v[20:21], v22, off offset:3840
	s_endpgm
	.section	.rodata,"a",@progbits
	.p2align	6, 0x0
	.amdhsa_kernel _ZN7rocprim17ROCPRIM_400000_NS6detail17trampoline_kernelINS0_14default_configENS1_35adjacent_difference_config_selectorILb1EtEEZNS1_24adjacent_difference_implIS3_Lb1ELb0EPtS7_N6thrust23THRUST_200600_302600_NS4plusItEEEE10hipError_tPvRmT2_T3_mT4_P12ihipStream_tbEUlT_E_NS1_11comp_targetILNS1_3genE5ELNS1_11target_archE942ELNS1_3gpuE9ELNS1_3repE0EEENS1_30default_config_static_selectorELNS0_4arch9wavefront6targetE1EEEvT1_
		.amdhsa_group_segment_fixed_size 3968
		.amdhsa_private_segment_fixed_size 0
		.amdhsa_kernarg_size 56
		.amdhsa_user_sgpr_count 2
		.amdhsa_user_sgpr_dispatch_ptr 0
		.amdhsa_user_sgpr_queue_ptr 0
		.amdhsa_user_sgpr_kernarg_segment_ptr 1
		.amdhsa_user_sgpr_dispatch_id 0
		.amdhsa_user_sgpr_kernarg_preload_length 0
		.amdhsa_user_sgpr_kernarg_preload_offset 0
		.amdhsa_user_sgpr_private_segment_size 0
		.amdhsa_uses_dynamic_stack 0
		.amdhsa_enable_private_segment 0
		.amdhsa_system_sgpr_workgroup_id_x 1
		.amdhsa_system_sgpr_workgroup_id_y 0
		.amdhsa_system_sgpr_workgroup_id_z 0
		.amdhsa_system_sgpr_workgroup_info 0
		.amdhsa_system_vgpr_workitem_id 0
		.amdhsa_next_free_vgpr 53
		.amdhsa_next_free_sgpr 29
		.amdhsa_accum_offset 56
		.amdhsa_reserve_vcc 1
		.amdhsa_float_round_mode_32 0
		.amdhsa_float_round_mode_16_64 0
		.amdhsa_float_denorm_mode_32 3
		.amdhsa_float_denorm_mode_16_64 3
		.amdhsa_dx10_clamp 1
		.amdhsa_ieee_mode 1
		.amdhsa_fp16_overflow 0
		.amdhsa_tg_split 0
		.amdhsa_exception_fp_ieee_invalid_op 0
		.amdhsa_exception_fp_denorm_src 0
		.amdhsa_exception_fp_ieee_div_zero 0
		.amdhsa_exception_fp_ieee_overflow 0
		.amdhsa_exception_fp_ieee_underflow 0
		.amdhsa_exception_fp_ieee_inexact 0
		.amdhsa_exception_int_div_zero 0
	.end_amdhsa_kernel
	.section	.text._ZN7rocprim17ROCPRIM_400000_NS6detail17trampoline_kernelINS0_14default_configENS1_35adjacent_difference_config_selectorILb1EtEEZNS1_24adjacent_difference_implIS3_Lb1ELb0EPtS7_N6thrust23THRUST_200600_302600_NS4plusItEEEE10hipError_tPvRmT2_T3_mT4_P12ihipStream_tbEUlT_E_NS1_11comp_targetILNS1_3genE5ELNS1_11target_archE942ELNS1_3gpuE9ELNS1_3repE0EEENS1_30default_config_static_selectorELNS0_4arch9wavefront6targetE1EEEvT1_,"axG",@progbits,_ZN7rocprim17ROCPRIM_400000_NS6detail17trampoline_kernelINS0_14default_configENS1_35adjacent_difference_config_selectorILb1EtEEZNS1_24adjacent_difference_implIS3_Lb1ELb0EPtS7_N6thrust23THRUST_200600_302600_NS4plusItEEEE10hipError_tPvRmT2_T3_mT4_P12ihipStream_tbEUlT_E_NS1_11comp_targetILNS1_3genE5ELNS1_11target_archE942ELNS1_3gpuE9ELNS1_3repE0EEENS1_30default_config_static_selectorELNS0_4arch9wavefront6targetE1EEEvT1_,comdat
.Lfunc_end358:
	.size	_ZN7rocprim17ROCPRIM_400000_NS6detail17trampoline_kernelINS0_14default_configENS1_35adjacent_difference_config_selectorILb1EtEEZNS1_24adjacent_difference_implIS3_Lb1ELb0EPtS7_N6thrust23THRUST_200600_302600_NS4plusItEEEE10hipError_tPvRmT2_T3_mT4_P12ihipStream_tbEUlT_E_NS1_11comp_targetILNS1_3genE5ELNS1_11target_archE942ELNS1_3gpuE9ELNS1_3repE0EEENS1_30default_config_static_selectorELNS0_4arch9wavefront6targetE1EEEvT1_, .Lfunc_end358-_ZN7rocprim17ROCPRIM_400000_NS6detail17trampoline_kernelINS0_14default_configENS1_35adjacent_difference_config_selectorILb1EtEEZNS1_24adjacent_difference_implIS3_Lb1ELb0EPtS7_N6thrust23THRUST_200600_302600_NS4plusItEEEE10hipError_tPvRmT2_T3_mT4_P12ihipStream_tbEUlT_E_NS1_11comp_targetILNS1_3genE5ELNS1_11target_archE942ELNS1_3gpuE9ELNS1_3repE0EEENS1_30default_config_static_selectorELNS0_4arch9wavefront6targetE1EEEvT1_
                                        ; -- End function
	.section	.AMDGPU.csdata,"",@progbits
; Kernel info:
; codeLenInByte = 6700
; NumSgprs: 35
; NumVgprs: 53
; NumAgprs: 0
; TotalNumVgprs: 53
; ScratchSize: 0
; MemoryBound: 0
; FloatMode: 240
; IeeeMode: 1
; LDSByteSize: 3968 bytes/workgroup (compile time only)
; SGPRBlocks: 4
; VGPRBlocks: 6
; NumSGPRsForWavesPerEU: 35
; NumVGPRsForWavesPerEU: 53
; AccumOffset: 56
; Occupancy: 4
; WaveLimiterHint : 1
; COMPUTE_PGM_RSRC2:SCRATCH_EN: 0
; COMPUTE_PGM_RSRC2:USER_SGPR: 2
; COMPUTE_PGM_RSRC2:TRAP_HANDLER: 0
; COMPUTE_PGM_RSRC2:TGID_X_EN: 1
; COMPUTE_PGM_RSRC2:TGID_Y_EN: 0
; COMPUTE_PGM_RSRC2:TGID_Z_EN: 0
; COMPUTE_PGM_RSRC2:TIDIG_COMP_CNT: 0
; COMPUTE_PGM_RSRC3_GFX90A:ACCUM_OFFSET: 13
; COMPUTE_PGM_RSRC3_GFX90A:TG_SPLIT: 0
	.section	.text._ZN7rocprim17ROCPRIM_400000_NS6detail17trampoline_kernelINS0_14default_configENS1_35adjacent_difference_config_selectorILb1EtEEZNS1_24adjacent_difference_implIS3_Lb1ELb0EPtS7_N6thrust23THRUST_200600_302600_NS4plusItEEEE10hipError_tPvRmT2_T3_mT4_P12ihipStream_tbEUlT_E_NS1_11comp_targetILNS1_3genE4ELNS1_11target_archE910ELNS1_3gpuE8ELNS1_3repE0EEENS1_30default_config_static_selectorELNS0_4arch9wavefront6targetE1EEEvT1_,"axG",@progbits,_ZN7rocprim17ROCPRIM_400000_NS6detail17trampoline_kernelINS0_14default_configENS1_35adjacent_difference_config_selectorILb1EtEEZNS1_24adjacent_difference_implIS3_Lb1ELb0EPtS7_N6thrust23THRUST_200600_302600_NS4plusItEEEE10hipError_tPvRmT2_T3_mT4_P12ihipStream_tbEUlT_E_NS1_11comp_targetILNS1_3genE4ELNS1_11target_archE910ELNS1_3gpuE8ELNS1_3repE0EEENS1_30default_config_static_selectorELNS0_4arch9wavefront6targetE1EEEvT1_,comdat
	.protected	_ZN7rocprim17ROCPRIM_400000_NS6detail17trampoline_kernelINS0_14default_configENS1_35adjacent_difference_config_selectorILb1EtEEZNS1_24adjacent_difference_implIS3_Lb1ELb0EPtS7_N6thrust23THRUST_200600_302600_NS4plusItEEEE10hipError_tPvRmT2_T3_mT4_P12ihipStream_tbEUlT_E_NS1_11comp_targetILNS1_3genE4ELNS1_11target_archE910ELNS1_3gpuE8ELNS1_3repE0EEENS1_30default_config_static_selectorELNS0_4arch9wavefront6targetE1EEEvT1_ ; -- Begin function _ZN7rocprim17ROCPRIM_400000_NS6detail17trampoline_kernelINS0_14default_configENS1_35adjacent_difference_config_selectorILb1EtEEZNS1_24adjacent_difference_implIS3_Lb1ELb0EPtS7_N6thrust23THRUST_200600_302600_NS4plusItEEEE10hipError_tPvRmT2_T3_mT4_P12ihipStream_tbEUlT_E_NS1_11comp_targetILNS1_3genE4ELNS1_11target_archE910ELNS1_3gpuE8ELNS1_3repE0EEENS1_30default_config_static_selectorELNS0_4arch9wavefront6targetE1EEEvT1_
	.globl	_ZN7rocprim17ROCPRIM_400000_NS6detail17trampoline_kernelINS0_14default_configENS1_35adjacent_difference_config_selectorILb1EtEEZNS1_24adjacent_difference_implIS3_Lb1ELb0EPtS7_N6thrust23THRUST_200600_302600_NS4plusItEEEE10hipError_tPvRmT2_T3_mT4_P12ihipStream_tbEUlT_E_NS1_11comp_targetILNS1_3genE4ELNS1_11target_archE910ELNS1_3gpuE8ELNS1_3repE0EEENS1_30default_config_static_selectorELNS0_4arch9wavefront6targetE1EEEvT1_
	.p2align	8
	.type	_ZN7rocprim17ROCPRIM_400000_NS6detail17trampoline_kernelINS0_14default_configENS1_35adjacent_difference_config_selectorILb1EtEEZNS1_24adjacent_difference_implIS3_Lb1ELb0EPtS7_N6thrust23THRUST_200600_302600_NS4plusItEEEE10hipError_tPvRmT2_T3_mT4_P12ihipStream_tbEUlT_E_NS1_11comp_targetILNS1_3genE4ELNS1_11target_archE910ELNS1_3gpuE8ELNS1_3repE0EEENS1_30default_config_static_selectorELNS0_4arch9wavefront6targetE1EEEvT1_,@function
_ZN7rocprim17ROCPRIM_400000_NS6detail17trampoline_kernelINS0_14default_configENS1_35adjacent_difference_config_selectorILb1EtEEZNS1_24adjacent_difference_implIS3_Lb1ELb0EPtS7_N6thrust23THRUST_200600_302600_NS4plusItEEEE10hipError_tPvRmT2_T3_mT4_P12ihipStream_tbEUlT_E_NS1_11comp_targetILNS1_3genE4ELNS1_11target_archE910ELNS1_3gpuE8ELNS1_3repE0EEENS1_30default_config_static_selectorELNS0_4arch9wavefront6targetE1EEEvT1_: ; @_ZN7rocprim17ROCPRIM_400000_NS6detail17trampoline_kernelINS0_14default_configENS1_35adjacent_difference_config_selectorILb1EtEEZNS1_24adjacent_difference_implIS3_Lb1ELb0EPtS7_N6thrust23THRUST_200600_302600_NS4plusItEEEE10hipError_tPvRmT2_T3_mT4_P12ihipStream_tbEUlT_E_NS1_11comp_targetILNS1_3genE4ELNS1_11target_archE910ELNS1_3gpuE8ELNS1_3repE0EEENS1_30default_config_static_selectorELNS0_4arch9wavefront6targetE1EEEvT1_
; %bb.0:
	.section	.rodata,"a",@progbits
	.p2align	6, 0x0
	.amdhsa_kernel _ZN7rocprim17ROCPRIM_400000_NS6detail17trampoline_kernelINS0_14default_configENS1_35adjacent_difference_config_selectorILb1EtEEZNS1_24adjacent_difference_implIS3_Lb1ELb0EPtS7_N6thrust23THRUST_200600_302600_NS4plusItEEEE10hipError_tPvRmT2_T3_mT4_P12ihipStream_tbEUlT_E_NS1_11comp_targetILNS1_3genE4ELNS1_11target_archE910ELNS1_3gpuE8ELNS1_3repE0EEENS1_30default_config_static_selectorELNS0_4arch9wavefront6targetE1EEEvT1_
		.amdhsa_group_segment_fixed_size 0
		.amdhsa_private_segment_fixed_size 0
		.amdhsa_kernarg_size 56
		.amdhsa_user_sgpr_count 2
		.amdhsa_user_sgpr_dispatch_ptr 0
		.amdhsa_user_sgpr_queue_ptr 0
		.amdhsa_user_sgpr_kernarg_segment_ptr 1
		.amdhsa_user_sgpr_dispatch_id 0
		.amdhsa_user_sgpr_kernarg_preload_length 0
		.amdhsa_user_sgpr_kernarg_preload_offset 0
		.amdhsa_user_sgpr_private_segment_size 0
		.amdhsa_uses_dynamic_stack 0
		.amdhsa_enable_private_segment 0
		.amdhsa_system_sgpr_workgroup_id_x 1
		.amdhsa_system_sgpr_workgroup_id_y 0
		.amdhsa_system_sgpr_workgroup_id_z 0
		.amdhsa_system_sgpr_workgroup_info 0
		.amdhsa_system_vgpr_workitem_id 0
		.amdhsa_next_free_vgpr 1
		.amdhsa_next_free_sgpr 0
		.amdhsa_accum_offset 4
		.amdhsa_reserve_vcc 0
		.amdhsa_float_round_mode_32 0
		.amdhsa_float_round_mode_16_64 0
		.amdhsa_float_denorm_mode_32 3
		.amdhsa_float_denorm_mode_16_64 3
		.amdhsa_dx10_clamp 1
		.amdhsa_ieee_mode 1
		.amdhsa_fp16_overflow 0
		.amdhsa_tg_split 0
		.amdhsa_exception_fp_ieee_invalid_op 0
		.amdhsa_exception_fp_denorm_src 0
		.amdhsa_exception_fp_ieee_div_zero 0
		.amdhsa_exception_fp_ieee_overflow 0
		.amdhsa_exception_fp_ieee_underflow 0
		.amdhsa_exception_fp_ieee_inexact 0
		.amdhsa_exception_int_div_zero 0
	.end_amdhsa_kernel
	.section	.text._ZN7rocprim17ROCPRIM_400000_NS6detail17trampoline_kernelINS0_14default_configENS1_35adjacent_difference_config_selectorILb1EtEEZNS1_24adjacent_difference_implIS3_Lb1ELb0EPtS7_N6thrust23THRUST_200600_302600_NS4plusItEEEE10hipError_tPvRmT2_T3_mT4_P12ihipStream_tbEUlT_E_NS1_11comp_targetILNS1_3genE4ELNS1_11target_archE910ELNS1_3gpuE8ELNS1_3repE0EEENS1_30default_config_static_selectorELNS0_4arch9wavefront6targetE1EEEvT1_,"axG",@progbits,_ZN7rocprim17ROCPRIM_400000_NS6detail17trampoline_kernelINS0_14default_configENS1_35adjacent_difference_config_selectorILb1EtEEZNS1_24adjacent_difference_implIS3_Lb1ELb0EPtS7_N6thrust23THRUST_200600_302600_NS4plusItEEEE10hipError_tPvRmT2_T3_mT4_P12ihipStream_tbEUlT_E_NS1_11comp_targetILNS1_3genE4ELNS1_11target_archE910ELNS1_3gpuE8ELNS1_3repE0EEENS1_30default_config_static_selectorELNS0_4arch9wavefront6targetE1EEEvT1_,comdat
.Lfunc_end359:
	.size	_ZN7rocprim17ROCPRIM_400000_NS6detail17trampoline_kernelINS0_14default_configENS1_35adjacent_difference_config_selectorILb1EtEEZNS1_24adjacent_difference_implIS3_Lb1ELb0EPtS7_N6thrust23THRUST_200600_302600_NS4plusItEEEE10hipError_tPvRmT2_T3_mT4_P12ihipStream_tbEUlT_E_NS1_11comp_targetILNS1_3genE4ELNS1_11target_archE910ELNS1_3gpuE8ELNS1_3repE0EEENS1_30default_config_static_selectorELNS0_4arch9wavefront6targetE1EEEvT1_, .Lfunc_end359-_ZN7rocprim17ROCPRIM_400000_NS6detail17trampoline_kernelINS0_14default_configENS1_35adjacent_difference_config_selectorILb1EtEEZNS1_24adjacent_difference_implIS3_Lb1ELb0EPtS7_N6thrust23THRUST_200600_302600_NS4plusItEEEE10hipError_tPvRmT2_T3_mT4_P12ihipStream_tbEUlT_E_NS1_11comp_targetILNS1_3genE4ELNS1_11target_archE910ELNS1_3gpuE8ELNS1_3repE0EEENS1_30default_config_static_selectorELNS0_4arch9wavefront6targetE1EEEvT1_
                                        ; -- End function
	.section	.AMDGPU.csdata,"",@progbits
; Kernel info:
; codeLenInByte = 0
; NumSgprs: 6
; NumVgprs: 0
; NumAgprs: 0
; TotalNumVgprs: 0
; ScratchSize: 0
; MemoryBound: 0
; FloatMode: 240
; IeeeMode: 1
; LDSByteSize: 0 bytes/workgroup (compile time only)
; SGPRBlocks: 0
; VGPRBlocks: 0
; NumSGPRsForWavesPerEU: 6
; NumVGPRsForWavesPerEU: 1
; AccumOffset: 4
; Occupancy: 8
; WaveLimiterHint : 0
; COMPUTE_PGM_RSRC2:SCRATCH_EN: 0
; COMPUTE_PGM_RSRC2:USER_SGPR: 2
; COMPUTE_PGM_RSRC2:TRAP_HANDLER: 0
; COMPUTE_PGM_RSRC2:TGID_X_EN: 1
; COMPUTE_PGM_RSRC2:TGID_Y_EN: 0
; COMPUTE_PGM_RSRC2:TGID_Z_EN: 0
; COMPUTE_PGM_RSRC2:TIDIG_COMP_CNT: 0
; COMPUTE_PGM_RSRC3_GFX90A:ACCUM_OFFSET: 0
; COMPUTE_PGM_RSRC3_GFX90A:TG_SPLIT: 0
	.section	.text._ZN7rocprim17ROCPRIM_400000_NS6detail17trampoline_kernelINS0_14default_configENS1_35adjacent_difference_config_selectorILb1EtEEZNS1_24adjacent_difference_implIS3_Lb1ELb0EPtS7_N6thrust23THRUST_200600_302600_NS4plusItEEEE10hipError_tPvRmT2_T3_mT4_P12ihipStream_tbEUlT_E_NS1_11comp_targetILNS1_3genE3ELNS1_11target_archE908ELNS1_3gpuE7ELNS1_3repE0EEENS1_30default_config_static_selectorELNS0_4arch9wavefront6targetE1EEEvT1_,"axG",@progbits,_ZN7rocprim17ROCPRIM_400000_NS6detail17trampoline_kernelINS0_14default_configENS1_35adjacent_difference_config_selectorILb1EtEEZNS1_24adjacent_difference_implIS3_Lb1ELb0EPtS7_N6thrust23THRUST_200600_302600_NS4plusItEEEE10hipError_tPvRmT2_T3_mT4_P12ihipStream_tbEUlT_E_NS1_11comp_targetILNS1_3genE3ELNS1_11target_archE908ELNS1_3gpuE7ELNS1_3repE0EEENS1_30default_config_static_selectorELNS0_4arch9wavefront6targetE1EEEvT1_,comdat
	.protected	_ZN7rocprim17ROCPRIM_400000_NS6detail17trampoline_kernelINS0_14default_configENS1_35adjacent_difference_config_selectorILb1EtEEZNS1_24adjacent_difference_implIS3_Lb1ELb0EPtS7_N6thrust23THRUST_200600_302600_NS4plusItEEEE10hipError_tPvRmT2_T3_mT4_P12ihipStream_tbEUlT_E_NS1_11comp_targetILNS1_3genE3ELNS1_11target_archE908ELNS1_3gpuE7ELNS1_3repE0EEENS1_30default_config_static_selectorELNS0_4arch9wavefront6targetE1EEEvT1_ ; -- Begin function _ZN7rocprim17ROCPRIM_400000_NS6detail17trampoline_kernelINS0_14default_configENS1_35adjacent_difference_config_selectorILb1EtEEZNS1_24adjacent_difference_implIS3_Lb1ELb0EPtS7_N6thrust23THRUST_200600_302600_NS4plusItEEEE10hipError_tPvRmT2_T3_mT4_P12ihipStream_tbEUlT_E_NS1_11comp_targetILNS1_3genE3ELNS1_11target_archE908ELNS1_3gpuE7ELNS1_3repE0EEENS1_30default_config_static_selectorELNS0_4arch9wavefront6targetE1EEEvT1_
	.globl	_ZN7rocprim17ROCPRIM_400000_NS6detail17trampoline_kernelINS0_14default_configENS1_35adjacent_difference_config_selectorILb1EtEEZNS1_24adjacent_difference_implIS3_Lb1ELb0EPtS7_N6thrust23THRUST_200600_302600_NS4plusItEEEE10hipError_tPvRmT2_T3_mT4_P12ihipStream_tbEUlT_E_NS1_11comp_targetILNS1_3genE3ELNS1_11target_archE908ELNS1_3gpuE7ELNS1_3repE0EEENS1_30default_config_static_selectorELNS0_4arch9wavefront6targetE1EEEvT1_
	.p2align	8
	.type	_ZN7rocprim17ROCPRIM_400000_NS6detail17trampoline_kernelINS0_14default_configENS1_35adjacent_difference_config_selectorILb1EtEEZNS1_24adjacent_difference_implIS3_Lb1ELb0EPtS7_N6thrust23THRUST_200600_302600_NS4plusItEEEE10hipError_tPvRmT2_T3_mT4_P12ihipStream_tbEUlT_E_NS1_11comp_targetILNS1_3genE3ELNS1_11target_archE908ELNS1_3gpuE7ELNS1_3repE0EEENS1_30default_config_static_selectorELNS0_4arch9wavefront6targetE1EEEvT1_,@function
_ZN7rocprim17ROCPRIM_400000_NS6detail17trampoline_kernelINS0_14default_configENS1_35adjacent_difference_config_selectorILb1EtEEZNS1_24adjacent_difference_implIS3_Lb1ELb0EPtS7_N6thrust23THRUST_200600_302600_NS4plusItEEEE10hipError_tPvRmT2_T3_mT4_P12ihipStream_tbEUlT_E_NS1_11comp_targetILNS1_3genE3ELNS1_11target_archE908ELNS1_3gpuE7ELNS1_3repE0EEENS1_30default_config_static_selectorELNS0_4arch9wavefront6targetE1EEEvT1_: ; @_ZN7rocprim17ROCPRIM_400000_NS6detail17trampoline_kernelINS0_14default_configENS1_35adjacent_difference_config_selectorILb1EtEEZNS1_24adjacent_difference_implIS3_Lb1ELb0EPtS7_N6thrust23THRUST_200600_302600_NS4plusItEEEE10hipError_tPvRmT2_T3_mT4_P12ihipStream_tbEUlT_E_NS1_11comp_targetILNS1_3genE3ELNS1_11target_archE908ELNS1_3gpuE7ELNS1_3repE0EEENS1_30default_config_static_selectorELNS0_4arch9wavefront6targetE1EEEvT1_
; %bb.0:
	.section	.rodata,"a",@progbits
	.p2align	6, 0x0
	.amdhsa_kernel _ZN7rocprim17ROCPRIM_400000_NS6detail17trampoline_kernelINS0_14default_configENS1_35adjacent_difference_config_selectorILb1EtEEZNS1_24adjacent_difference_implIS3_Lb1ELb0EPtS7_N6thrust23THRUST_200600_302600_NS4plusItEEEE10hipError_tPvRmT2_T3_mT4_P12ihipStream_tbEUlT_E_NS1_11comp_targetILNS1_3genE3ELNS1_11target_archE908ELNS1_3gpuE7ELNS1_3repE0EEENS1_30default_config_static_selectorELNS0_4arch9wavefront6targetE1EEEvT1_
		.amdhsa_group_segment_fixed_size 0
		.amdhsa_private_segment_fixed_size 0
		.amdhsa_kernarg_size 56
		.amdhsa_user_sgpr_count 2
		.amdhsa_user_sgpr_dispatch_ptr 0
		.amdhsa_user_sgpr_queue_ptr 0
		.amdhsa_user_sgpr_kernarg_segment_ptr 1
		.amdhsa_user_sgpr_dispatch_id 0
		.amdhsa_user_sgpr_kernarg_preload_length 0
		.amdhsa_user_sgpr_kernarg_preload_offset 0
		.amdhsa_user_sgpr_private_segment_size 0
		.amdhsa_uses_dynamic_stack 0
		.amdhsa_enable_private_segment 0
		.amdhsa_system_sgpr_workgroup_id_x 1
		.amdhsa_system_sgpr_workgroup_id_y 0
		.amdhsa_system_sgpr_workgroup_id_z 0
		.amdhsa_system_sgpr_workgroup_info 0
		.amdhsa_system_vgpr_workitem_id 0
		.amdhsa_next_free_vgpr 1
		.amdhsa_next_free_sgpr 0
		.amdhsa_accum_offset 4
		.amdhsa_reserve_vcc 0
		.amdhsa_float_round_mode_32 0
		.amdhsa_float_round_mode_16_64 0
		.amdhsa_float_denorm_mode_32 3
		.amdhsa_float_denorm_mode_16_64 3
		.amdhsa_dx10_clamp 1
		.amdhsa_ieee_mode 1
		.amdhsa_fp16_overflow 0
		.amdhsa_tg_split 0
		.amdhsa_exception_fp_ieee_invalid_op 0
		.amdhsa_exception_fp_denorm_src 0
		.amdhsa_exception_fp_ieee_div_zero 0
		.amdhsa_exception_fp_ieee_overflow 0
		.amdhsa_exception_fp_ieee_underflow 0
		.amdhsa_exception_fp_ieee_inexact 0
		.amdhsa_exception_int_div_zero 0
	.end_amdhsa_kernel
	.section	.text._ZN7rocprim17ROCPRIM_400000_NS6detail17trampoline_kernelINS0_14default_configENS1_35adjacent_difference_config_selectorILb1EtEEZNS1_24adjacent_difference_implIS3_Lb1ELb0EPtS7_N6thrust23THRUST_200600_302600_NS4plusItEEEE10hipError_tPvRmT2_T3_mT4_P12ihipStream_tbEUlT_E_NS1_11comp_targetILNS1_3genE3ELNS1_11target_archE908ELNS1_3gpuE7ELNS1_3repE0EEENS1_30default_config_static_selectorELNS0_4arch9wavefront6targetE1EEEvT1_,"axG",@progbits,_ZN7rocprim17ROCPRIM_400000_NS6detail17trampoline_kernelINS0_14default_configENS1_35adjacent_difference_config_selectorILb1EtEEZNS1_24adjacent_difference_implIS3_Lb1ELb0EPtS7_N6thrust23THRUST_200600_302600_NS4plusItEEEE10hipError_tPvRmT2_T3_mT4_P12ihipStream_tbEUlT_E_NS1_11comp_targetILNS1_3genE3ELNS1_11target_archE908ELNS1_3gpuE7ELNS1_3repE0EEENS1_30default_config_static_selectorELNS0_4arch9wavefront6targetE1EEEvT1_,comdat
.Lfunc_end360:
	.size	_ZN7rocprim17ROCPRIM_400000_NS6detail17trampoline_kernelINS0_14default_configENS1_35adjacent_difference_config_selectorILb1EtEEZNS1_24adjacent_difference_implIS3_Lb1ELb0EPtS7_N6thrust23THRUST_200600_302600_NS4plusItEEEE10hipError_tPvRmT2_T3_mT4_P12ihipStream_tbEUlT_E_NS1_11comp_targetILNS1_3genE3ELNS1_11target_archE908ELNS1_3gpuE7ELNS1_3repE0EEENS1_30default_config_static_selectorELNS0_4arch9wavefront6targetE1EEEvT1_, .Lfunc_end360-_ZN7rocprim17ROCPRIM_400000_NS6detail17trampoline_kernelINS0_14default_configENS1_35adjacent_difference_config_selectorILb1EtEEZNS1_24adjacent_difference_implIS3_Lb1ELb0EPtS7_N6thrust23THRUST_200600_302600_NS4plusItEEEE10hipError_tPvRmT2_T3_mT4_P12ihipStream_tbEUlT_E_NS1_11comp_targetILNS1_3genE3ELNS1_11target_archE908ELNS1_3gpuE7ELNS1_3repE0EEENS1_30default_config_static_selectorELNS0_4arch9wavefront6targetE1EEEvT1_
                                        ; -- End function
	.section	.AMDGPU.csdata,"",@progbits
; Kernel info:
; codeLenInByte = 0
; NumSgprs: 6
; NumVgprs: 0
; NumAgprs: 0
; TotalNumVgprs: 0
; ScratchSize: 0
; MemoryBound: 0
; FloatMode: 240
; IeeeMode: 1
; LDSByteSize: 0 bytes/workgroup (compile time only)
; SGPRBlocks: 0
; VGPRBlocks: 0
; NumSGPRsForWavesPerEU: 6
; NumVGPRsForWavesPerEU: 1
; AccumOffset: 4
; Occupancy: 8
; WaveLimiterHint : 0
; COMPUTE_PGM_RSRC2:SCRATCH_EN: 0
; COMPUTE_PGM_RSRC2:USER_SGPR: 2
; COMPUTE_PGM_RSRC2:TRAP_HANDLER: 0
; COMPUTE_PGM_RSRC2:TGID_X_EN: 1
; COMPUTE_PGM_RSRC2:TGID_Y_EN: 0
; COMPUTE_PGM_RSRC2:TGID_Z_EN: 0
; COMPUTE_PGM_RSRC2:TIDIG_COMP_CNT: 0
; COMPUTE_PGM_RSRC3_GFX90A:ACCUM_OFFSET: 0
; COMPUTE_PGM_RSRC3_GFX90A:TG_SPLIT: 0
	.section	.text._ZN7rocprim17ROCPRIM_400000_NS6detail17trampoline_kernelINS0_14default_configENS1_35adjacent_difference_config_selectorILb1EtEEZNS1_24adjacent_difference_implIS3_Lb1ELb0EPtS7_N6thrust23THRUST_200600_302600_NS4plusItEEEE10hipError_tPvRmT2_T3_mT4_P12ihipStream_tbEUlT_E_NS1_11comp_targetILNS1_3genE2ELNS1_11target_archE906ELNS1_3gpuE6ELNS1_3repE0EEENS1_30default_config_static_selectorELNS0_4arch9wavefront6targetE1EEEvT1_,"axG",@progbits,_ZN7rocprim17ROCPRIM_400000_NS6detail17trampoline_kernelINS0_14default_configENS1_35adjacent_difference_config_selectorILb1EtEEZNS1_24adjacent_difference_implIS3_Lb1ELb0EPtS7_N6thrust23THRUST_200600_302600_NS4plusItEEEE10hipError_tPvRmT2_T3_mT4_P12ihipStream_tbEUlT_E_NS1_11comp_targetILNS1_3genE2ELNS1_11target_archE906ELNS1_3gpuE6ELNS1_3repE0EEENS1_30default_config_static_selectorELNS0_4arch9wavefront6targetE1EEEvT1_,comdat
	.protected	_ZN7rocprim17ROCPRIM_400000_NS6detail17trampoline_kernelINS0_14default_configENS1_35adjacent_difference_config_selectorILb1EtEEZNS1_24adjacent_difference_implIS3_Lb1ELb0EPtS7_N6thrust23THRUST_200600_302600_NS4plusItEEEE10hipError_tPvRmT2_T3_mT4_P12ihipStream_tbEUlT_E_NS1_11comp_targetILNS1_3genE2ELNS1_11target_archE906ELNS1_3gpuE6ELNS1_3repE0EEENS1_30default_config_static_selectorELNS0_4arch9wavefront6targetE1EEEvT1_ ; -- Begin function _ZN7rocprim17ROCPRIM_400000_NS6detail17trampoline_kernelINS0_14default_configENS1_35adjacent_difference_config_selectorILb1EtEEZNS1_24adjacent_difference_implIS3_Lb1ELb0EPtS7_N6thrust23THRUST_200600_302600_NS4plusItEEEE10hipError_tPvRmT2_T3_mT4_P12ihipStream_tbEUlT_E_NS1_11comp_targetILNS1_3genE2ELNS1_11target_archE906ELNS1_3gpuE6ELNS1_3repE0EEENS1_30default_config_static_selectorELNS0_4arch9wavefront6targetE1EEEvT1_
	.globl	_ZN7rocprim17ROCPRIM_400000_NS6detail17trampoline_kernelINS0_14default_configENS1_35adjacent_difference_config_selectorILb1EtEEZNS1_24adjacent_difference_implIS3_Lb1ELb0EPtS7_N6thrust23THRUST_200600_302600_NS4plusItEEEE10hipError_tPvRmT2_T3_mT4_P12ihipStream_tbEUlT_E_NS1_11comp_targetILNS1_3genE2ELNS1_11target_archE906ELNS1_3gpuE6ELNS1_3repE0EEENS1_30default_config_static_selectorELNS0_4arch9wavefront6targetE1EEEvT1_
	.p2align	8
	.type	_ZN7rocprim17ROCPRIM_400000_NS6detail17trampoline_kernelINS0_14default_configENS1_35adjacent_difference_config_selectorILb1EtEEZNS1_24adjacent_difference_implIS3_Lb1ELb0EPtS7_N6thrust23THRUST_200600_302600_NS4plusItEEEE10hipError_tPvRmT2_T3_mT4_P12ihipStream_tbEUlT_E_NS1_11comp_targetILNS1_3genE2ELNS1_11target_archE906ELNS1_3gpuE6ELNS1_3repE0EEENS1_30default_config_static_selectorELNS0_4arch9wavefront6targetE1EEEvT1_,@function
_ZN7rocprim17ROCPRIM_400000_NS6detail17trampoline_kernelINS0_14default_configENS1_35adjacent_difference_config_selectorILb1EtEEZNS1_24adjacent_difference_implIS3_Lb1ELb0EPtS7_N6thrust23THRUST_200600_302600_NS4plusItEEEE10hipError_tPvRmT2_T3_mT4_P12ihipStream_tbEUlT_E_NS1_11comp_targetILNS1_3genE2ELNS1_11target_archE906ELNS1_3gpuE6ELNS1_3repE0EEENS1_30default_config_static_selectorELNS0_4arch9wavefront6targetE1EEEvT1_: ; @_ZN7rocprim17ROCPRIM_400000_NS6detail17trampoline_kernelINS0_14default_configENS1_35adjacent_difference_config_selectorILb1EtEEZNS1_24adjacent_difference_implIS3_Lb1ELb0EPtS7_N6thrust23THRUST_200600_302600_NS4plusItEEEE10hipError_tPvRmT2_T3_mT4_P12ihipStream_tbEUlT_E_NS1_11comp_targetILNS1_3genE2ELNS1_11target_archE906ELNS1_3gpuE6ELNS1_3repE0EEENS1_30default_config_static_selectorELNS0_4arch9wavefront6targetE1EEEvT1_
; %bb.0:
	.section	.rodata,"a",@progbits
	.p2align	6, 0x0
	.amdhsa_kernel _ZN7rocprim17ROCPRIM_400000_NS6detail17trampoline_kernelINS0_14default_configENS1_35adjacent_difference_config_selectorILb1EtEEZNS1_24adjacent_difference_implIS3_Lb1ELb0EPtS7_N6thrust23THRUST_200600_302600_NS4plusItEEEE10hipError_tPvRmT2_T3_mT4_P12ihipStream_tbEUlT_E_NS1_11comp_targetILNS1_3genE2ELNS1_11target_archE906ELNS1_3gpuE6ELNS1_3repE0EEENS1_30default_config_static_selectorELNS0_4arch9wavefront6targetE1EEEvT1_
		.amdhsa_group_segment_fixed_size 0
		.amdhsa_private_segment_fixed_size 0
		.amdhsa_kernarg_size 56
		.amdhsa_user_sgpr_count 2
		.amdhsa_user_sgpr_dispatch_ptr 0
		.amdhsa_user_sgpr_queue_ptr 0
		.amdhsa_user_sgpr_kernarg_segment_ptr 1
		.amdhsa_user_sgpr_dispatch_id 0
		.amdhsa_user_sgpr_kernarg_preload_length 0
		.amdhsa_user_sgpr_kernarg_preload_offset 0
		.amdhsa_user_sgpr_private_segment_size 0
		.amdhsa_uses_dynamic_stack 0
		.amdhsa_enable_private_segment 0
		.amdhsa_system_sgpr_workgroup_id_x 1
		.amdhsa_system_sgpr_workgroup_id_y 0
		.amdhsa_system_sgpr_workgroup_id_z 0
		.amdhsa_system_sgpr_workgroup_info 0
		.amdhsa_system_vgpr_workitem_id 0
		.amdhsa_next_free_vgpr 1
		.amdhsa_next_free_sgpr 0
		.amdhsa_accum_offset 4
		.amdhsa_reserve_vcc 0
		.amdhsa_float_round_mode_32 0
		.amdhsa_float_round_mode_16_64 0
		.amdhsa_float_denorm_mode_32 3
		.amdhsa_float_denorm_mode_16_64 3
		.amdhsa_dx10_clamp 1
		.amdhsa_ieee_mode 1
		.amdhsa_fp16_overflow 0
		.amdhsa_tg_split 0
		.amdhsa_exception_fp_ieee_invalid_op 0
		.amdhsa_exception_fp_denorm_src 0
		.amdhsa_exception_fp_ieee_div_zero 0
		.amdhsa_exception_fp_ieee_overflow 0
		.amdhsa_exception_fp_ieee_underflow 0
		.amdhsa_exception_fp_ieee_inexact 0
		.amdhsa_exception_int_div_zero 0
	.end_amdhsa_kernel
	.section	.text._ZN7rocprim17ROCPRIM_400000_NS6detail17trampoline_kernelINS0_14default_configENS1_35adjacent_difference_config_selectorILb1EtEEZNS1_24adjacent_difference_implIS3_Lb1ELb0EPtS7_N6thrust23THRUST_200600_302600_NS4plusItEEEE10hipError_tPvRmT2_T3_mT4_P12ihipStream_tbEUlT_E_NS1_11comp_targetILNS1_3genE2ELNS1_11target_archE906ELNS1_3gpuE6ELNS1_3repE0EEENS1_30default_config_static_selectorELNS0_4arch9wavefront6targetE1EEEvT1_,"axG",@progbits,_ZN7rocprim17ROCPRIM_400000_NS6detail17trampoline_kernelINS0_14default_configENS1_35adjacent_difference_config_selectorILb1EtEEZNS1_24adjacent_difference_implIS3_Lb1ELb0EPtS7_N6thrust23THRUST_200600_302600_NS4plusItEEEE10hipError_tPvRmT2_T3_mT4_P12ihipStream_tbEUlT_E_NS1_11comp_targetILNS1_3genE2ELNS1_11target_archE906ELNS1_3gpuE6ELNS1_3repE0EEENS1_30default_config_static_selectorELNS0_4arch9wavefront6targetE1EEEvT1_,comdat
.Lfunc_end361:
	.size	_ZN7rocprim17ROCPRIM_400000_NS6detail17trampoline_kernelINS0_14default_configENS1_35adjacent_difference_config_selectorILb1EtEEZNS1_24adjacent_difference_implIS3_Lb1ELb0EPtS7_N6thrust23THRUST_200600_302600_NS4plusItEEEE10hipError_tPvRmT2_T3_mT4_P12ihipStream_tbEUlT_E_NS1_11comp_targetILNS1_3genE2ELNS1_11target_archE906ELNS1_3gpuE6ELNS1_3repE0EEENS1_30default_config_static_selectorELNS0_4arch9wavefront6targetE1EEEvT1_, .Lfunc_end361-_ZN7rocprim17ROCPRIM_400000_NS6detail17trampoline_kernelINS0_14default_configENS1_35adjacent_difference_config_selectorILb1EtEEZNS1_24adjacent_difference_implIS3_Lb1ELb0EPtS7_N6thrust23THRUST_200600_302600_NS4plusItEEEE10hipError_tPvRmT2_T3_mT4_P12ihipStream_tbEUlT_E_NS1_11comp_targetILNS1_3genE2ELNS1_11target_archE906ELNS1_3gpuE6ELNS1_3repE0EEENS1_30default_config_static_selectorELNS0_4arch9wavefront6targetE1EEEvT1_
                                        ; -- End function
	.section	.AMDGPU.csdata,"",@progbits
; Kernel info:
; codeLenInByte = 0
; NumSgprs: 6
; NumVgprs: 0
; NumAgprs: 0
; TotalNumVgprs: 0
; ScratchSize: 0
; MemoryBound: 0
; FloatMode: 240
; IeeeMode: 1
; LDSByteSize: 0 bytes/workgroup (compile time only)
; SGPRBlocks: 0
; VGPRBlocks: 0
; NumSGPRsForWavesPerEU: 6
; NumVGPRsForWavesPerEU: 1
; AccumOffset: 4
; Occupancy: 8
; WaveLimiterHint : 0
; COMPUTE_PGM_RSRC2:SCRATCH_EN: 0
; COMPUTE_PGM_RSRC2:USER_SGPR: 2
; COMPUTE_PGM_RSRC2:TRAP_HANDLER: 0
; COMPUTE_PGM_RSRC2:TGID_X_EN: 1
; COMPUTE_PGM_RSRC2:TGID_Y_EN: 0
; COMPUTE_PGM_RSRC2:TGID_Z_EN: 0
; COMPUTE_PGM_RSRC2:TIDIG_COMP_CNT: 0
; COMPUTE_PGM_RSRC3_GFX90A:ACCUM_OFFSET: 0
; COMPUTE_PGM_RSRC3_GFX90A:TG_SPLIT: 0
	.section	.text._ZN7rocprim17ROCPRIM_400000_NS6detail17trampoline_kernelINS0_14default_configENS1_35adjacent_difference_config_selectorILb1EtEEZNS1_24adjacent_difference_implIS3_Lb1ELb0EPtS7_N6thrust23THRUST_200600_302600_NS4plusItEEEE10hipError_tPvRmT2_T3_mT4_P12ihipStream_tbEUlT_E_NS1_11comp_targetILNS1_3genE9ELNS1_11target_archE1100ELNS1_3gpuE3ELNS1_3repE0EEENS1_30default_config_static_selectorELNS0_4arch9wavefront6targetE1EEEvT1_,"axG",@progbits,_ZN7rocprim17ROCPRIM_400000_NS6detail17trampoline_kernelINS0_14default_configENS1_35adjacent_difference_config_selectorILb1EtEEZNS1_24adjacent_difference_implIS3_Lb1ELb0EPtS7_N6thrust23THRUST_200600_302600_NS4plusItEEEE10hipError_tPvRmT2_T3_mT4_P12ihipStream_tbEUlT_E_NS1_11comp_targetILNS1_3genE9ELNS1_11target_archE1100ELNS1_3gpuE3ELNS1_3repE0EEENS1_30default_config_static_selectorELNS0_4arch9wavefront6targetE1EEEvT1_,comdat
	.protected	_ZN7rocprim17ROCPRIM_400000_NS6detail17trampoline_kernelINS0_14default_configENS1_35adjacent_difference_config_selectorILb1EtEEZNS1_24adjacent_difference_implIS3_Lb1ELb0EPtS7_N6thrust23THRUST_200600_302600_NS4plusItEEEE10hipError_tPvRmT2_T3_mT4_P12ihipStream_tbEUlT_E_NS1_11comp_targetILNS1_3genE9ELNS1_11target_archE1100ELNS1_3gpuE3ELNS1_3repE0EEENS1_30default_config_static_selectorELNS0_4arch9wavefront6targetE1EEEvT1_ ; -- Begin function _ZN7rocprim17ROCPRIM_400000_NS6detail17trampoline_kernelINS0_14default_configENS1_35adjacent_difference_config_selectorILb1EtEEZNS1_24adjacent_difference_implIS3_Lb1ELb0EPtS7_N6thrust23THRUST_200600_302600_NS4plusItEEEE10hipError_tPvRmT2_T3_mT4_P12ihipStream_tbEUlT_E_NS1_11comp_targetILNS1_3genE9ELNS1_11target_archE1100ELNS1_3gpuE3ELNS1_3repE0EEENS1_30default_config_static_selectorELNS0_4arch9wavefront6targetE1EEEvT1_
	.globl	_ZN7rocprim17ROCPRIM_400000_NS6detail17trampoline_kernelINS0_14default_configENS1_35adjacent_difference_config_selectorILb1EtEEZNS1_24adjacent_difference_implIS3_Lb1ELb0EPtS7_N6thrust23THRUST_200600_302600_NS4plusItEEEE10hipError_tPvRmT2_T3_mT4_P12ihipStream_tbEUlT_E_NS1_11comp_targetILNS1_3genE9ELNS1_11target_archE1100ELNS1_3gpuE3ELNS1_3repE0EEENS1_30default_config_static_selectorELNS0_4arch9wavefront6targetE1EEEvT1_
	.p2align	8
	.type	_ZN7rocprim17ROCPRIM_400000_NS6detail17trampoline_kernelINS0_14default_configENS1_35adjacent_difference_config_selectorILb1EtEEZNS1_24adjacent_difference_implIS3_Lb1ELb0EPtS7_N6thrust23THRUST_200600_302600_NS4plusItEEEE10hipError_tPvRmT2_T3_mT4_P12ihipStream_tbEUlT_E_NS1_11comp_targetILNS1_3genE9ELNS1_11target_archE1100ELNS1_3gpuE3ELNS1_3repE0EEENS1_30default_config_static_selectorELNS0_4arch9wavefront6targetE1EEEvT1_,@function
_ZN7rocprim17ROCPRIM_400000_NS6detail17trampoline_kernelINS0_14default_configENS1_35adjacent_difference_config_selectorILb1EtEEZNS1_24adjacent_difference_implIS3_Lb1ELb0EPtS7_N6thrust23THRUST_200600_302600_NS4plusItEEEE10hipError_tPvRmT2_T3_mT4_P12ihipStream_tbEUlT_E_NS1_11comp_targetILNS1_3genE9ELNS1_11target_archE1100ELNS1_3gpuE3ELNS1_3repE0EEENS1_30default_config_static_selectorELNS0_4arch9wavefront6targetE1EEEvT1_: ; @_ZN7rocprim17ROCPRIM_400000_NS6detail17trampoline_kernelINS0_14default_configENS1_35adjacent_difference_config_selectorILb1EtEEZNS1_24adjacent_difference_implIS3_Lb1ELb0EPtS7_N6thrust23THRUST_200600_302600_NS4plusItEEEE10hipError_tPvRmT2_T3_mT4_P12ihipStream_tbEUlT_E_NS1_11comp_targetILNS1_3genE9ELNS1_11target_archE1100ELNS1_3gpuE3ELNS1_3repE0EEENS1_30default_config_static_selectorELNS0_4arch9wavefront6targetE1EEEvT1_
; %bb.0:
	.section	.rodata,"a",@progbits
	.p2align	6, 0x0
	.amdhsa_kernel _ZN7rocprim17ROCPRIM_400000_NS6detail17trampoline_kernelINS0_14default_configENS1_35adjacent_difference_config_selectorILb1EtEEZNS1_24adjacent_difference_implIS3_Lb1ELb0EPtS7_N6thrust23THRUST_200600_302600_NS4plusItEEEE10hipError_tPvRmT2_T3_mT4_P12ihipStream_tbEUlT_E_NS1_11comp_targetILNS1_3genE9ELNS1_11target_archE1100ELNS1_3gpuE3ELNS1_3repE0EEENS1_30default_config_static_selectorELNS0_4arch9wavefront6targetE1EEEvT1_
		.amdhsa_group_segment_fixed_size 0
		.amdhsa_private_segment_fixed_size 0
		.amdhsa_kernarg_size 56
		.amdhsa_user_sgpr_count 2
		.amdhsa_user_sgpr_dispatch_ptr 0
		.amdhsa_user_sgpr_queue_ptr 0
		.amdhsa_user_sgpr_kernarg_segment_ptr 1
		.amdhsa_user_sgpr_dispatch_id 0
		.amdhsa_user_sgpr_kernarg_preload_length 0
		.amdhsa_user_sgpr_kernarg_preload_offset 0
		.amdhsa_user_sgpr_private_segment_size 0
		.amdhsa_uses_dynamic_stack 0
		.amdhsa_enable_private_segment 0
		.amdhsa_system_sgpr_workgroup_id_x 1
		.amdhsa_system_sgpr_workgroup_id_y 0
		.amdhsa_system_sgpr_workgroup_id_z 0
		.amdhsa_system_sgpr_workgroup_info 0
		.amdhsa_system_vgpr_workitem_id 0
		.amdhsa_next_free_vgpr 1
		.amdhsa_next_free_sgpr 0
		.amdhsa_accum_offset 4
		.amdhsa_reserve_vcc 0
		.amdhsa_float_round_mode_32 0
		.amdhsa_float_round_mode_16_64 0
		.amdhsa_float_denorm_mode_32 3
		.amdhsa_float_denorm_mode_16_64 3
		.amdhsa_dx10_clamp 1
		.amdhsa_ieee_mode 1
		.amdhsa_fp16_overflow 0
		.amdhsa_tg_split 0
		.amdhsa_exception_fp_ieee_invalid_op 0
		.amdhsa_exception_fp_denorm_src 0
		.amdhsa_exception_fp_ieee_div_zero 0
		.amdhsa_exception_fp_ieee_overflow 0
		.amdhsa_exception_fp_ieee_underflow 0
		.amdhsa_exception_fp_ieee_inexact 0
		.amdhsa_exception_int_div_zero 0
	.end_amdhsa_kernel
	.section	.text._ZN7rocprim17ROCPRIM_400000_NS6detail17trampoline_kernelINS0_14default_configENS1_35adjacent_difference_config_selectorILb1EtEEZNS1_24adjacent_difference_implIS3_Lb1ELb0EPtS7_N6thrust23THRUST_200600_302600_NS4plusItEEEE10hipError_tPvRmT2_T3_mT4_P12ihipStream_tbEUlT_E_NS1_11comp_targetILNS1_3genE9ELNS1_11target_archE1100ELNS1_3gpuE3ELNS1_3repE0EEENS1_30default_config_static_selectorELNS0_4arch9wavefront6targetE1EEEvT1_,"axG",@progbits,_ZN7rocprim17ROCPRIM_400000_NS6detail17trampoline_kernelINS0_14default_configENS1_35adjacent_difference_config_selectorILb1EtEEZNS1_24adjacent_difference_implIS3_Lb1ELb0EPtS7_N6thrust23THRUST_200600_302600_NS4plusItEEEE10hipError_tPvRmT2_T3_mT4_P12ihipStream_tbEUlT_E_NS1_11comp_targetILNS1_3genE9ELNS1_11target_archE1100ELNS1_3gpuE3ELNS1_3repE0EEENS1_30default_config_static_selectorELNS0_4arch9wavefront6targetE1EEEvT1_,comdat
.Lfunc_end362:
	.size	_ZN7rocprim17ROCPRIM_400000_NS6detail17trampoline_kernelINS0_14default_configENS1_35adjacent_difference_config_selectorILb1EtEEZNS1_24adjacent_difference_implIS3_Lb1ELb0EPtS7_N6thrust23THRUST_200600_302600_NS4plusItEEEE10hipError_tPvRmT2_T3_mT4_P12ihipStream_tbEUlT_E_NS1_11comp_targetILNS1_3genE9ELNS1_11target_archE1100ELNS1_3gpuE3ELNS1_3repE0EEENS1_30default_config_static_selectorELNS0_4arch9wavefront6targetE1EEEvT1_, .Lfunc_end362-_ZN7rocprim17ROCPRIM_400000_NS6detail17trampoline_kernelINS0_14default_configENS1_35adjacent_difference_config_selectorILb1EtEEZNS1_24adjacent_difference_implIS3_Lb1ELb0EPtS7_N6thrust23THRUST_200600_302600_NS4plusItEEEE10hipError_tPvRmT2_T3_mT4_P12ihipStream_tbEUlT_E_NS1_11comp_targetILNS1_3genE9ELNS1_11target_archE1100ELNS1_3gpuE3ELNS1_3repE0EEENS1_30default_config_static_selectorELNS0_4arch9wavefront6targetE1EEEvT1_
                                        ; -- End function
	.section	.AMDGPU.csdata,"",@progbits
; Kernel info:
; codeLenInByte = 0
; NumSgprs: 6
; NumVgprs: 0
; NumAgprs: 0
; TotalNumVgprs: 0
; ScratchSize: 0
; MemoryBound: 0
; FloatMode: 240
; IeeeMode: 1
; LDSByteSize: 0 bytes/workgroup (compile time only)
; SGPRBlocks: 0
; VGPRBlocks: 0
; NumSGPRsForWavesPerEU: 6
; NumVGPRsForWavesPerEU: 1
; AccumOffset: 4
; Occupancy: 8
; WaveLimiterHint : 0
; COMPUTE_PGM_RSRC2:SCRATCH_EN: 0
; COMPUTE_PGM_RSRC2:USER_SGPR: 2
; COMPUTE_PGM_RSRC2:TRAP_HANDLER: 0
; COMPUTE_PGM_RSRC2:TGID_X_EN: 1
; COMPUTE_PGM_RSRC2:TGID_Y_EN: 0
; COMPUTE_PGM_RSRC2:TGID_Z_EN: 0
; COMPUTE_PGM_RSRC2:TIDIG_COMP_CNT: 0
; COMPUTE_PGM_RSRC3_GFX90A:ACCUM_OFFSET: 0
; COMPUTE_PGM_RSRC3_GFX90A:TG_SPLIT: 0
	.section	.text._ZN7rocprim17ROCPRIM_400000_NS6detail17trampoline_kernelINS0_14default_configENS1_35adjacent_difference_config_selectorILb1EtEEZNS1_24adjacent_difference_implIS3_Lb1ELb0EPtS7_N6thrust23THRUST_200600_302600_NS4plusItEEEE10hipError_tPvRmT2_T3_mT4_P12ihipStream_tbEUlT_E_NS1_11comp_targetILNS1_3genE8ELNS1_11target_archE1030ELNS1_3gpuE2ELNS1_3repE0EEENS1_30default_config_static_selectorELNS0_4arch9wavefront6targetE1EEEvT1_,"axG",@progbits,_ZN7rocprim17ROCPRIM_400000_NS6detail17trampoline_kernelINS0_14default_configENS1_35adjacent_difference_config_selectorILb1EtEEZNS1_24adjacent_difference_implIS3_Lb1ELb0EPtS7_N6thrust23THRUST_200600_302600_NS4plusItEEEE10hipError_tPvRmT2_T3_mT4_P12ihipStream_tbEUlT_E_NS1_11comp_targetILNS1_3genE8ELNS1_11target_archE1030ELNS1_3gpuE2ELNS1_3repE0EEENS1_30default_config_static_selectorELNS0_4arch9wavefront6targetE1EEEvT1_,comdat
	.protected	_ZN7rocprim17ROCPRIM_400000_NS6detail17trampoline_kernelINS0_14default_configENS1_35adjacent_difference_config_selectorILb1EtEEZNS1_24adjacent_difference_implIS3_Lb1ELb0EPtS7_N6thrust23THRUST_200600_302600_NS4plusItEEEE10hipError_tPvRmT2_T3_mT4_P12ihipStream_tbEUlT_E_NS1_11comp_targetILNS1_3genE8ELNS1_11target_archE1030ELNS1_3gpuE2ELNS1_3repE0EEENS1_30default_config_static_selectorELNS0_4arch9wavefront6targetE1EEEvT1_ ; -- Begin function _ZN7rocprim17ROCPRIM_400000_NS6detail17trampoline_kernelINS0_14default_configENS1_35adjacent_difference_config_selectorILb1EtEEZNS1_24adjacent_difference_implIS3_Lb1ELb0EPtS7_N6thrust23THRUST_200600_302600_NS4plusItEEEE10hipError_tPvRmT2_T3_mT4_P12ihipStream_tbEUlT_E_NS1_11comp_targetILNS1_3genE8ELNS1_11target_archE1030ELNS1_3gpuE2ELNS1_3repE0EEENS1_30default_config_static_selectorELNS0_4arch9wavefront6targetE1EEEvT1_
	.globl	_ZN7rocprim17ROCPRIM_400000_NS6detail17trampoline_kernelINS0_14default_configENS1_35adjacent_difference_config_selectorILb1EtEEZNS1_24adjacent_difference_implIS3_Lb1ELb0EPtS7_N6thrust23THRUST_200600_302600_NS4plusItEEEE10hipError_tPvRmT2_T3_mT4_P12ihipStream_tbEUlT_E_NS1_11comp_targetILNS1_3genE8ELNS1_11target_archE1030ELNS1_3gpuE2ELNS1_3repE0EEENS1_30default_config_static_selectorELNS0_4arch9wavefront6targetE1EEEvT1_
	.p2align	8
	.type	_ZN7rocprim17ROCPRIM_400000_NS6detail17trampoline_kernelINS0_14default_configENS1_35adjacent_difference_config_selectorILb1EtEEZNS1_24adjacent_difference_implIS3_Lb1ELb0EPtS7_N6thrust23THRUST_200600_302600_NS4plusItEEEE10hipError_tPvRmT2_T3_mT4_P12ihipStream_tbEUlT_E_NS1_11comp_targetILNS1_3genE8ELNS1_11target_archE1030ELNS1_3gpuE2ELNS1_3repE0EEENS1_30default_config_static_selectorELNS0_4arch9wavefront6targetE1EEEvT1_,@function
_ZN7rocprim17ROCPRIM_400000_NS6detail17trampoline_kernelINS0_14default_configENS1_35adjacent_difference_config_selectorILb1EtEEZNS1_24adjacent_difference_implIS3_Lb1ELb0EPtS7_N6thrust23THRUST_200600_302600_NS4plusItEEEE10hipError_tPvRmT2_T3_mT4_P12ihipStream_tbEUlT_E_NS1_11comp_targetILNS1_3genE8ELNS1_11target_archE1030ELNS1_3gpuE2ELNS1_3repE0EEENS1_30default_config_static_selectorELNS0_4arch9wavefront6targetE1EEEvT1_: ; @_ZN7rocprim17ROCPRIM_400000_NS6detail17trampoline_kernelINS0_14default_configENS1_35adjacent_difference_config_selectorILb1EtEEZNS1_24adjacent_difference_implIS3_Lb1ELb0EPtS7_N6thrust23THRUST_200600_302600_NS4plusItEEEE10hipError_tPvRmT2_T3_mT4_P12ihipStream_tbEUlT_E_NS1_11comp_targetILNS1_3genE8ELNS1_11target_archE1030ELNS1_3gpuE2ELNS1_3repE0EEENS1_30default_config_static_selectorELNS0_4arch9wavefront6targetE1EEEvT1_
; %bb.0:
	.section	.rodata,"a",@progbits
	.p2align	6, 0x0
	.amdhsa_kernel _ZN7rocprim17ROCPRIM_400000_NS6detail17trampoline_kernelINS0_14default_configENS1_35adjacent_difference_config_selectorILb1EtEEZNS1_24adjacent_difference_implIS3_Lb1ELb0EPtS7_N6thrust23THRUST_200600_302600_NS4plusItEEEE10hipError_tPvRmT2_T3_mT4_P12ihipStream_tbEUlT_E_NS1_11comp_targetILNS1_3genE8ELNS1_11target_archE1030ELNS1_3gpuE2ELNS1_3repE0EEENS1_30default_config_static_selectorELNS0_4arch9wavefront6targetE1EEEvT1_
		.amdhsa_group_segment_fixed_size 0
		.amdhsa_private_segment_fixed_size 0
		.amdhsa_kernarg_size 56
		.amdhsa_user_sgpr_count 2
		.amdhsa_user_sgpr_dispatch_ptr 0
		.amdhsa_user_sgpr_queue_ptr 0
		.amdhsa_user_sgpr_kernarg_segment_ptr 1
		.amdhsa_user_sgpr_dispatch_id 0
		.amdhsa_user_sgpr_kernarg_preload_length 0
		.amdhsa_user_sgpr_kernarg_preload_offset 0
		.amdhsa_user_sgpr_private_segment_size 0
		.amdhsa_uses_dynamic_stack 0
		.amdhsa_enable_private_segment 0
		.amdhsa_system_sgpr_workgroup_id_x 1
		.amdhsa_system_sgpr_workgroup_id_y 0
		.amdhsa_system_sgpr_workgroup_id_z 0
		.amdhsa_system_sgpr_workgroup_info 0
		.amdhsa_system_vgpr_workitem_id 0
		.amdhsa_next_free_vgpr 1
		.amdhsa_next_free_sgpr 0
		.amdhsa_accum_offset 4
		.amdhsa_reserve_vcc 0
		.amdhsa_float_round_mode_32 0
		.amdhsa_float_round_mode_16_64 0
		.amdhsa_float_denorm_mode_32 3
		.amdhsa_float_denorm_mode_16_64 3
		.amdhsa_dx10_clamp 1
		.amdhsa_ieee_mode 1
		.amdhsa_fp16_overflow 0
		.amdhsa_tg_split 0
		.amdhsa_exception_fp_ieee_invalid_op 0
		.amdhsa_exception_fp_denorm_src 0
		.amdhsa_exception_fp_ieee_div_zero 0
		.amdhsa_exception_fp_ieee_overflow 0
		.amdhsa_exception_fp_ieee_underflow 0
		.amdhsa_exception_fp_ieee_inexact 0
		.amdhsa_exception_int_div_zero 0
	.end_amdhsa_kernel
	.section	.text._ZN7rocprim17ROCPRIM_400000_NS6detail17trampoline_kernelINS0_14default_configENS1_35adjacent_difference_config_selectorILb1EtEEZNS1_24adjacent_difference_implIS3_Lb1ELb0EPtS7_N6thrust23THRUST_200600_302600_NS4plusItEEEE10hipError_tPvRmT2_T3_mT4_P12ihipStream_tbEUlT_E_NS1_11comp_targetILNS1_3genE8ELNS1_11target_archE1030ELNS1_3gpuE2ELNS1_3repE0EEENS1_30default_config_static_selectorELNS0_4arch9wavefront6targetE1EEEvT1_,"axG",@progbits,_ZN7rocprim17ROCPRIM_400000_NS6detail17trampoline_kernelINS0_14default_configENS1_35adjacent_difference_config_selectorILb1EtEEZNS1_24adjacent_difference_implIS3_Lb1ELb0EPtS7_N6thrust23THRUST_200600_302600_NS4plusItEEEE10hipError_tPvRmT2_T3_mT4_P12ihipStream_tbEUlT_E_NS1_11comp_targetILNS1_3genE8ELNS1_11target_archE1030ELNS1_3gpuE2ELNS1_3repE0EEENS1_30default_config_static_selectorELNS0_4arch9wavefront6targetE1EEEvT1_,comdat
.Lfunc_end363:
	.size	_ZN7rocprim17ROCPRIM_400000_NS6detail17trampoline_kernelINS0_14default_configENS1_35adjacent_difference_config_selectorILb1EtEEZNS1_24adjacent_difference_implIS3_Lb1ELb0EPtS7_N6thrust23THRUST_200600_302600_NS4plusItEEEE10hipError_tPvRmT2_T3_mT4_P12ihipStream_tbEUlT_E_NS1_11comp_targetILNS1_3genE8ELNS1_11target_archE1030ELNS1_3gpuE2ELNS1_3repE0EEENS1_30default_config_static_selectorELNS0_4arch9wavefront6targetE1EEEvT1_, .Lfunc_end363-_ZN7rocprim17ROCPRIM_400000_NS6detail17trampoline_kernelINS0_14default_configENS1_35adjacent_difference_config_selectorILb1EtEEZNS1_24adjacent_difference_implIS3_Lb1ELb0EPtS7_N6thrust23THRUST_200600_302600_NS4plusItEEEE10hipError_tPvRmT2_T3_mT4_P12ihipStream_tbEUlT_E_NS1_11comp_targetILNS1_3genE8ELNS1_11target_archE1030ELNS1_3gpuE2ELNS1_3repE0EEENS1_30default_config_static_selectorELNS0_4arch9wavefront6targetE1EEEvT1_
                                        ; -- End function
	.section	.AMDGPU.csdata,"",@progbits
; Kernel info:
; codeLenInByte = 0
; NumSgprs: 6
; NumVgprs: 0
; NumAgprs: 0
; TotalNumVgprs: 0
; ScratchSize: 0
; MemoryBound: 0
; FloatMode: 240
; IeeeMode: 1
; LDSByteSize: 0 bytes/workgroup (compile time only)
; SGPRBlocks: 0
; VGPRBlocks: 0
; NumSGPRsForWavesPerEU: 6
; NumVGPRsForWavesPerEU: 1
; AccumOffset: 4
; Occupancy: 8
; WaveLimiterHint : 0
; COMPUTE_PGM_RSRC2:SCRATCH_EN: 0
; COMPUTE_PGM_RSRC2:USER_SGPR: 2
; COMPUTE_PGM_RSRC2:TRAP_HANDLER: 0
; COMPUTE_PGM_RSRC2:TGID_X_EN: 1
; COMPUTE_PGM_RSRC2:TGID_Y_EN: 0
; COMPUTE_PGM_RSRC2:TGID_Z_EN: 0
; COMPUTE_PGM_RSRC2:TIDIG_COMP_CNT: 0
; COMPUTE_PGM_RSRC3_GFX90A:ACCUM_OFFSET: 0
; COMPUTE_PGM_RSRC3_GFX90A:TG_SPLIT: 0
	.section	.text._ZN6thrust23THRUST_200600_302600_NS11hip_rocprim14__parallel_for6kernelILj256ENS1_20__uninitialized_fill7functorINS0_10device_ptrIjEEjEEmLj1EEEvT0_T1_SA_,"axG",@progbits,_ZN6thrust23THRUST_200600_302600_NS11hip_rocprim14__parallel_for6kernelILj256ENS1_20__uninitialized_fill7functorINS0_10device_ptrIjEEjEEmLj1EEEvT0_T1_SA_,comdat
	.protected	_ZN6thrust23THRUST_200600_302600_NS11hip_rocprim14__parallel_for6kernelILj256ENS1_20__uninitialized_fill7functorINS0_10device_ptrIjEEjEEmLj1EEEvT0_T1_SA_ ; -- Begin function _ZN6thrust23THRUST_200600_302600_NS11hip_rocprim14__parallel_for6kernelILj256ENS1_20__uninitialized_fill7functorINS0_10device_ptrIjEEjEEmLj1EEEvT0_T1_SA_
	.globl	_ZN6thrust23THRUST_200600_302600_NS11hip_rocprim14__parallel_for6kernelILj256ENS1_20__uninitialized_fill7functorINS0_10device_ptrIjEEjEEmLj1EEEvT0_T1_SA_
	.p2align	8
	.type	_ZN6thrust23THRUST_200600_302600_NS11hip_rocprim14__parallel_for6kernelILj256ENS1_20__uninitialized_fill7functorINS0_10device_ptrIjEEjEEmLj1EEEvT0_T1_SA_,@function
_ZN6thrust23THRUST_200600_302600_NS11hip_rocprim14__parallel_for6kernelILj256ENS1_20__uninitialized_fill7functorINS0_10device_ptrIjEEjEEmLj1EEEvT0_T1_SA_: ; @_ZN6thrust23THRUST_200600_302600_NS11hip_rocprim14__parallel_for6kernelILj256ENS1_20__uninitialized_fill7functorINS0_10device_ptrIjEEjEEmLj1EEEvT0_T1_SA_
; %bb.0:
	s_load_dwordx4 s[4:7], s[0:1], 0x10
	s_lshl_b32 s2, s2, 8
	v_mov_b64_e32 v[2:3], 0x100
	s_waitcnt lgkmcnt(0)
	s_add_u32 s2, s2, s6
	s_addc_u32 s3, 0, s7
	s_sub_u32 s4, s4, s2
	s_subb_u32 s5, s5, s3
	v_cmp_lt_u64_e32 vcc, s[4:5], v[2:3]
	s_cbranch_vccz .LBB364_2
; %bb.1:
	v_cmp_gt_u32_e32 vcc, s4, v0
	s_and_b64 s[4:5], vcc, exec
	s_cbranch_execz .LBB364_3
	s_branch .LBB364_4
.LBB364_2:
	s_mov_b64 s[4:5], 0
.LBB364_3:
	s_or_b64 s[4:5], s[4:5], exec
.LBB364_4:
	s_and_saveexec_b64 s[6:7], s[4:5]
	s_cbranch_execnz .LBB364_6
; %bb.5:
	s_endpgm
.LBB364_6:
	s_load_dwordx2 s[4:5], s[0:1], 0x0
	s_load_dword s6, s[0:1], 0x8
	s_lshl_b64 s[0:1], s[2:3], 2
	v_mov_b32_e32 v1, 0
	s_waitcnt lgkmcnt(0)
	s_add_u32 s0, s4, s0
	s_addc_u32 s1, s5, s1
	v_lshl_add_u64 v[0:1], v[0:1], 2, s[0:1]
	v_mov_b32_e32 v2, s6
	flat_store_dword v[0:1], v2
	s_endpgm
	.section	.rodata,"a",@progbits
	.p2align	6, 0x0
	.amdhsa_kernel _ZN6thrust23THRUST_200600_302600_NS11hip_rocprim14__parallel_for6kernelILj256ENS1_20__uninitialized_fill7functorINS0_10device_ptrIjEEjEEmLj1EEEvT0_T1_SA_
		.amdhsa_group_segment_fixed_size 0
		.amdhsa_private_segment_fixed_size 0
		.amdhsa_kernarg_size 32
		.amdhsa_user_sgpr_count 2
		.amdhsa_user_sgpr_dispatch_ptr 0
		.amdhsa_user_sgpr_queue_ptr 0
		.amdhsa_user_sgpr_kernarg_segment_ptr 1
		.amdhsa_user_sgpr_dispatch_id 0
		.amdhsa_user_sgpr_kernarg_preload_length 0
		.amdhsa_user_sgpr_kernarg_preload_offset 0
		.amdhsa_user_sgpr_private_segment_size 0
		.amdhsa_uses_dynamic_stack 0
		.amdhsa_enable_private_segment 0
		.amdhsa_system_sgpr_workgroup_id_x 1
		.amdhsa_system_sgpr_workgroup_id_y 0
		.amdhsa_system_sgpr_workgroup_id_z 0
		.amdhsa_system_sgpr_workgroup_info 0
		.amdhsa_system_vgpr_workitem_id 0
		.amdhsa_next_free_vgpr 4
		.amdhsa_next_free_sgpr 8
		.amdhsa_accum_offset 4
		.amdhsa_reserve_vcc 1
		.amdhsa_float_round_mode_32 0
		.amdhsa_float_round_mode_16_64 0
		.amdhsa_float_denorm_mode_32 3
		.amdhsa_float_denorm_mode_16_64 3
		.amdhsa_dx10_clamp 1
		.amdhsa_ieee_mode 1
		.amdhsa_fp16_overflow 0
		.amdhsa_tg_split 0
		.amdhsa_exception_fp_ieee_invalid_op 0
		.amdhsa_exception_fp_denorm_src 0
		.amdhsa_exception_fp_ieee_div_zero 0
		.amdhsa_exception_fp_ieee_overflow 0
		.amdhsa_exception_fp_ieee_underflow 0
		.amdhsa_exception_fp_ieee_inexact 0
		.amdhsa_exception_int_div_zero 0
	.end_amdhsa_kernel
	.section	.text._ZN6thrust23THRUST_200600_302600_NS11hip_rocprim14__parallel_for6kernelILj256ENS1_20__uninitialized_fill7functorINS0_10device_ptrIjEEjEEmLj1EEEvT0_T1_SA_,"axG",@progbits,_ZN6thrust23THRUST_200600_302600_NS11hip_rocprim14__parallel_for6kernelILj256ENS1_20__uninitialized_fill7functorINS0_10device_ptrIjEEjEEmLj1EEEvT0_T1_SA_,comdat
.Lfunc_end364:
	.size	_ZN6thrust23THRUST_200600_302600_NS11hip_rocprim14__parallel_for6kernelILj256ENS1_20__uninitialized_fill7functorINS0_10device_ptrIjEEjEEmLj1EEEvT0_T1_SA_, .Lfunc_end364-_ZN6thrust23THRUST_200600_302600_NS11hip_rocprim14__parallel_for6kernelILj256ENS1_20__uninitialized_fill7functorINS0_10device_ptrIjEEjEEmLj1EEEvT0_T1_SA_
                                        ; -- End function
	.section	.AMDGPU.csdata,"",@progbits
; Kernel info:
; codeLenInByte = 144
; NumSgprs: 14
; NumVgprs: 4
; NumAgprs: 0
; TotalNumVgprs: 4
; ScratchSize: 0
; MemoryBound: 0
; FloatMode: 240
; IeeeMode: 1
; LDSByteSize: 0 bytes/workgroup (compile time only)
; SGPRBlocks: 1
; VGPRBlocks: 0
; NumSGPRsForWavesPerEU: 14
; NumVGPRsForWavesPerEU: 4
; AccumOffset: 4
; Occupancy: 8
; WaveLimiterHint : 0
; COMPUTE_PGM_RSRC2:SCRATCH_EN: 0
; COMPUTE_PGM_RSRC2:USER_SGPR: 2
; COMPUTE_PGM_RSRC2:TRAP_HANDLER: 0
; COMPUTE_PGM_RSRC2:TGID_X_EN: 1
; COMPUTE_PGM_RSRC2:TGID_Y_EN: 0
; COMPUTE_PGM_RSRC2:TGID_Z_EN: 0
; COMPUTE_PGM_RSRC2:TIDIG_COMP_CNT: 0
; COMPUTE_PGM_RSRC3_GFX90A:ACCUM_OFFSET: 0
; COMPUTE_PGM_RSRC3_GFX90A:TG_SPLIT: 0
	.section	.text._ZN7rocprim17ROCPRIM_400000_NS6detail17trampoline_kernelINS0_14default_configENS1_35adjacent_difference_config_selectorILb0EjEEZNS1_24adjacent_difference_implIS3_Lb0ELb0EPjS7_N6thrust23THRUST_200600_302600_NS5minusIjEEEE10hipError_tPvRmT2_T3_mT4_P12ihipStream_tbEUlT_E_NS1_11comp_targetILNS1_3genE0ELNS1_11target_archE4294967295ELNS1_3gpuE0ELNS1_3repE0EEENS1_30default_config_static_selectorELNS0_4arch9wavefront6targetE1EEEvT1_,"axG",@progbits,_ZN7rocprim17ROCPRIM_400000_NS6detail17trampoline_kernelINS0_14default_configENS1_35adjacent_difference_config_selectorILb0EjEEZNS1_24adjacent_difference_implIS3_Lb0ELb0EPjS7_N6thrust23THRUST_200600_302600_NS5minusIjEEEE10hipError_tPvRmT2_T3_mT4_P12ihipStream_tbEUlT_E_NS1_11comp_targetILNS1_3genE0ELNS1_11target_archE4294967295ELNS1_3gpuE0ELNS1_3repE0EEENS1_30default_config_static_selectorELNS0_4arch9wavefront6targetE1EEEvT1_,comdat
	.protected	_ZN7rocprim17ROCPRIM_400000_NS6detail17trampoline_kernelINS0_14default_configENS1_35adjacent_difference_config_selectorILb0EjEEZNS1_24adjacent_difference_implIS3_Lb0ELb0EPjS7_N6thrust23THRUST_200600_302600_NS5minusIjEEEE10hipError_tPvRmT2_T3_mT4_P12ihipStream_tbEUlT_E_NS1_11comp_targetILNS1_3genE0ELNS1_11target_archE4294967295ELNS1_3gpuE0ELNS1_3repE0EEENS1_30default_config_static_selectorELNS0_4arch9wavefront6targetE1EEEvT1_ ; -- Begin function _ZN7rocprim17ROCPRIM_400000_NS6detail17trampoline_kernelINS0_14default_configENS1_35adjacent_difference_config_selectorILb0EjEEZNS1_24adjacent_difference_implIS3_Lb0ELb0EPjS7_N6thrust23THRUST_200600_302600_NS5minusIjEEEE10hipError_tPvRmT2_T3_mT4_P12ihipStream_tbEUlT_E_NS1_11comp_targetILNS1_3genE0ELNS1_11target_archE4294967295ELNS1_3gpuE0ELNS1_3repE0EEENS1_30default_config_static_selectorELNS0_4arch9wavefront6targetE1EEEvT1_
	.globl	_ZN7rocprim17ROCPRIM_400000_NS6detail17trampoline_kernelINS0_14default_configENS1_35adjacent_difference_config_selectorILb0EjEEZNS1_24adjacent_difference_implIS3_Lb0ELb0EPjS7_N6thrust23THRUST_200600_302600_NS5minusIjEEEE10hipError_tPvRmT2_T3_mT4_P12ihipStream_tbEUlT_E_NS1_11comp_targetILNS1_3genE0ELNS1_11target_archE4294967295ELNS1_3gpuE0ELNS1_3repE0EEENS1_30default_config_static_selectorELNS0_4arch9wavefront6targetE1EEEvT1_
	.p2align	8
	.type	_ZN7rocprim17ROCPRIM_400000_NS6detail17trampoline_kernelINS0_14default_configENS1_35adjacent_difference_config_selectorILb0EjEEZNS1_24adjacent_difference_implIS3_Lb0ELb0EPjS7_N6thrust23THRUST_200600_302600_NS5minusIjEEEE10hipError_tPvRmT2_T3_mT4_P12ihipStream_tbEUlT_E_NS1_11comp_targetILNS1_3genE0ELNS1_11target_archE4294967295ELNS1_3gpuE0ELNS1_3repE0EEENS1_30default_config_static_selectorELNS0_4arch9wavefront6targetE1EEEvT1_,@function
_ZN7rocprim17ROCPRIM_400000_NS6detail17trampoline_kernelINS0_14default_configENS1_35adjacent_difference_config_selectorILb0EjEEZNS1_24adjacent_difference_implIS3_Lb0ELb0EPjS7_N6thrust23THRUST_200600_302600_NS5minusIjEEEE10hipError_tPvRmT2_T3_mT4_P12ihipStream_tbEUlT_E_NS1_11comp_targetILNS1_3genE0ELNS1_11target_archE4294967295ELNS1_3gpuE0ELNS1_3repE0EEENS1_30default_config_static_selectorELNS0_4arch9wavefront6targetE1EEEvT1_: ; @_ZN7rocprim17ROCPRIM_400000_NS6detail17trampoline_kernelINS0_14default_configENS1_35adjacent_difference_config_selectorILb0EjEEZNS1_24adjacent_difference_implIS3_Lb0ELb0EPjS7_N6thrust23THRUST_200600_302600_NS5minusIjEEEE10hipError_tPvRmT2_T3_mT4_P12ihipStream_tbEUlT_E_NS1_11comp_targetILNS1_3genE0ELNS1_11target_archE4294967295ELNS1_3gpuE0ELNS1_3repE0EEENS1_30default_config_static_selectorELNS0_4arch9wavefront6targetE1EEEvT1_
; %bb.0:
	.section	.rodata,"a",@progbits
	.p2align	6, 0x0
	.amdhsa_kernel _ZN7rocprim17ROCPRIM_400000_NS6detail17trampoline_kernelINS0_14default_configENS1_35adjacent_difference_config_selectorILb0EjEEZNS1_24adjacent_difference_implIS3_Lb0ELb0EPjS7_N6thrust23THRUST_200600_302600_NS5minusIjEEEE10hipError_tPvRmT2_T3_mT4_P12ihipStream_tbEUlT_E_NS1_11comp_targetILNS1_3genE0ELNS1_11target_archE4294967295ELNS1_3gpuE0ELNS1_3repE0EEENS1_30default_config_static_selectorELNS0_4arch9wavefront6targetE1EEEvT1_
		.amdhsa_group_segment_fixed_size 0
		.amdhsa_private_segment_fixed_size 0
		.amdhsa_kernarg_size 56
		.amdhsa_user_sgpr_count 2
		.amdhsa_user_sgpr_dispatch_ptr 0
		.amdhsa_user_sgpr_queue_ptr 0
		.amdhsa_user_sgpr_kernarg_segment_ptr 1
		.amdhsa_user_sgpr_dispatch_id 0
		.amdhsa_user_sgpr_kernarg_preload_length 0
		.amdhsa_user_sgpr_kernarg_preload_offset 0
		.amdhsa_user_sgpr_private_segment_size 0
		.amdhsa_uses_dynamic_stack 0
		.amdhsa_enable_private_segment 0
		.amdhsa_system_sgpr_workgroup_id_x 1
		.amdhsa_system_sgpr_workgroup_id_y 0
		.amdhsa_system_sgpr_workgroup_id_z 0
		.amdhsa_system_sgpr_workgroup_info 0
		.amdhsa_system_vgpr_workitem_id 0
		.amdhsa_next_free_vgpr 1
		.amdhsa_next_free_sgpr 0
		.amdhsa_accum_offset 4
		.amdhsa_reserve_vcc 0
		.amdhsa_float_round_mode_32 0
		.amdhsa_float_round_mode_16_64 0
		.amdhsa_float_denorm_mode_32 3
		.amdhsa_float_denorm_mode_16_64 3
		.amdhsa_dx10_clamp 1
		.amdhsa_ieee_mode 1
		.amdhsa_fp16_overflow 0
		.amdhsa_tg_split 0
		.amdhsa_exception_fp_ieee_invalid_op 0
		.amdhsa_exception_fp_denorm_src 0
		.amdhsa_exception_fp_ieee_div_zero 0
		.amdhsa_exception_fp_ieee_overflow 0
		.amdhsa_exception_fp_ieee_underflow 0
		.amdhsa_exception_fp_ieee_inexact 0
		.amdhsa_exception_int_div_zero 0
	.end_amdhsa_kernel
	.section	.text._ZN7rocprim17ROCPRIM_400000_NS6detail17trampoline_kernelINS0_14default_configENS1_35adjacent_difference_config_selectorILb0EjEEZNS1_24adjacent_difference_implIS3_Lb0ELb0EPjS7_N6thrust23THRUST_200600_302600_NS5minusIjEEEE10hipError_tPvRmT2_T3_mT4_P12ihipStream_tbEUlT_E_NS1_11comp_targetILNS1_3genE0ELNS1_11target_archE4294967295ELNS1_3gpuE0ELNS1_3repE0EEENS1_30default_config_static_selectorELNS0_4arch9wavefront6targetE1EEEvT1_,"axG",@progbits,_ZN7rocprim17ROCPRIM_400000_NS6detail17trampoline_kernelINS0_14default_configENS1_35adjacent_difference_config_selectorILb0EjEEZNS1_24adjacent_difference_implIS3_Lb0ELb0EPjS7_N6thrust23THRUST_200600_302600_NS5minusIjEEEE10hipError_tPvRmT2_T3_mT4_P12ihipStream_tbEUlT_E_NS1_11comp_targetILNS1_3genE0ELNS1_11target_archE4294967295ELNS1_3gpuE0ELNS1_3repE0EEENS1_30default_config_static_selectorELNS0_4arch9wavefront6targetE1EEEvT1_,comdat
.Lfunc_end365:
	.size	_ZN7rocprim17ROCPRIM_400000_NS6detail17trampoline_kernelINS0_14default_configENS1_35adjacent_difference_config_selectorILb0EjEEZNS1_24adjacent_difference_implIS3_Lb0ELb0EPjS7_N6thrust23THRUST_200600_302600_NS5minusIjEEEE10hipError_tPvRmT2_T3_mT4_P12ihipStream_tbEUlT_E_NS1_11comp_targetILNS1_3genE0ELNS1_11target_archE4294967295ELNS1_3gpuE0ELNS1_3repE0EEENS1_30default_config_static_selectorELNS0_4arch9wavefront6targetE1EEEvT1_, .Lfunc_end365-_ZN7rocprim17ROCPRIM_400000_NS6detail17trampoline_kernelINS0_14default_configENS1_35adjacent_difference_config_selectorILb0EjEEZNS1_24adjacent_difference_implIS3_Lb0ELb0EPjS7_N6thrust23THRUST_200600_302600_NS5minusIjEEEE10hipError_tPvRmT2_T3_mT4_P12ihipStream_tbEUlT_E_NS1_11comp_targetILNS1_3genE0ELNS1_11target_archE4294967295ELNS1_3gpuE0ELNS1_3repE0EEENS1_30default_config_static_selectorELNS0_4arch9wavefront6targetE1EEEvT1_
                                        ; -- End function
	.section	.AMDGPU.csdata,"",@progbits
; Kernel info:
; codeLenInByte = 0
; NumSgprs: 6
; NumVgprs: 0
; NumAgprs: 0
; TotalNumVgprs: 0
; ScratchSize: 0
; MemoryBound: 0
; FloatMode: 240
; IeeeMode: 1
; LDSByteSize: 0 bytes/workgroup (compile time only)
; SGPRBlocks: 0
; VGPRBlocks: 0
; NumSGPRsForWavesPerEU: 6
; NumVGPRsForWavesPerEU: 1
; AccumOffset: 4
; Occupancy: 8
; WaveLimiterHint : 0
; COMPUTE_PGM_RSRC2:SCRATCH_EN: 0
; COMPUTE_PGM_RSRC2:USER_SGPR: 2
; COMPUTE_PGM_RSRC2:TRAP_HANDLER: 0
; COMPUTE_PGM_RSRC2:TGID_X_EN: 1
; COMPUTE_PGM_RSRC2:TGID_Y_EN: 0
; COMPUTE_PGM_RSRC2:TGID_Z_EN: 0
; COMPUTE_PGM_RSRC2:TIDIG_COMP_CNT: 0
; COMPUTE_PGM_RSRC3_GFX90A:ACCUM_OFFSET: 0
; COMPUTE_PGM_RSRC3_GFX90A:TG_SPLIT: 0
	.section	.text._ZN7rocprim17ROCPRIM_400000_NS6detail17trampoline_kernelINS0_14default_configENS1_35adjacent_difference_config_selectorILb0EjEEZNS1_24adjacent_difference_implIS3_Lb0ELb0EPjS7_N6thrust23THRUST_200600_302600_NS5minusIjEEEE10hipError_tPvRmT2_T3_mT4_P12ihipStream_tbEUlT_E_NS1_11comp_targetILNS1_3genE10ELNS1_11target_archE1201ELNS1_3gpuE5ELNS1_3repE0EEENS1_30default_config_static_selectorELNS0_4arch9wavefront6targetE1EEEvT1_,"axG",@progbits,_ZN7rocprim17ROCPRIM_400000_NS6detail17trampoline_kernelINS0_14default_configENS1_35adjacent_difference_config_selectorILb0EjEEZNS1_24adjacent_difference_implIS3_Lb0ELb0EPjS7_N6thrust23THRUST_200600_302600_NS5minusIjEEEE10hipError_tPvRmT2_T3_mT4_P12ihipStream_tbEUlT_E_NS1_11comp_targetILNS1_3genE10ELNS1_11target_archE1201ELNS1_3gpuE5ELNS1_3repE0EEENS1_30default_config_static_selectorELNS0_4arch9wavefront6targetE1EEEvT1_,comdat
	.protected	_ZN7rocprim17ROCPRIM_400000_NS6detail17trampoline_kernelINS0_14default_configENS1_35adjacent_difference_config_selectorILb0EjEEZNS1_24adjacent_difference_implIS3_Lb0ELb0EPjS7_N6thrust23THRUST_200600_302600_NS5minusIjEEEE10hipError_tPvRmT2_T3_mT4_P12ihipStream_tbEUlT_E_NS1_11comp_targetILNS1_3genE10ELNS1_11target_archE1201ELNS1_3gpuE5ELNS1_3repE0EEENS1_30default_config_static_selectorELNS0_4arch9wavefront6targetE1EEEvT1_ ; -- Begin function _ZN7rocprim17ROCPRIM_400000_NS6detail17trampoline_kernelINS0_14default_configENS1_35adjacent_difference_config_selectorILb0EjEEZNS1_24adjacent_difference_implIS3_Lb0ELb0EPjS7_N6thrust23THRUST_200600_302600_NS5minusIjEEEE10hipError_tPvRmT2_T3_mT4_P12ihipStream_tbEUlT_E_NS1_11comp_targetILNS1_3genE10ELNS1_11target_archE1201ELNS1_3gpuE5ELNS1_3repE0EEENS1_30default_config_static_selectorELNS0_4arch9wavefront6targetE1EEEvT1_
	.globl	_ZN7rocprim17ROCPRIM_400000_NS6detail17trampoline_kernelINS0_14default_configENS1_35adjacent_difference_config_selectorILb0EjEEZNS1_24adjacent_difference_implIS3_Lb0ELb0EPjS7_N6thrust23THRUST_200600_302600_NS5minusIjEEEE10hipError_tPvRmT2_T3_mT4_P12ihipStream_tbEUlT_E_NS1_11comp_targetILNS1_3genE10ELNS1_11target_archE1201ELNS1_3gpuE5ELNS1_3repE0EEENS1_30default_config_static_selectorELNS0_4arch9wavefront6targetE1EEEvT1_
	.p2align	8
	.type	_ZN7rocprim17ROCPRIM_400000_NS6detail17trampoline_kernelINS0_14default_configENS1_35adjacent_difference_config_selectorILb0EjEEZNS1_24adjacent_difference_implIS3_Lb0ELb0EPjS7_N6thrust23THRUST_200600_302600_NS5minusIjEEEE10hipError_tPvRmT2_T3_mT4_P12ihipStream_tbEUlT_E_NS1_11comp_targetILNS1_3genE10ELNS1_11target_archE1201ELNS1_3gpuE5ELNS1_3repE0EEENS1_30default_config_static_selectorELNS0_4arch9wavefront6targetE1EEEvT1_,@function
_ZN7rocprim17ROCPRIM_400000_NS6detail17trampoline_kernelINS0_14default_configENS1_35adjacent_difference_config_selectorILb0EjEEZNS1_24adjacent_difference_implIS3_Lb0ELb0EPjS7_N6thrust23THRUST_200600_302600_NS5minusIjEEEE10hipError_tPvRmT2_T3_mT4_P12ihipStream_tbEUlT_E_NS1_11comp_targetILNS1_3genE10ELNS1_11target_archE1201ELNS1_3gpuE5ELNS1_3repE0EEENS1_30default_config_static_selectorELNS0_4arch9wavefront6targetE1EEEvT1_: ; @_ZN7rocprim17ROCPRIM_400000_NS6detail17trampoline_kernelINS0_14default_configENS1_35adjacent_difference_config_selectorILb0EjEEZNS1_24adjacent_difference_implIS3_Lb0ELb0EPjS7_N6thrust23THRUST_200600_302600_NS5minusIjEEEE10hipError_tPvRmT2_T3_mT4_P12ihipStream_tbEUlT_E_NS1_11comp_targetILNS1_3genE10ELNS1_11target_archE1201ELNS1_3gpuE5ELNS1_3repE0EEENS1_30default_config_static_selectorELNS0_4arch9wavefront6targetE1EEEvT1_
; %bb.0:
	.section	.rodata,"a",@progbits
	.p2align	6, 0x0
	.amdhsa_kernel _ZN7rocprim17ROCPRIM_400000_NS6detail17trampoline_kernelINS0_14default_configENS1_35adjacent_difference_config_selectorILb0EjEEZNS1_24adjacent_difference_implIS3_Lb0ELb0EPjS7_N6thrust23THRUST_200600_302600_NS5minusIjEEEE10hipError_tPvRmT2_T3_mT4_P12ihipStream_tbEUlT_E_NS1_11comp_targetILNS1_3genE10ELNS1_11target_archE1201ELNS1_3gpuE5ELNS1_3repE0EEENS1_30default_config_static_selectorELNS0_4arch9wavefront6targetE1EEEvT1_
		.amdhsa_group_segment_fixed_size 0
		.amdhsa_private_segment_fixed_size 0
		.amdhsa_kernarg_size 56
		.amdhsa_user_sgpr_count 2
		.amdhsa_user_sgpr_dispatch_ptr 0
		.amdhsa_user_sgpr_queue_ptr 0
		.amdhsa_user_sgpr_kernarg_segment_ptr 1
		.amdhsa_user_sgpr_dispatch_id 0
		.amdhsa_user_sgpr_kernarg_preload_length 0
		.amdhsa_user_sgpr_kernarg_preload_offset 0
		.amdhsa_user_sgpr_private_segment_size 0
		.amdhsa_uses_dynamic_stack 0
		.amdhsa_enable_private_segment 0
		.amdhsa_system_sgpr_workgroup_id_x 1
		.amdhsa_system_sgpr_workgroup_id_y 0
		.amdhsa_system_sgpr_workgroup_id_z 0
		.amdhsa_system_sgpr_workgroup_info 0
		.amdhsa_system_vgpr_workitem_id 0
		.amdhsa_next_free_vgpr 1
		.amdhsa_next_free_sgpr 0
		.amdhsa_accum_offset 4
		.amdhsa_reserve_vcc 0
		.amdhsa_float_round_mode_32 0
		.amdhsa_float_round_mode_16_64 0
		.amdhsa_float_denorm_mode_32 3
		.amdhsa_float_denorm_mode_16_64 3
		.amdhsa_dx10_clamp 1
		.amdhsa_ieee_mode 1
		.amdhsa_fp16_overflow 0
		.amdhsa_tg_split 0
		.amdhsa_exception_fp_ieee_invalid_op 0
		.amdhsa_exception_fp_denorm_src 0
		.amdhsa_exception_fp_ieee_div_zero 0
		.amdhsa_exception_fp_ieee_overflow 0
		.amdhsa_exception_fp_ieee_underflow 0
		.amdhsa_exception_fp_ieee_inexact 0
		.amdhsa_exception_int_div_zero 0
	.end_amdhsa_kernel
	.section	.text._ZN7rocprim17ROCPRIM_400000_NS6detail17trampoline_kernelINS0_14default_configENS1_35adjacent_difference_config_selectorILb0EjEEZNS1_24adjacent_difference_implIS3_Lb0ELb0EPjS7_N6thrust23THRUST_200600_302600_NS5minusIjEEEE10hipError_tPvRmT2_T3_mT4_P12ihipStream_tbEUlT_E_NS1_11comp_targetILNS1_3genE10ELNS1_11target_archE1201ELNS1_3gpuE5ELNS1_3repE0EEENS1_30default_config_static_selectorELNS0_4arch9wavefront6targetE1EEEvT1_,"axG",@progbits,_ZN7rocprim17ROCPRIM_400000_NS6detail17trampoline_kernelINS0_14default_configENS1_35adjacent_difference_config_selectorILb0EjEEZNS1_24adjacent_difference_implIS3_Lb0ELb0EPjS7_N6thrust23THRUST_200600_302600_NS5minusIjEEEE10hipError_tPvRmT2_T3_mT4_P12ihipStream_tbEUlT_E_NS1_11comp_targetILNS1_3genE10ELNS1_11target_archE1201ELNS1_3gpuE5ELNS1_3repE0EEENS1_30default_config_static_selectorELNS0_4arch9wavefront6targetE1EEEvT1_,comdat
.Lfunc_end366:
	.size	_ZN7rocprim17ROCPRIM_400000_NS6detail17trampoline_kernelINS0_14default_configENS1_35adjacent_difference_config_selectorILb0EjEEZNS1_24adjacent_difference_implIS3_Lb0ELb0EPjS7_N6thrust23THRUST_200600_302600_NS5minusIjEEEE10hipError_tPvRmT2_T3_mT4_P12ihipStream_tbEUlT_E_NS1_11comp_targetILNS1_3genE10ELNS1_11target_archE1201ELNS1_3gpuE5ELNS1_3repE0EEENS1_30default_config_static_selectorELNS0_4arch9wavefront6targetE1EEEvT1_, .Lfunc_end366-_ZN7rocprim17ROCPRIM_400000_NS6detail17trampoline_kernelINS0_14default_configENS1_35adjacent_difference_config_selectorILb0EjEEZNS1_24adjacent_difference_implIS3_Lb0ELb0EPjS7_N6thrust23THRUST_200600_302600_NS5minusIjEEEE10hipError_tPvRmT2_T3_mT4_P12ihipStream_tbEUlT_E_NS1_11comp_targetILNS1_3genE10ELNS1_11target_archE1201ELNS1_3gpuE5ELNS1_3repE0EEENS1_30default_config_static_selectorELNS0_4arch9wavefront6targetE1EEEvT1_
                                        ; -- End function
	.section	.AMDGPU.csdata,"",@progbits
; Kernel info:
; codeLenInByte = 0
; NumSgprs: 6
; NumVgprs: 0
; NumAgprs: 0
; TotalNumVgprs: 0
; ScratchSize: 0
; MemoryBound: 0
; FloatMode: 240
; IeeeMode: 1
; LDSByteSize: 0 bytes/workgroup (compile time only)
; SGPRBlocks: 0
; VGPRBlocks: 0
; NumSGPRsForWavesPerEU: 6
; NumVGPRsForWavesPerEU: 1
; AccumOffset: 4
; Occupancy: 8
; WaveLimiterHint : 0
; COMPUTE_PGM_RSRC2:SCRATCH_EN: 0
; COMPUTE_PGM_RSRC2:USER_SGPR: 2
; COMPUTE_PGM_RSRC2:TRAP_HANDLER: 0
; COMPUTE_PGM_RSRC2:TGID_X_EN: 1
; COMPUTE_PGM_RSRC2:TGID_Y_EN: 0
; COMPUTE_PGM_RSRC2:TGID_Z_EN: 0
; COMPUTE_PGM_RSRC2:TIDIG_COMP_CNT: 0
; COMPUTE_PGM_RSRC3_GFX90A:ACCUM_OFFSET: 0
; COMPUTE_PGM_RSRC3_GFX90A:TG_SPLIT: 0
	.section	.text._ZN7rocprim17ROCPRIM_400000_NS6detail17trampoline_kernelINS0_14default_configENS1_35adjacent_difference_config_selectorILb0EjEEZNS1_24adjacent_difference_implIS3_Lb0ELb0EPjS7_N6thrust23THRUST_200600_302600_NS5minusIjEEEE10hipError_tPvRmT2_T3_mT4_P12ihipStream_tbEUlT_E_NS1_11comp_targetILNS1_3genE5ELNS1_11target_archE942ELNS1_3gpuE9ELNS1_3repE0EEENS1_30default_config_static_selectorELNS0_4arch9wavefront6targetE1EEEvT1_,"axG",@progbits,_ZN7rocprim17ROCPRIM_400000_NS6detail17trampoline_kernelINS0_14default_configENS1_35adjacent_difference_config_selectorILb0EjEEZNS1_24adjacent_difference_implIS3_Lb0ELb0EPjS7_N6thrust23THRUST_200600_302600_NS5minusIjEEEE10hipError_tPvRmT2_T3_mT4_P12ihipStream_tbEUlT_E_NS1_11comp_targetILNS1_3genE5ELNS1_11target_archE942ELNS1_3gpuE9ELNS1_3repE0EEENS1_30default_config_static_selectorELNS0_4arch9wavefront6targetE1EEEvT1_,comdat
	.protected	_ZN7rocprim17ROCPRIM_400000_NS6detail17trampoline_kernelINS0_14default_configENS1_35adjacent_difference_config_selectorILb0EjEEZNS1_24adjacent_difference_implIS3_Lb0ELb0EPjS7_N6thrust23THRUST_200600_302600_NS5minusIjEEEE10hipError_tPvRmT2_T3_mT4_P12ihipStream_tbEUlT_E_NS1_11comp_targetILNS1_3genE5ELNS1_11target_archE942ELNS1_3gpuE9ELNS1_3repE0EEENS1_30default_config_static_selectorELNS0_4arch9wavefront6targetE1EEEvT1_ ; -- Begin function _ZN7rocprim17ROCPRIM_400000_NS6detail17trampoline_kernelINS0_14default_configENS1_35adjacent_difference_config_selectorILb0EjEEZNS1_24adjacent_difference_implIS3_Lb0ELb0EPjS7_N6thrust23THRUST_200600_302600_NS5minusIjEEEE10hipError_tPvRmT2_T3_mT4_P12ihipStream_tbEUlT_E_NS1_11comp_targetILNS1_3genE5ELNS1_11target_archE942ELNS1_3gpuE9ELNS1_3repE0EEENS1_30default_config_static_selectorELNS0_4arch9wavefront6targetE1EEEvT1_
	.globl	_ZN7rocprim17ROCPRIM_400000_NS6detail17trampoline_kernelINS0_14default_configENS1_35adjacent_difference_config_selectorILb0EjEEZNS1_24adjacent_difference_implIS3_Lb0ELb0EPjS7_N6thrust23THRUST_200600_302600_NS5minusIjEEEE10hipError_tPvRmT2_T3_mT4_P12ihipStream_tbEUlT_E_NS1_11comp_targetILNS1_3genE5ELNS1_11target_archE942ELNS1_3gpuE9ELNS1_3repE0EEENS1_30default_config_static_selectorELNS0_4arch9wavefront6targetE1EEEvT1_
	.p2align	8
	.type	_ZN7rocprim17ROCPRIM_400000_NS6detail17trampoline_kernelINS0_14default_configENS1_35adjacent_difference_config_selectorILb0EjEEZNS1_24adjacent_difference_implIS3_Lb0ELb0EPjS7_N6thrust23THRUST_200600_302600_NS5minusIjEEEE10hipError_tPvRmT2_T3_mT4_P12ihipStream_tbEUlT_E_NS1_11comp_targetILNS1_3genE5ELNS1_11target_archE942ELNS1_3gpuE9ELNS1_3repE0EEENS1_30default_config_static_selectorELNS0_4arch9wavefront6targetE1EEEvT1_,@function
_ZN7rocprim17ROCPRIM_400000_NS6detail17trampoline_kernelINS0_14default_configENS1_35adjacent_difference_config_selectorILb0EjEEZNS1_24adjacent_difference_implIS3_Lb0ELb0EPjS7_N6thrust23THRUST_200600_302600_NS5minusIjEEEE10hipError_tPvRmT2_T3_mT4_P12ihipStream_tbEUlT_E_NS1_11comp_targetILNS1_3genE5ELNS1_11target_archE942ELNS1_3gpuE9ELNS1_3repE0EEENS1_30default_config_static_selectorELNS0_4arch9wavefront6targetE1EEEvT1_: ; @_ZN7rocprim17ROCPRIM_400000_NS6detail17trampoline_kernelINS0_14default_configENS1_35adjacent_difference_config_selectorILb0EjEEZNS1_24adjacent_difference_implIS3_Lb0ELb0EPjS7_N6thrust23THRUST_200600_302600_NS5minusIjEEEE10hipError_tPvRmT2_T3_mT4_P12ihipStream_tbEUlT_E_NS1_11comp_targetILNS1_3genE5ELNS1_11target_archE942ELNS1_3gpuE9ELNS1_3repE0EEENS1_30default_config_static_selectorELNS0_4arch9wavefront6targetE1EEEvT1_
; %bb.0:
	s_load_dwordx8 s[60:67], s[0:1], 0x0
	s_mov_b32 s4, 0x8234f460
	s_movk_i32 s3, 0x740
	s_load_dwordx2 s[0:1], s[0:1], 0x30
	s_waitcnt lgkmcnt(0)
	s_lshl_b64 s[68:69], s[62:63], 2
	s_add_u32 s12, s60, s68
	s_addc_u32 s13, s61, s69
	s_add_u32 s4, 0xec, s4
	s_addc_u32 s6, 0, 0
	v_add_co_u32_e64 v1, s[4:5], s4, 2.0
	s_cmp_lg_u64 s[4:5], 0
	s_addc_u32 s4, s6, 0x234f72
	v_readfirstlane_b32 s6, v1
	s_mul_hi_u32 s7, s6, 0xfffff8c0
	s_mul_i32 s5, s4, 0xfffff8c0
	s_sub_i32 s7, s7, s6
	s_add_i32 s7, s7, s5
	s_mul_i32 s9, s6, 0xfffff8c0
	s_mul_hi_u32 s5, s6, s7
	s_mul_i32 s8, s6, s7
	s_mul_hi_u32 s6, s6, s9
	s_add_u32 s6, s6, s8
	s_addc_u32 s5, 0, s5
	s_mul_hi_u32 s10, s4, s9
	s_mul_i32 s9, s4, s9
	s_add_u32 s6, s6, s9
	s_mul_hi_u32 s8, s4, s7
	s_addc_u32 s5, s5, s10
	s_addc_u32 s6, s8, 0
	s_mul_i32 s7, s4, s7
	s_add_u32 s5, s5, s7
	s_addc_u32 s6, 0, s6
	v_add_co_u32_e32 v1, vcc, s5, v1
	s_cmp_lg_u64 vcc, 0
	s_addc_u32 s4, s4, s6
	v_readfirstlane_b32 s7, v1
	s_mul_i32 s6, s66, s4
	s_mul_hi_u32 s8, s66, s7
	s_mul_hi_u32 s5, s66, s4
	s_add_u32 s6, s8, s6
	s_addc_u32 s5, 0, s5
	s_mul_hi_u32 s9, s67, s7
	s_mul_i32 s7, s67, s7
	s_add_u32 s6, s6, s7
	s_mul_hi_u32 s8, s67, s4
	s_addc_u32 s5, s5, s9
	s_addc_u32 s6, s8, 0
	s_mul_i32 s4, s67, s4
	s_add_u32 s4, s5, s4
	s_addc_u32 s5, 0, s6
	s_add_u32 s6, s4, 1
	s_addc_u32 s7, s5, 0
	s_add_u32 s8, s4, 2
	s_mul_i32 s10, s5, 0x740
	s_mul_hi_u32 s11, s4, 0x740
	s_addc_u32 s9, s5, 0
	s_add_i32 s11, s11, s10
	s_mul_i32 s10, s4, 0x740
	v_mov_b32_e32 v1, s10
	v_sub_co_u32_e32 v1, vcc, s66, v1
	s_cmp_lg_u64 vcc, 0
	s_subb_u32 s10, s67, s11
	v_subrev_co_u32_e32 v2, vcc, s3, v1
	s_cmp_lg_u64 vcc, 0
	s_subb_u32 s3, s10, 0
	v_readfirstlane_b32 s11, v2
	s_cmpk_gt_u32 s11, 0x73f
	s_cselect_b32 s11, -1, 0
	s_cmp_eq_u32 s3, 0
	s_cselect_b32 s3, s11, -1
	s_cmp_lg_u32 s3, 0
	s_cselect_b32 s3, s8, s6
	s_cselect_b32 s6, s9, s7
	v_readfirstlane_b32 s7, v1
	s_cmpk_gt_u32 s7, 0x73f
	s_cselect_b32 s7, -1, 0
	s_cmp_eq_u32 s10, 0
	s_cselect_b32 s7, s7, -1
	s_cmp_lg_u32 s7, 0
	s_cselect_b32 s6, s6, s5
	s_cselect_b32 s3, s3, s4
	s_mul_i32 s4, s6, 0x740
	s_mul_hi_u32 s5, s3, 0x740
	s_add_i32 s5, s5, s4
	s_mul_i32 s4, s3, 0x740
	s_sub_u32 s4, s66, s4
	s_subb_u32 s5, s67, s5
	s_cmp_lg_u64 s[4:5], 0
	s_cselect_b64 s[4:5], -1, 0
	v_cndmask_b32_e64 v1, 0, 1, s[4:5]
	s_mul_i32 s62, s2, 0x740
	v_readfirstlane_b32 s4, v1
	s_add_u32 s4, s3, s4
	s_addc_u32 s5, s6, 0
	s_add_u32 s2, s0, s2
	s_addc_u32 s3, s1, 0
	s_add_u32 s6, s4, -1
	s_addc_u32 s7, s5, -1
	v_mov_b64_e32 v[2:3], s[6:7]
	v_cmp_ge_u64_e64 s[0:1], s[2:3], v[2:3]
	s_mov_b32 s63, 0
	s_mov_b64 s[8:9], -1
	s_and_b64 vcc, exec, s[0:1]
	s_mul_i32 s33, s6, 0xfffff8c0
	s_cbranch_vccz .LBB367_60
; %bb.1:
	s_add_i32 s14, s33, s66
	s_lshl_b64 s[8:9], s[62:63], 2
	s_add_u32 s8, s12, s8
	s_addc_u32 s9, s13, s9
	v_cmp_gt_u32_e32 vcc, s14, v0
                                        ; implicit-def: $vgpr1
	s_and_saveexec_b64 s[10:11], vcc
	s_cbranch_execz .LBB367_3
; %bb.2:
	v_lshlrev_b32_e32 v1, 2, v0
	global_load_dword v1, v1, s[8:9]
.LBB367_3:
	s_or_b64 exec, exec, s[10:11]
	v_or_b32_e32 v2, 64, v0
	v_cmp_gt_u32_e32 vcc, s14, v2
                                        ; implicit-def: $vgpr2
	s_and_saveexec_b64 s[10:11], vcc
	s_cbranch_execz .LBB367_5
; %bb.4:
	v_lshlrev_b32_e32 v2, 2, v0
	global_load_dword v2, v2, s[8:9] offset:256
.LBB367_5:
	s_or_b64 exec, exec, s[10:11]
	v_or_b32_e32 v3, 0x80, v0
	v_cmp_gt_u32_e32 vcc, s14, v3
                                        ; implicit-def: $vgpr3
	s_and_saveexec_b64 s[10:11], vcc
	s_cbranch_execz .LBB367_7
; %bb.6:
	v_lshlrev_b32_e32 v3, 2, v0
	global_load_dword v3, v3, s[8:9] offset:512
.LBB367_7:
	s_or_b64 exec, exec, s[10:11]
	v_or_b32_e32 v4, 0xc0, v0
	v_cmp_gt_u32_e32 vcc, s14, v4
                                        ; implicit-def: $vgpr4
	s_and_saveexec_b64 s[10:11], vcc
	s_cbranch_execz .LBB367_9
; %bb.8:
	v_lshlrev_b32_e32 v4, 2, v0
	global_load_dword v4, v4, s[8:9] offset:768
.LBB367_9:
	s_or_b64 exec, exec, s[10:11]
	v_or_b32_e32 v5, 0x100, v0
	v_cmp_gt_u32_e32 vcc, s14, v5
                                        ; implicit-def: $vgpr5
	s_and_saveexec_b64 s[10:11], vcc
	s_cbranch_execz .LBB367_11
; %bb.10:
	v_lshlrev_b32_e32 v5, 2, v0
	global_load_dword v5, v5, s[8:9] offset:1024
.LBB367_11:
	s_or_b64 exec, exec, s[10:11]
	v_or_b32_e32 v6, 0x140, v0
	v_cmp_gt_u32_e32 vcc, s14, v6
                                        ; implicit-def: $vgpr6
	s_and_saveexec_b64 s[10:11], vcc
	s_cbranch_execz .LBB367_13
; %bb.12:
	v_lshlrev_b32_e32 v6, 2, v0
	global_load_dword v6, v6, s[8:9] offset:1280
.LBB367_13:
	s_or_b64 exec, exec, s[10:11]
	v_or_b32_e32 v7, 0x180, v0
	v_cmp_gt_u32_e32 vcc, s14, v7
                                        ; implicit-def: $vgpr7
	s_and_saveexec_b64 s[10:11], vcc
	s_cbranch_execz .LBB367_15
; %bb.14:
	v_lshlrev_b32_e32 v7, 2, v0
	global_load_dword v7, v7, s[8:9] offset:1536
.LBB367_15:
	s_or_b64 exec, exec, s[10:11]
	v_or_b32_e32 v8, 0x1c0, v0
	v_cmp_gt_u32_e32 vcc, s14, v8
                                        ; implicit-def: $vgpr8
	s_and_saveexec_b64 s[10:11], vcc
	s_cbranch_execz .LBB367_17
; %bb.16:
	v_lshlrev_b32_e32 v8, 2, v0
	global_load_dword v8, v8, s[8:9] offset:1792
.LBB367_17:
	s_or_b64 exec, exec, s[10:11]
	v_or_b32_e32 v9, 0x200, v0
	v_cmp_gt_u32_e32 vcc, s14, v9
                                        ; implicit-def: $vgpr9
	s_and_saveexec_b64 s[10:11], vcc
	s_cbranch_execz .LBB367_19
; %bb.18:
	v_lshlrev_b32_e32 v9, 2, v0
	global_load_dword v9, v9, s[8:9] offset:2048
.LBB367_19:
	s_or_b64 exec, exec, s[10:11]
	v_or_b32_e32 v10, 0x240, v0
	v_cmp_gt_u32_e32 vcc, s14, v10
                                        ; implicit-def: $vgpr10
	s_and_saveexec_b64 s[10:11], vcc
	s_cbranch_execz .LBB367_21
; %bb.20:
	v_lshlrev_b32_e32 v10, 2, v0
	global_load_dword v10, v10, s[8:9] offset:2304
.LBB367_21:
	s_or_b64 exec, exec, s[10:11]
	v_or_b32_e32 v11, 0x280, v0
	v_cmp_gt_u32_e32 vcc, s14, v11
                                        ; implicit-def: $vgpr11
	s_and_saveexec_b64 s[10:11], vcc
	s_cbranch_execz .LBB367_23
; %bb.22:
	v_lshlrev_b32_e32 v11, 2, v0
	global_load_dword v11, v11, s[8:9] offset:2560
.LBB367_23:
	s_or_b64 exec, exec, s[10:11]
	v_or_b32_e32 v12, 0x2c0, v0
	v_cmp_gt_u32_e32 vcc, s14, v12
                                        ; implicit-def: $vgpr12
	s_and_saveexec_b64 s[10:11], vcc
	s_cbranch_execz .LBB367_25
; %bb.24:
	v_lshlrev_b32_e32 v12, 2, v0
	global_load_dword v12, v12, s[8:9] offset:2816
.LBB367_25:
	s_or_b64 exec, exec, s[10:11]
	v_or_b32_e32 v13, 0x300, v0
	v_cmp_gt_u32_e32 vcc, s14, v13
                                        ; implicit-def: $vgpr13
	s_and_saveexec_b64 s[10:11], vcc
	s_cbranch_execz .LBB367_27
; %bb.26:
	v_lshlrev_b32_e32 v13, 2, v0
	global_load_dword v13, v13, s[8:9] offset:3072
.LBB367_27:
	s_or_b64 exec, exec, s[10:11]
	v_or_b32_e32 v14, 0x340, v0
	v_cmp_gt_u32_e32 vcc, s14, v14
                                        ; implicit-def: $vgpr14
	s_and_saveexec_b64 s[10:11], vcc
	s_cbranch_execz .LBB367_29
; %bb.28:
	v_lshlrev_b32_e32 v14, 2, v0
	global_load_dword v14, v14, s[8:9] offset:3328
.LBB367_29:
	s_or_b64 exec, exec, s[10:11]
	v_or_b32_e32 v15, 0x380, v0
	v_cmp_gt_u32_e32 vcc, s14, v15
                                        ; implicit-def: $vgpr15
	s_and_saveexec_b64 s[10:11], vcc
	s_cbranch_execz .LBB367_31
; %bb.30:
	v_lshlrev_b32_e32 v15, 2, v0
	global_load_dword v15, v15, s[8:9] offset:3584
.LBB367_31:
	s_or_b64 exec, exec, s[10:11]
	v_or_b32_e32 v16, 0x3c0, v0
	v_cmp_gt_u32_e32 vcc, s14, v16
                                        ; implicit-def: $vgpr16
	s_and_saveexec_b64 s[10:11], vcc
	s_cbranch_execz .LBB367_33
; %bb.32:
	v_lshlrev_b32_e32 v16, 2, v0
	global_load_dword v16, v16, s[8:9] offset:3840
.LBB367_33:
	s_or_b64 exec, exec, s[10:11]
	v_or_b32_e32 v18, 0x400, v0
	v_cmp_gt_u32_e32 vcc, s14, v18
                                        ; implicit-def: $vgpr17
	s_and_saveexec_b64 s[10:11], vcc
	s_cbranch_execz .LBB367_35
; %bb.34:
	v_lshlrev_b32_e32 v17, 2, v18
	global_load_dword v17, v17, s[8:9]
.LBB367_35:
	s_or_b64 exec, exec, s[10:11]
	v_or_b32_e32 v19, 0x440, v0
	v_cmp_gt_u32_e32 vcc, s14, v19
                                        ; implicit-def: $vgpr18
	s_and_saveexec_b64 s[10:11], vcc
	s_cbranch_execz .LBB367_37
; %bb.36:
	v_lshlrev_b32_e32 v18, 2, v19
	global_load_dword v18, v18, s[8:9]
.LBB367_37:
	s_or_b64 exec, exec, s[10:11]
	v_or_b32_e32 v20, 0x480, v0
	v_cmp_gt_u32_e32 vcc, s14, v20
                                        ; implicit-def: $vgpr19
	s_and_saveexec_b64 s[10:11], vcc
	s_cbranch_execz .LBB367_39
; %bb.38:
	v_lshlrev_b32_e32 v19, 2, v20
	global_load_dword v19, v19, s[8:9]
.LBB367_39:
	s_or_b64 exec, exec, s[10:11]
	v_or_b32_e32 v21, 0x4c0, v0
	v_cmp_gt_u32_e32 vcc, s14, v21
                                        ; implicit-def: $vgpr20
	s_and_saveexec_b64 s[10:11], vcc
	s_cbranch_execz .LBB367_41
; %bb.40:
	v_lshlrev_b32_e32 v20, 2, v21
	global_load_dword v20, v20, s[8:9]
.LBB367_41:
	s_or_b64 exec, exec, s[10:11]
	v_or_b32_e32 v22, 0x500, v0
	v_cmp_gt_u32_e32 vcc, s14, v22
                                        ; implicit-def: $vgpr21
	s_and_saveexec_b64 s[10:11], vcc
	s_cbranch_execz .LBB367_43
; %bb.42:
	v_lshlrev_b32_e32 v21, 2, v22
	global_load_dword v21, v21, s[8:9]
.LBB367_43:
	s_or_b64 exec, exec, s[10:11]
	v_or_b32_e32 v23, 0x540, v0
	v_cmp_gt_u32_e32 vcc, s14, v23
                                        ; implicit-def: $vgpr22
	s_and_saveexec_b64 s[10:11], vcc
	s_cbranch_execz .LBB367_45
; %bb.44:
	v_lshlrev_b32_e32 v22, 2, v23
	global_load_dword v22, v22, s[8:9]
.LBB367_45:
	s_or_b64 exec, exec, s[10:11]
	v_or_b32_e32 v24, 0x580, v0
	v_cmp_gt_u32_e32 vcc, s14, v24
                                        ; implicit-def: $vgpr23
	s_and_saveexec_b64 s[10:11], vcc
	s_cbranch_execz .LBB367_47
; %bb.46:
	v_lshlrev_b32_e32 v23, 2, v24
	global_load_dword v23, v23, s[8:9]
.LBB367_47:
	s_or_b64 exec, exec, s[10:11]
	v_or_b32_e32 v25, 0x5c0, v0
	v_cmp_gt_u32_e32 vcc, s14, v25
                                        ; implicit-def: $vgpr24
	s_and_saveexec_b64 s[10:11], vcc
	s_cbranch_execz .LBB367_49
; %bb.48:
	v_lshlrev_b32_e32 v24, 2, v25
	global_load_dword v24, v24, s[8:9]
.LBB367_49:
	s_or_b64 exec, exec, s[10:11]
	v_or_b32_e32 v26, 0x600, v0
	v_cmp_gt_u32_e32 vcc, s14, v26
                                        ; implicit-def: $vgpr25
	s_and_saveexec_b64 s[10:11], vcc
	s_cbranch_execz .LBB367_51
; %bb.50:
	v_lshlrev_b32_e32 v25, 2, v26
	global_load_dword v25, v25, s[8:9]
.LBB367_51:
	s_or_b64 exec, exec, s[10:11]
	v_or_b32_e32 v27, 0x640, v0
	v_cmp_gt_u32_e32 vcc, s14, v27
                                        ; implicit-def: $vgpr26
	s_and_saveexec_b64 s[10:11], vcc
	s_cbranch_execz .LBB367_53
; %bb.52:
	v_lshlrev_b32_e32 v26, 2, v27
	global_load_dword v26, v26, s[8:9]
.LBB367_53:
	s_or_b64 exec, exec, s[10:11]
	v_or_b32_e32 v28, 0x680, v0
	v_cmp_gt_u32_e32 vcc, s14, v28
                                        ; implicit-def: $vgpr27
	s_and_saveexec_b64 s[10:11], vcc
	s_cbranch_execz .LBB367_55
; %bb.54:
	v_lshlrev_b32_e32 v27, 2, v28
	global_load_dword v27, v27, s[8:9]
.LBB367_55:
	s_or_b64 exec, exec, s[10:11]
	v_or_b32_e32 v29, 0x6c0, v0
	v_cmp_gt_u32_e32 vcc, s14, v29
                                        ; implicit-def: $vgpr28
	s_and_saveexec_b64 s[10:11], vcc
	s_cbranch_execz .LBB367_57
; %bb.56:
	v_lshlrev_b32_e32 v28, 2, v29
	global_load_dword v28, v28, s[8:9]
.LBB367_57:
	s_or_b64 exec, exec, s[10:11]
	v_or_b32_e32 v30, 0x700, v0
	v_cmp_gt_u32_e32 vcc, s14, v30
                                        ; implicit-def: $vgpr29
	s_and_saveexec_b64 s[10:11], vcc
	s_cbranch_execz .LBB367_59
; %bb.58:
	v_lshlrev_b32_e32 v29, 2, v30
	global_load_dword v29, v29, s[8:9]
.LBB367_59:
	s_or_b64 exec, exec, s[10:11]
	v_lshlrev_b32_e32 v30, 2, v0
	s_mov_b64 s[8:9], 0
	s_waitcnt vmcnt(0)
	ds_write2st64_b32 v30, v1, v2 offset1:1
	ds_write2st64_b32 v30, v3, v4 offset0:2 offset1:3
	ds_write2st64_b32 v30, v5, v6 offset0:4 offset1:5
	;; [unrolled: 1-line block ×13, first 2 shown]
	ds_write_b32 v30, v29 offset:7168
	s_waitcnt lgkmcnt(0)
	; wave barrier
.LBB367_60:
	s_and_b64 vcc, exec, s[8:9]
	v_lshlrev_b32_e32 v2, 2, v0
	s_cbranch_vccz .LBB367_62
; %bb.61:
	s_lshl_b64 s[8:9], s[62:63], 2
	s_add_u32 s8, s12, s8
	s_addc_u32 s9, s13, s9
	v_mov_b32_e32 v3, 0
	v_lshl_add_u64 v[4:5], s[8:9], 0, v[2:3]
	global_load_dword v1, v2, s[8:9]
	global_load_dword v3, v2, s[8:9] offset:256
	global_load_dword v6, v2, s[8:9] offset:512
	;; [unrolled: 1-line block ×15, first 2 shown]
	s_movk_i32 s8, 0x1000
	v_add_co_u32_e32 v4, vcc, s8, v4
	s_nop 1
	v_addc_co_u32_e32 v5, vcc, 0, v5, vcc
	global_load_dword v20, v[4:5], off
	global_load_dword v21, v[4:5], off offset:256
	global_load_dword v22, v[4:5], off offset:512
	;; [unrolled: 1-line block ×12, first 2 shown]
	s_waitcnt vmcnt(27)
	ds_write2st64_b32 v2, v1, v3 offset1:1
	s_waitcnt vmcnt(25)
	ds_write2st64_b32 v2, v6, v7 offset0:2 offset1:3
	s_waitcnt vmcnt(23)
	ds_write2st64_b32 v2, v8, v9 offset0:4 offset1:5
	s_waitcnt vmcnt(21)
	ds_write2st64_b32 v2, v10, v11 offset0:6 offset1:7
	s_waitcnt vmcnt(19)
	ds_write2st64_b32 v2, v12, v13 offset0:8 offset1:9
	s_waitcnt vmcnt(17)
	ds_write2st64_b32 v2, v14, v15 offset0:10 offset1:11
	s_waitcnt vmcnt(15)
	ds_write2st64_b32 v2, v16, v17 offset0:12 offset1:13
	s_waitcnt vmcnt(13)
	ds_write2st64_b32 v2, v18, v19 offset0:14 offset1:15
	s_waitcnt vmcnt(11)
	ds_write2st64_b32 v2, v20, v21 offset0:16 offset1:17
	s_waitcnt vmcnt(9)
	ds_write2st64_b32 v2, v22, v23 offset0:18 offset1:19
	s_waitcnt vmcnt(7)
	ds_write2st64_b32 v2, v24, v25 offset0:20 offset1:21
	s_waitcnt vmcnt(5)
	ds_write2st64_b32 v2, v26, v27 offset0:22 offset1:23
	s_waitcnt vmcnt(3)
	ds_write2st64_b32 v2, v28, v29 offset0:24 offset1:25
	s_waitcnt vmcnt(1)
	ds_write2st64_b32 v2, v30, v31 offset0:26 offset1:27
	s_waitcnt vmcnt(0)
	ds_write_b32 v2, v32 offset:7168
	s_waitcnt lgkmcnt(0)
	; wave barrier
.LBB367_62:
	v_mul_u32_u24_e32 v1, 29, v0
	v_lshlrev_b32_e32 v1, 2, v1
	s_waitcnt lgkmcnt(0)
	ds_read_b32 v3, v1
	ds_read2_b32 v[30:31], v1 offset0:1 offset1:2
	ds_read2_b32 v[28:29], v1 offset0:3 offset1:4
	;; [unrolled: 1-line block ×14, first 2 shown]
	s_cmp_eq_u64 s[2:3], 0
	s_waitcnt lgkmcnt(0)
	; wave barrier
	s_waitcnt lgkmcnt(0)
	s_cbranch_scc1 .LBB367_67
; %bb.63:
	s_lshl_b64 s[8:9], s[62:63], 2
	s_add_u32 s8, s12, s8
	s_addc_u32 s9, s13, s9
	s_add_u32 s8, s8, -4
	s_addc_u32 s9, s9, -1
	s_load_dword s8, s[8:9], 0x0
	s_cmp_eq_u64 s[2:3], s[6:7]
	s_cbranch_scc1 .LBB367_68
; %bb.64:
	v_cmp_ne_u32_e32 vcc, 0, v0
	s_waitcnt lgkmcnt(0)
	v_mov_b32_e32 v1, s8
	ds_write_b32 v2, v5
	s_waitcnt lgkmcnt(0)
	; wave barrier
	s_waitcnt lgkmcnt(0)
	s_and_saveexec_b64 s[6:7], vcc
	s_cbranch_execz .LBB367_66
; %bb.65:
	v_add_u32_e32 v1, -4, v2
	ds_read_b32 v1, v1
.LBB367_66:
	s_or_b64 exec, exec, s[6:7]
	s_waitcnt lgkmcnt(0)
	v_sub_u32_e32 v1, v3, v1
	v_mov_b32_e32 v32, v4
	v_mov_b32_e32 v33, v7
	;; [unrolled: 1-line block ×28, first 2 shown]
	s_branch .LBB367_72
.LBB367_67:
                                        ; implicit-def: $vgpr32
                                        ; implicit-def: $vgpr33
                                        ; implicit-def: $vgpr34
                                        ; implicit-def: $vgpr35
                                        ; implicit-def: $vgpr36
                                        ; implicit-def: $vgpr37
                                        ; implicit-def: $vgpr38
                                        ; implicit-def: $vgpr39
                                        ; implicit-def: $vgpr40
                                        ; implicit-def: $vgpr41
                                        ; implicit-def: $vgpr42
                                        ; implicit-def: $vgpr43
                                        ; implicit-def: $vgpr44
                                        ; implicit-def: $vgpr45
                                        ; implicit-def: $vgpr46
                                        ; implicit-def: $vgpr47
                                        ; implicit-def: $vgpr48
                                        ; implicit-def: $vgpr49
                                        ; implicit-def: $vgpr50
                                        ; implicit-def: $vgpr51
                                        ; implicit-def: $vgpr58
                                        ; implicit-def: $vgpr59
                                        ; implicit-def: $vgpr56
                                        ; implicit-def: $vgpr57
                                        ; implicit-def: $vgpr54
                                        ; implicit-def: $vgpr55
                                        ; implicit-def: $vgpr52
                                        ; implicit-def: $vgpr53
                                        ; implicit-def: $vgpr1
	s_branch .LBB367_73
.LBB367_68:
                                        ; implicit-def: $vgpr32
                                        ; implicit-def: $vgpr33
                                        ; implicit-def: $vgpr34
                                        ; implicit-def: $vgpr35
                                        ; implicit-def: $vgpr36
                                        ; implicit-def: $vgpr37
                                        ; implicit-def: $vgpr38
                                        ; implicit-def: $vgpr39
                                        ; implicit-def: $vgpr40
                                        ; implicit-def: $vgpr41
                                        ; implicit-def: $vgpr42
                                        ; implicit-def: $vgpr43
                                        ; implicit-def: $vgpr44
                                        ; implicit-def: $vgpr45
                                        ; implicit-def: $vgpr46
                                        ; implicit-def: $vgpr47
                                        ; implicit-def: $vgpr48
                                        ; implicit-def: $vgpr49
                                        ; implicit-def: $vgpr50
                                        ; implicit-def: $vgpr51
                                        ; implicit-def: $vgpr58
                                        ; implicit-def: $vgpr59
                                        ; implicit-def: $vgpr56
                                        ; implicit-def: $vgpr57
                                        ; implicit-def: $vgpr54
                                        ; implicit-def: $vgpr55
                                        ; implicit-def: $vgpr52
                                        ; implicit-def: $vgpr1
	v_mov_b32_e32 v53, v3
	s_cbranch_execz .LBB367_72
; %bb.69:
	v_mul_u32_u24_e32 v1, 29, v0
	v_cmp_ne_u32_e32 vcc, 0, v0
	s_waitcnt lgkmcnt(0)
	v_mov_b32_e32 v60, s8
	ds_write_b32 v2, v5
	s_waitcnt lgkmcnt(0)
	; wave barrier
	s_waitcnt lgkmcnt(0)
	s_and_saveexec_b64 s[6:7], vcc
	s_cbranch_execz .LBB367_71
; %bb.70:
	v_add_u32_e32 v32, -4, v2
	ds_read_b32 v60, v32
.LBB367_71:
	s_or_b64 exec, exec, s[6:7]
	s_mulk_i32 s2, 0xf8c0
	s_add_i32 s2, s2, s66
	v_add_u32_e32 v32, 27, v1
	v_add_u32_e32 v34, 28, v1
	v_cmp_gt_u32_e32 vcc, s2, v32
	v_add_u32_e32 v36, 26, v1
	v_add_u32_e32 v38, 24, v1
	v_cndmask_b32_e32 v33, 0, v7, vcc
	v_cmp_gt_u32_e32 vcc, s2, v34
	v_add_u32_e32 v34, 25, v1
	v_add_u32_e32 v40, 22, v1
	v_cndmask_b32_e32 v32, 0, v4, vcc
	;; [unrolled: 4-line block ×7, first 2 shown]
	v_cmp_gt_u32_e32 vcc, s2, v40
	v_add_u32_e32 v40, 19, v1
	s_nop 0
	v_cndmask_b32_e32 v38, 0, v8, vcc
	v_cmp_gt_u32_e32 vcc, s2, v40
	s_nop 1
	v_cndmask_b32_e32 v41, 0, v15, vcc
	v_cmp_gt_u32_e32 vcc, s2, v42
	v_add_u32_e32 v42, 17, v1
	s_nop 0
	v_cndmask_b32_e32 v40, 0, v10, vcc
	v_cmp_gt_u32_e32 vcc, s2, v42
	s_nop 1
	v_cndmask_b32_e32 v43, 0, v17, vcc
	;; [unrolled: 7-line block ×6, first 2 shown]
	v_cmp_gt_u32_e32 vcc, s2, v52
	v_add_u32_e32 v52, 7, v1
	s_nop 0
	v_cndmask_b32_e32 v50, 0, v22, vcc
	v_cmp_gt_u32_e32 vcc, s2, v52
	v_add_u32_e32 v52, 5, v1
	s_nop 0
	v_cndmask_b32_e32 v59, 0, v27, vcc
	;; [unrolled: 4-line block ×6, first 2 shown]
	v_cmp_gt_u32_e32 vcc, s2, v53
	s_nop 1
	v_cndmask_b32_e32 v54, 0, v28, vcc
	v_cmp_gt_u32_e32 vcc, s2, v52
	s_nop 1
	v_cndmask_b32_e32 v53, 0, v3, vcc
	;; [unrolled: 3-line block ×3, first 2 shown]
	v_cmp_gt_u32_e32 vcc, s2, v1
	s_waitcnt lgkmcnt(0)
	s_nop 0
	v_cndmask_b32_e32 v1, 0, v60, vcc
	v_sub_u32_e32 v1, v3, v1
.LBB367_72:
	s_cbranch_execnz .LBB367_82
.LBB367_73:
	s_cmp_eq_u64 s[4:5], 1
	v_cmp_ne_u32_e32 vcc, 0, v0
	s_cbranch_scc1 .LBB367_77
; %bb.74:
	v_mov_b32_e32 v1, v3
	ds_write_b32 v2, v5
	s_waitcnt lgkmcnt(0)
	; wave barrier
	s_waitcnt lgkmcnt(0)
	s_and_saveexec_b64 s[2:3], vcc
	s_cbranch_execz .LBB367_76
; %bb.75:
	v_add_u32_e32 v1, -4, v2
	ds_read_b32 v1, v1
	s_waitcnt lgkmcnt(0)
	v_sub_u32_e32 v1, v3, v1
.LBB367_76:
	s_or_b64 exec, exec, s[2:3]
	v_mov_b32_e32 v32, v4
	v_mov_b32_e32 v33, v7
	;; [unrolled: 1-line block ×27, first 2 shown]
	s_cbranch_execz .LBB367_78
	s_branch .LBB367_81
.LBB367_77:
                                        ; implicit-def: $vgpr32
                                        ; implicit-def: $vgpr33
                                        ; implicit-def: $vgpr34
                                        ; implicit-def: $vgpr35
                                        ; implicit-def: $vgpr36
                                        ; implicit-def: $vgpr37
                                        ; implicit-def: $vgpr38
                                        ; implicit-def: $vgpr39
                                        ; implicit-def: $vgpr40
                                        ; implicit-def: $vgpr41
                                        ; implicit-def: $vgpr42
                                        ; implicit-def: $vgpr43
                                        ; implicit-def: $vgpr44
                                        ; implicit-def: $vgpr45
                                        ; implicit-def: $vgpr46
                                        ; implicit-def: $vgpr47
                                        ; implicit-def: $vgpr48
                                        ; implicit-def: $vgpr49
                                        ; implicit-def: $vgpr50
                                        ; implicit-def: $vgpr51
                                        ; implicit-def: $vgpr58
                                        ; implicit-def: $vgpr59
                                        ; implicit-def: $vgpr56
                                        ; implicit-def: $vgpr57
                                        ; implicit-def: $vgpr54
                                        ; implicit-def: $vgpr55
                                        ; implicit-def: $vgpr52
                                        ; implicit-def: $vgpr1
.LBB367_78:
	v_mad_u32_u24 v32, v0, 29, 27
	v_mad_u32_u24 v33, v0, 29, 28
	v_cmp_gt_u32_e32 vcc, s66, v33
	v_cmp_gt_u32_e64 s[2:3], s66, v32
	v_mad_u32_u24 v32, v0, 29, 25
	v_mad_u32_u24 v33, v0, 29, 26
	v_cmp_gt_u32_e64 s[4:5], s66, v33
	v_cmp_gt_u32_e64 s[6:7], s66, v32
	v_mad_u32_u24 v32, v0, 29, 23
	v_mad_u32_u24 v33, v0, 29, 24
	s_waitcnt lgkmcnt(0)
	v_cmp_gt_u32_e64 s[8:9], s66, v33
	v_cmp_gt_u32_e64 s[10:11], s66, v32
	v_mad_u32_u24 v32, v0, 29, 21
	v_mad_u32_u24 v33, v0, 29, 22
	v_cmp_gt_u32_e64 s[12:13], s66, v33
	v_cmp_gt_u32_e64 s[14:15], s66, v32
	v_mad_u32_u24 v32, v0, 29, 19
	v_mad_u32_u24 v33, v0, 29, 20
	;; [unrolled: 4-line block ×9, first 2 shown]
	v_mul_u32_u24_e32 v1, 29, v0
	v_cmp_gt_u32_e64 s[46:47], s66, v33
	v_cmp_gt_u32_e64 s[48:49], s66, v32
	v_mad_u32_u24 v32, v0, 29, 3
	v_mad_u32_u24 v33, v0, 29, 4
	v_cmp_gt_u32_e64 s[50:51], s66, v33
	v_cmp_gt_u32_e64 s[52:53], s66, v32
	v_mad_u32_u24 v32, v0, 29, 1
	v_mad_u32_u24 v33, v0, 29, 2
	v_cmp_ne_u32_e64 s[58:59], 0, v0
	v_cmp_gt_u32_e64 s[60:61], s66, v1
	v_cmp_gt_u32_e64 s[54:55], s66, v33
	;; [unrolled: 1-line block ×3, first 2 shown]
	s_and_b64 s[60:61], s[58:59], s[60:61]
	v_mov_b32_e32 v1, v3
	ds_write_b32 v2, v5
	s_waitcnt lgkmcnt(0)
	; wave barrier
	s_waitcnt lgkmcnt(0)
	s_and_saveexec_b64 s[58:59], s[60:61]
	s_cbranch_execz .LBB367_80
; %bb.79:
	v_add_u32_e32 v1, -4, v2
	ds_read_b32 v1, v1
	s_waitcnt lgkmcnt(0)
	v_sub_u32_e32 v1, v3, v1
.LBB367_80:
	s_or_b64 exec, exec, s[58:59]
	v_cndmask_b32_e64 v33, 0, v7, s[2:3]
	v_cndmask_b32_e32 v32, 0, v4, vcc
	v_cndmask_b32_e64 v35, 0, v13, s[6:7]
	v_cndmask_b32_e64 v34, 0, v6, s[4:5]
	;; [unrolled: 1-line block ×26, first 2 shown]
.LBB367_81:
	v_mov_b32_e32 v53, v3
.LBB367_82:
	s_add_u32 s4, s64, s68
	s_addc_u32 s5, s65, s69
	v_sub_u32_e32 v52, v31, v52
	v_sub_u32_e32 v53, v30, v53
	;; [unrolled: 1-line block ×28, first 2 shown]
	s_and_b64 vcc, exec, s[0:1]
	s_waitcnt lgkmcnt(0)
	; wave barrier
	s_waitcnt lgkmcnt(0)
	s_cbranch_vccz .LBB367_140
; %bb.83:
	s_movk_i32 s2, 0x74
	v_mul_i32_i24_e32 v63, 0xffffff90, v0
	v_mul_u32_u24_e32 v62, 0x74, v0
	v_mad_u32_u24 v3, v0, s2, v63
	ds_write_b32 v62, v1
	ds_write2_b32 v62, v53, v52 offset0:1 offset1:2
	ds_write2_b32 v62, v55, v54 offset0:3 offset1:4
	ds_write2_b32 v62, v57, v56 offset0:5 offset1:6
	ds_write2_b32 v62, v59, v58 offset0:7 offset1:8
	ds_write2_b32 v62, v51, v50 offset0:9 offset1:10
	ds_write2_b32 v62, v49, v48 offset0:11 offset1:12
	ds_write2_b32 v62, v47, v46 offset0:13 offset1:14
	ds_write2_b32 v62, v45, v44 offset0:15 offset1:16
	ds_write2_b32 v62, v43, v42 offset0:17 offset1:18
	ds_write2_b32 v62, v41, v40 offset0:19 offset1:20
	ds_write2_b32 v62, v39, v38 offset0:21 offset1:22
	ds_write2_b32 v62, v37, v36 offset0:23 offset1:24
	ds_write2_b32 v62, v35, v34 offset0:25 offset1:26
	ds_write2_b32 v62, v61, v60 offset0:27 offset1:28
	s_waitcnt lgkmcnt(0)
	; wave barrier
	s_waitcnt lgkmcnt(0)
	ds_read2st64_b32 v[32:33], v3 offset0:1 offset1:2
	ds_read2st64_b32 v[30:31], v3 offset0:3 offset1:4
	;; [unrolled: 1-line block ×14, first 2 shown]
	s_add_i32 s33, s33, s66
	s_lshl_b64 s[0:1], s[62:63], 2
	s_add_u32 s0, s4, s0
	s_addc_u32 s1, s5, s1
	v_mov_b32_e32 v3, 0
	v_lshl_add_u64 v[6:7], s[0:1], 0, v[2:3]
	v_cmp_gt_u32_e32 vcc, s33, v0
	s_and_saveexec_b64 s[0:1], vcc
	s_cbranch_execz .LBB367_85
; %bb.84:
	v_add_u32_e32 v3, v62, v63
	ds_read_b32 v3, v3
	s_waitcnt lgkmcnt(0)
	global_store_dword v[6:7], v3, off
.LBB367_85:
	s_or_b64 exec, exec, s[0:1]
	v_or_b32_e32 v3, 64, v0
	v_cmp_gt_u32_e32 vcc, s33, v3
	s_and_saveexec_b64 s[0:1], vcc
	s_cbranch_execz .LBB367_87
; %bb.86:
	s_waitcnt lgkmcnt(13)
	global_store_dword v[6:7], v32, off offset:256
.LBB367_87:
	s_or_b64 exec, exec, s[0:1]
	v_or_b32_e32 v3, 0x80, v0
	v_cmp_gt_u32_e32 vcc, s33, v3
	s_and_saveexec_b64 s[0:1], vcc
	s_cbranch_execz .LBB367_89
; %bb.88:
	s_waitcnt lgkmcnt(13)
	global_store_dword v[6:7], v33, off offset:512
.LBB367_89:
	;; [unrolled: 9-line block ×15, first 2 shown]
	s_or_b64 exec, exec, s[0:1]
	v_or_b32_e32 v3, 0x400, v0
	v_cmp_gt_u32_e32 vcc, s33, v3
	s_and_saveexec_b64 s[0:1], vcc
	s_cbranch_execz .LBB367_117
; %bb.116:
	s_waitcnt lgkmcnt(7)
	v_add_co_u32_e32 v20, vcc, 0x1000, v6
	s_nop 1
	v_addc_co_u32_e32 v21, vcc, 0, v7, vcc
	s_waitcnt lgkmcnt(6)
	global_store_dword v[20:21], v19, off
.LBB367_117:
	s_or_b64 exec, exec, s[0:1]
	v_or_b32_e32 v3, 0x440, v0
	v_cmp_gt_u32_e32 vcc, s33, v3
	s_and_saveexec_b64 s[0:1], vcc
	s_cbranch_execz .LBB367_119
; %bb.118:
	s_waitcnt lgkmcnt(6)
	v_add_co_u32_e32 v18, vcc, 0x1000, v6
	s_nop 1
	v_addc_co_u32_e32 v19, vcc, 0, v7, vcc
	s_waitcnt lgkmcnt(5)
	global_store_dword v[18:19], v16, off offset:256
.LBB367_119:
	s_or_b64 exec, exec, s[0:1]
	v_or_b32_e32 v3, 0x480, v0
	v_cmp_gt_u32_e32 vcc, s33, v3
	s_and_saveexec_b64 s[0:1], vcc
	s_cbranch_execz .LBB367_121
; %bb.120:
	s_waitcnt lgkmcnt(6)
	v_add_co_u32_e32 v18, vcc, 0x1000, v6
	s_nop 1
	v_addc_co_u32_e32 v19, vcc, 0, v7, vcc
	s_waitcnt lgkmcnt(5)
	global_store_dword v[18:19], v17, off offset:512
.LBB367_121:
	;; [unrolled: 13-line block ×11, first 2 shown]
	s_or_b64 exec, exec, s[0:1]
	v_or_b32_e32 v3, 0x700, v0
	v_cmp_gt_u32_e64 s[0:1], s33, v3
	s_branch .LBB367_142
.LBB367_140:
	s_mov_b64 s[0:1], 0
                                        ; implicit-def: $vgpr5
                                        ; implicit-def: $vgpr6_vgpr7
	s_cbranch_execz .LBB367_142
; %bb.141:
	s_lshl_b64 s[2:3], s[62:63], 2
	v_mul_u32_u24_e32 v3, 0x74, v0
	s_add_u32 s2, s4, s2
	s_movk_i32 s4, 0x74
	ds_write_b32 v3, v1
	ds_write2_b32 v3, v53, v52 offset0:1 offset1:2
	ds_write2_b32 v3, v55, v54 offset0:3 offset1:4
	;; [unrolled: 1-line block ×14, first 2 shown]
	v_mul_i32_i24_e32 v1, 0xffffff90, v0
	v_mad_u32_u24 v3, v0, s4, v1
	s_addc_u32 s3, s5, s3
	s_waitcnt lgkmcnt(0)
	; wave barrier
	s_waitcnt lgkmcnt(0)
	ds_read2st64_b32 v[0:1], v3 offset1:1
	ds_read2st64_b32 v[8:9], v3 offset0:2 offset1:3
	ds_read2st64_b32 v[10:11], v3 offset0:4 offset1:5
	;; [unrolled: 1-line block ×13, first 2 shown]
	ds_read_b32 v5, v3 offset:7168
	v_mov_b32_e32 v3, 0
	v_lshl_add_u64 v[6:7], s[2:3], 0, v[2:3]
	s_waitcnt lgkmcnt(14)
	global_store_dword v2, v0, s[2:3]
	global_store_dword v2, v1, s[2:3] offset:256
	s_waitcnt lgkmcnt(13)
	global_store_dword v2, v8, s[2:3] offset:512
	global_store_dword v2, v9, s[2:3] offset:768
	s_waitcnt lgkmcnt(12)
	global_store_dword v2, v10, s[2:3] offset:1024
	;; [unrolled: 3-line block ×7, first 2 shown]
	global_store_dword v2, v21, s[2:3] offset:3840
	s_movk_i32 s2, 0x1000
	v_add_co_u32_e32 v0, vcc, s2, v6
	s_or_b64 s[0:1], s[0:1], exec
	s_nop 0
	v_addc_co_u32_e32 v1, vcc, 0, v7, vcc
	s_waitcnt lgkmcnt(6)
	global_store_dword v[0:1], v22, off
	global_store_dword v[0:1], v23, off offset:256
	s_waitcnt lgkmcnt(5)
	global_store_dword v[0:1], v24, off offset:512
	global_store_dword v[0:1], v25, off offset:768
	s_waitcnt lgkmcnt(4)
	global_store_dword v[0:1], v26, off offset:1024
	;; [unrolled: 3-line block ×5, first 2 shown]
	global_store_dword v[0:1], v33, off offset:2816
.LBB367_142:
	s_and_saveexec_b64 s[2:3], s[0:1]
	s_cbranch_execnz .LBB367_144
; %bb.143:
	s_endpgm
.LBB367_144:
	v_add_co_u32_e32 v0, vcc, 0x1000, v6
	s_nop 1
	v_addc_co_u32_e32 v1, vcc, 0, v7, vcc
	s_waitcnt lgkmcnt(0)
	global_store_dword v[0:1], v5, off offset:3072
	s_endpgm
	.section	.rodata,"a",@progbits
	.p2align	6, 0x0
	.amdhsa_kernel _ZN7rocprim17ROCPRIM_400000_NS6detail17trampoline_kernelINS0_14default_configENS1_35adjacent_difference_config_selectorILb0EjEEZNS1_24adjacent_difference_implIS3_Lb0ELb0EPjS7_N6thrust23THRUST_200600_302600_NS5minusIjEEEE10hipError_tPvRmT2_T3_mT4_P12ihipStream_tbEUlT_E_NS1_11comp_targetILNS1_3genE5ELNS1_11target_archE942ELNS1_3gpuE9ELNS1_3repE0EEENS1_30default_config_static_selectorELNS0_4arch9wavefront6targetE1EEEvT1_
		.amdhsa_group_segment_fixed_size 7424
		.amdhsa_private_segment_fixed_size 0
		.amdhsa_kernarg_size 56
		.amdhsa_user_sgpr_count 2
		.amdhsa_user_sgpr_dispatch_ptr 0
		.amdhsa_user_sgpr_queue_ptr 0
		.amdhsa_user_sgpr_kernarg_segment_ptr 1
		.amdhsa_user_sgpr_dispatch_id 0
		.amdhsa_user_sgpr_kernarg_preload_length 0
		.amdhsa_user_sgpr_kernarg_preload_offset 0
		.amdhsa_user_sgpr_private_segment_size 0
		.amdhsa_uses_dynamic_stack 0
		.amdhsa_enable_private_segment 0
		.amdhsa_system_sgpr_workgroup_id_x 1
		.amdhsa_system_sgpr_workgroup_id_y 0
		.amdhsa_system_sgpr_workgroup_id_z 0
		.amdhsa_system_sgpr_workgroup_info 0
		.amdhsa_system_vgpr_workitem_id 0
		.amdhsa_next_free_vgpr 64
		.amdhsa_next_free_sgpr 70
		.amdhsa_accum_offset 64
		.amdhsa_reserve_vcc 1
		.amdhsa_float_round_mode_32 0
		.amdhsa_float_round_mode_16_64 0
		.amdhsa_float_denorm_mode_32 3
		.amdhsa_float_denorm_mode_16_64 3
		.amdhsa_dx10_clamp 1
		.amdhsa_ieee_mode 1
		.amdhsa_fp16_overflow 0
		.amdhsa_tg_split 0
		.amdhsa_exception_fp_ieee_invalid_op 0
		.amdhsa_exception_fp_denorm_src 0
		.amdhsa_exception_fp_ieee_div_zero 0
		.amdhsa_exception_fp_ieee_overflow 0
		.amdhsa_exception_fp_ieee_underflow 0
		.amdhsa_exception_fp_ieee_inexact 0
		.amdhsa_exception_int_div_zero 0
	.end_amdhsa_kernel
	.section	.text._ZN7rocprim17ROCPRIM_400000_NS6detail17trampoline_kernelINS0_14default_configENS1_35adjacent_difference_config_selectorILb0EjEEZNS1_24adjacent_difference_implIS3_Lb0ELb0EPjS7_N6thrust23THRUST_200600_302600_NS5minusIjEEEE10hipError_tPvRmT2_T3_mT4_P12ihipStream_tbEUlT_E_NS1_11comp_targetILNS1_3genE5ELNS1_11target_archE942ELNS1_3gpuE9ELNS1_3repE0EEENS1_30default_config_static_selectorELNS0_4arch9wavefront6targetE1EEEvT1_,"axG",@progbits,_ZN7rocprim17ROCPRIM_400000_NS6detail17trampoline_kernelINS0_14default_configENS1_35adjacent_difference_config_selectorILb0EjEEZNS1_24adjacent_difference_implIS3_Lb0ELb0EPjS7_N6thrust23THRUST_200600_302600_NS5minusIjEEEE10hipError_tPvRmT2_T3_mT4_P12ihipStream_tbEUlT_E_NS1_11comp_targetILNS1_3genE5ELNS1_11target_archE942ELNS1_3gpuE9ELNS1_3repE0EEENS1_30default_config_static_selectorELNS0_4arch9wavefront6targetE1EEEvT1_,comdat
.Lfunc_end367:
	.size	_ZN7rocprim17ROCPRIM_400000_NS6detail17trampoline_kernelINS0_14default_configENS1_35adjacent_difference_config_selectorILb0EjEEZNS1_24adjacent_difference_implIS3_Lb0ELb0EPjS7_N6thrust23THRUST_200600_302600_NS5minusIjEEEE10hipError_tPvRmT2_T3_mT4_P12ihipStream_tbEUlT_E_NS1_11comp_targetILNS1_3genE5ELNS1_11target_archE942ELNS1_3gpuE9ELNS1_3repE0EEENS1_30default_config_static_selectorELNS0_4arch9wavefront6targetE1EEEvT1_, .Lfunc_end367-_ZN7rocprim17ROCPRIM_400000_NS6detail17trampoline_kernelINS0_14default_configENS1_35adjacent_difference_config_selectorILb0EjEEZNS1_24adjacent_difference_implIS3_Lb0ELb0EPjS7_N6thrust23THRUST_200600_302600_NS5minusIjEEEE10hipError_tPvRmT2_T3_mT4_P12ihipStream_tbEUlT_E_NS1_11comp_targetILNS1_3genE5ELNS1_11target_archE942ELNS1_3gpuE9ELNS1_3repE0EEENS1_30default_config_static_selectorELNS0_4arch9wavefront6targetE1EEEvT1_
                                        ; -- End function
	.section	.AMDGPU.csdata,"",@progbits
; Kernel info:
; codeLenInByte = 6312
; NumSgprs: 76
; NumVgprs: 64
; NumAgprs: 0
; TotalNumVgprs: 64
; ScratchSize: 0
; MemoryBound: 0
; FloatMode: 240
; IeeeMode: 1
; LDSByteSize: 7424 bytes/workgroup (compile time only)
; SGPRBlocks: 9
; VGPRBlocks: 7
; NumSGPRsForWavesPerEU: 76
; NumVGPRsForWavesPerEU: 64
; AccumOffset: 64
; Occupancy: 2
; WaveLimiterHint : 1
; COMPUTE_PGM_RSRC2:SCRATCH_EN: 0
; COMPUTE_PGM_RSRC2:USER_SGPR: 2
; COMPUTE_PGM_RSRC2:TRAP_HANDLER: 0
; COMPUTE_PGM_RSRC2:TGID_X_EN: 1
; COMPUTE_PGM_RSRC2:TGID_Y_EN: 0
; COMPUTE_PGM_RSRC2:TGID_Z_EN: 0
; COMPUTE_PGM_RSRC2:TIDIG_COMP_CNT: 0
; COMPUTE_PGM_RSRC3_GFX90A:ACCUM_OFFSET: 15
; COMPUTE_PGM_RSRC3_GFX90A:TG_SPLIT: 0
	.section	.text._ZN7rocprim17ROCPRIM_400000_NS6detail17trampoline_kernelINS0_14default_configENS1_35adjacent_difference_config_selectorILb0EjEEZNS1_24adjacent_difference_implIS3_Lb0ELb0EPjS7_N6thrust23THRUST_200600_302600_NS5minusIjEEEE10hipError_tPvRmT2_T3_mT4_P12ihipStream_tbEUlT_E_NS1_11comp_targetILNS1_3genE4ELNS1_11target_archE910ELNS1_3gpuE8ELNS1_3repE0EEENS1_30default_config_static_selectorELNS0_4arch9wavefront6targetE1EEEvT1_,"axG",@progbits,_ZN7rocprim17ROCPRIM_400000_NS6detail17trampoline_kernelINS0_14default_configENS1_35adjacent_difference_config_selectorILb0EjEEZNS1_24adjacent_difference_implIS3_Lb0ELb0EPjS7_N6thrust23THRUST_200600_302600_NS5minusIjEEEE10hipError_tPvRmT2_T3_mT4_P12ihipStream_tbEUlT_E_NS1_11comp_targetILNS1_3genE4ELNS1_11target_archE910ELNS1_3gpuE8ELNS1_3repE0EEENS1_30default_config_static_selectorELNS0_4arch9wavefront6targetE1EEEvT1_,comdat
	.protected	_ZN7rocprim17ROCPRIM_400000_NS6detail17trampoline_kernelINS0_14default_configENS1_35adjacent_difference_config_selectorILb0EjEEZNS1_24adjacent_difference_implIS3_Lb0ELb0EPjS7_N6thrust23THRUST_200600_302600_NS5minusIjEEEE10hipError_tPvRmT2_T3_mT4_P12ihipStream_tbEUlT_E_NS1_11comp_targetILNS1_3genE4ELNS1_11target_archE910ELNS1_3gpuE8ELNS1_3repE0EEENS1_30default_config_static_selectorELNS0_4arch9wavefront6targetE1EEEvT1_ ; -- Begin function _ZN7rocprim17ROCPRIM_400000_NS6detail17trampoline_kernelINS0_14default_configENS1_35adjacent_difference_config_selectorILb0EjEEZNS1_24adjacent_difference_implIS3_Lb0ELb0EPjS7_N6thrust23THRUST_200600_302600_NS5minusIjEEEE10hipError_tPvRmT2_T3_mT4_P12ihipStream_tbEUlT_E_NS1_11comp_targetILNS1_3genE4ELNS1_11target_archE910ELNS1_3gpuE8ELNS1_3repE0EEENS1_30default_config_static_selectorELNS0_4arch9wavefront6targetE1EEEvT1_
	.globl	_ZN7rocprim17ROCPRIM_400000_NS6detail17trampoline_kernelINS0_14default_configENS1_35adjacent_difference_config_selectorILb0EjEEZNS1_24adjacent_difference_implIS3_Lb0ELb0EPjS7_N6thrust23THRUST_200600_302600_NS5minusIjEEEE10hipError_tPvRmT2_T3_mT4_P12ihipStream_tbEUlT_E_NS1_11comp_targetILNS1_3genE4ELNS1_11target_archE910ELNS1_3gpuE8ELNS1_3repE0EEENS1_30default_config_static_selectorELNS0_4arch9wavefront6targetE1EEEvT1_
	.p2align	8
	.type	_ZN7rocprim17ROCPRIM_400000_NS6detail17trampoline_kernelINS0_14default_configENS1_35adjacent_difference_config_selectorILb0EjEEZNS1_24adjacent_difference_implIS3_Lb0ELb0EPjS7_N6thrust23THRUST_200600_302600_NS5minusIjEEEE10hipError_tPvRmT2_T3_mT4_P12ihipStream_tbEUlT_E_NS1_11comp_targetILNS1_3genE4ELNS1_11target_archE910ELNS1_3gpuE8ELNS1_3repE0EEENS1_30default_config_static_selectorELNS0_4arch9wavefront6targetE1EEEvT1_,@function
_ZN7rocprim17ROCPRIM_400000_NS6detail17trampoline_kernelINS0_14default_configENS1_35adjacent_difference_config_selectorILb0EjEEZNS1_24adjacent_difference_implIS3_Lb0ELb0EPjS7_N6thrust23THRUST_200600_302600_NS5minusIjEEEE10hipError_tPvRmT2_T3_mT4_P12ihipStream_tbEUlT_E_NS1_11comp_targetILNS1_3genE4ELNS1_11target_archE910ELNS1_3gpuE8ELNS1_3repE0EEENS1_30default_config_static_selectorELNS0_4arch9wavefront6targetE1EEEvT1_: ; @_ZN7rocprim17ROCPRIM_400000_NS6detail17trampoline_kernelINS0_14default_configENS1_35adjacent_difference_config_selectorILb0EjEEZNS1_24adjacent_difference_implIS3_Lb0ELb0EPjS7_N6thrust23THRUST_200600_302600_NS5minusIjEEEE10hipError_tPvRmT2_T3_mT4_P12ihipStream_tbEUlT_E_NS1_11comp_targetILNS1_3genE4ELNS1_11target_archE910ELNS1_3gpuE8ELNS1_3repE0EEENS1_30default_config_static_selectorELNS0_4arch9wavefront6targetE1EEEvT1_
; %bb.0:
	.section	.rodata,"a",@progbits
	.p2align	6, 0x0
	.amdhsa_kernel _ZN7rocprim17ROCPRIM_400000_NS6detail17trampoline_kernelINS0_14default_configENS1_35adjacent_difference_config_selectorILb0EjEEZNS1_24adjacent_difference_implIS3_Lb0ELb0EPjS7_N6thrust23THRUST_200600_302600_NS5minusIjEEEE10hipError_tPvRmT2_T3_mT4_P12ihipStream_tbEUlT_E_NS1_11comp_targetILNS1_3genE4ELNS1_11target_archE910ELNS1_3gpuE8ELNS1_3repE0EEENS1_30default_config_static_selectorELNS0_4arch9wavefront6targetE1EEEvT1_
		.amdhsa_group_segment_fixed_size 0
		.amdhsa_private_segment_fixed_size 0
		.amdhsa_kernarg_size 56
		.amdhsa_user_sgpr_count 2
		.amdhsa_user_sgpr_dispatch_ptr 0
		.amdhsa_user_sgpr_queue_ptr 0
		.amdhsa_user_sgpr_kernarg_segment_ptr 1
		.amdhsa_user_sgpr_dispatch_id 0
		.amdhsa_user_sgpr_kernarg_preload_length 0
		.amdhsa_user_sgpr_kernarg_preload_offset 0
		.amdhsa_user_sgpr_private_segment_size 0
		.amdhsa_uses_dynamic_stack 0
		.amdhsa_enable_private_segment 0
		.amdhsa_system_sgpr_workgroup_id_x 1
		.amdhsa_system_sgpr_workgroup_id_y 0
		.amdhsa_system_sgpr_workgroup_id_z 0
		.amdhsa_system_sgpr_workgroup_info 0
		.amdhsa_system_vgpr_workitem_id 0
		.amdhsa_next_free_vgpr 1
		.amdhsa_next_free_sgpr 0
		.amdhsa_accum_offset 4
		.amdhsa_reserve_vcc 0
		.amdhsa_float_round_mode_32 0
		.amdhsa_float_round_mode_16_64 0
		.amdhsa_float_denorm_mode_32 3
		.amdhsa_float_denorm_mode_16_64 3
		.amdhsa_dx10_clamp 1
		.amdhsa_ieee_mode 1
		.amdhsa_fp16_overflow 0
		.amdhsa_tg_split 0
		.amdhsa_exception_fp_ieee_invalid_op 0
		.amdhsa_exception_fp_denorm_src 0
		.amdhsa_exception_fp_ieee_div_zero 0
		.amdhsa_exception_fp_ieee_overflow 0
		.amdhsa_exception_fp_ieee_underflow 0
		.amdhsa_exception_fp_ieee_inexact 0
		.amdhsa_exception_int_div_zero 0
	.end_amdhsa_kernel
	.section	.text._ZN7rocprim17ROCPRIM_400000_NS6detail17trampoline_kernelINS0_14default_configENS1_35adjacent_difference_config_selectorILb0EjEEZNS1_24adjacent_difference_implIS3_Lb0ELb0EPjS7_N6thrust23THRUST_200600_302600_NS5minusIjEEEE10hipError_tPvRmT2_T3_mT4_P12ihipStream_tbEUlT_E_NS1_11comp_targetILNS1_3genE4ELNS1_11target_archE910ELNS1_3gpuE8ELNS1_3repE0EEENS1_30default_config_static_selectorELNS0_4arch9wavefront6targetE1EEEvT1_,"axG",@progbits,_ZN7rocprim17ROCPRIM_400000_NS6detail17trampoline_kernelINS0_14default_configENS1_35adjacent_difference_config_selectorILb0EjEEZNS1_24adjacent_difference_implIS3_Lb0ELb0EPjS7_N6thrust23THRUST_200600_302600_NS5minusIjEEEE10hipError_tPvRmT2_T3_mT4_P12ihipStream_tbEUlT_E_NS1_11comp_targetILNS1_3genE4ELNS1_11target_archE910ELNS1_3gpuE8ELNS1_3repE0EEENS1_30default_config_static_selectorELNS0_4arch9wavefront6targetE1EEEvT1_,comdat
.Lfunc_end368:
	.size	_ZN7rocprim17ROCPRIM_400000_NS6detail17trampoline_kernelINS0_14default_configENS1_35adjacent_difference_config_selectorILb0EjEEZNS1_24adjacent_difference_implIS3_Lb0ELb0EPjS7_N6thrust23THRUST_200600_302600_NS5minusIjEEEE10hipError_tPvRmT2_T3_mT4_P12ihipStream_tbEUlT_E_NS1_11comp_targetILNS1_3genE4ELNS1_11target_archE910ELNS1_3gpuE8ELNS1_3repE0EEENS1_30default_config_static_selectorELNS0_4arch9wavefront6targetE1EEEvT1_, .Lfunc_end368-_ZN7rocprim17ROCPRIM_400000_NS6detail17trampoline_kernelINS0_14default_configENS1_35adjacent_difference_config_selectorILb0EjEEZNS1_24adjacent_difference_implIS3_Lb0ELb0EPjS7_N6thrust23THRUST_200600_302600_NS5minusIjEEEE10hipError_tPvRmT2_T3_mT4_P12ihipStream_tbEUlT_E_NS1_11comp_targetILNS1_3genE4ELNS1_11target_archE910ELNS1_3gpuE8ELNS1_3repE0EEENS1_30default_config_static_selectorELNS0_4arch9wavefront6targetE1EEEvT1_
                                        ; -- End function
	.section	.AMDGPU.csdata,"",@progbits
; Kernel info:
; codeLenInByte = 0
; NumSgprs: 6
; NumVgprs: 0
; NumAgprs: 0
; TotalNumVgprs: 0
; ScratchSize: 0
; MemoryBound: 0
; FloatMode: 240
; IeeeMode: 1
; LDSByteSize: 0 bytes/workgroup (compile time only)
; SGPRBlocks: 0
; VGPRBlocks: 0
; NumSGPRsForWavesPerEU: 6
; NumVGPRsForWavesPerEU: 1
; AccumOffset: 4
; Occupancy: 8
; WaveLimiterHint : 0
; COMPUTE_PGM_RSRC2:SCRATCH_EN: 0
; COMPUTE_PGM_RSRC2:USER_SGPR: 2
; COMPUTE_PGM_RSRC2:TRAP_HANDLER: 0
; COMPUTE_PGM_RSRC2:TGID_X_EN: 1
; COMPUTE_PGM_RSRC2:TGID_Y_EN: 0
; COMPUTE_PGM_RSRC2:TGID_Z_EN: 0
; COMPUTE_PGM_RSRC2:TIDIG_COMP_CNT: 0
; COMPUTE_PGM_RSRC3_GFX90A:ACCUM_OFFSET: 0
; COMPUTE_PGM_RSRC3_GFX90A:TG_SPLIT: 0
	.section	.text._ZN7rocprim17ROCPRIM_400000_NS6detail17trampoline_kernelINS0_14default_configENS1_35adjacent_difference_config_selectorILb0EjEEZNS1_24adjacent_difference_implIS3_Lb0ELb0EPjS7_N6thrust23THRUST_200600_302600_NS5minusIjEEEE10hipError_tPvRmT2_T3_mT4_P12ihipStream_tbEUlT_E_NS1_11comp_targetILNS1_3genE3ELNS1_11target_archE908ELNS1_3gpuE7ELNS1_3repE0EEENS1_30default_config_static_selectorELNS0_4arch9wavefront6targetE1EEEvT1_,"axG",@progbits,_ZN7rocprim17ROCPRIM_400000_NS6detail17trampoline_kernelINS0_14default_configENS1_35adjacent_difference_config_selectorILb0EjEEZNS1_24adjacent_difference_implIS3_Lb0ELb0EPjS7_N6thrust23THRUST_200600_302600_NS5minusIjEEEE10hipError_tPvRmT2_T3_mT4_P12ihipStream_tbEUlT_E_NS1_11comp_targetILNS1_3genE3ELNS1_11target_archE908ELNS1_3gpuE7ELNS1_3repE0EEENS1_30default_config_static_selectorELNS0_4arch9wavefront6targetE1EEEvT1_,comdat
	.protected	_ZN7rocprim17ROCPRIM_400000_NS6detail17trampoline_kernelINS0_14default_configENS1_35adjacent_difference_config_selectorILb0EjEEZNS1_24adjacent_difference_implIS3_Lb0ELb0EPjS7_N6thrust23THRUST_200600_302600_NS5minusIjEEEE10hipError_tPvRmT2_T3_mT4_P12ihipStream_tbEUlT_E_NS1_11comp_targetILNS1_3genE3ELNS1_11target_archE908ELNS1_3gpuE7ELNS1_3repE0EEENS1_30default_config_static_selectorELNS0_4arch9wavefront6targetE1EEEvT1_ ; -- Begin function _ZN7rocprim17ROCPRIM_400000_NS6detail17trampoline_kernelINS0_14default_configENS1_35adjacent_difference_config_selectorILb0EjEEZNS1_24adjacent_difference_implIS3_Lb0ELb0EPjS7_N6thrust23THRUST_200600_302600_NS5minusIjEEEE10hipError_tPvRmT2_T3_mT4_P12ihipStream_tbEUlT_E_NS1_11comp_targetILNS1_3genE3ELNS1_11target_archE908ELNS1_3gpuE7ELNS1_3repE0EEENS1_30default_config_static_selectorELNS0_4arch9wavefront6targetE1EEEvT1_
	.globl	_ZN7rocprim17ROCPRIM_400000_NS6detail17trampoline_kernelINS0_14default_configENS1_35adjacent_difference_config_selectorILb0EjEEZNS1_24adjacent_difference_implIS3_Lb0ELb0EPjS7_N6thrust23THRUST_200600_302600_NS5minusIjEEEE10hipError_tPvRmT2_T3_mT4_P12ihipStream_tbEUlT_E_NS1_11comp_targetILNS1_3genE3ELNS1_11target_archE908ELNS1_3gpuE7ELNS1_3repE0EEENS1_30default_config_static_selectorELNS0_4arch9wavefront6targetE1EEEvT1_
	.p2align	8
	.type	_ZN7rocprim17ROCPRIM_400000_NS6detail17trampoline_kernelINS0_14default_configENS1_35adjacent_difference_config_selectorILb0EjEEZNS1_24adjacent_difference_implIS3_Lb0ELb0EPjS7_N6thrust23THRUST_200600_302600_NS5minusIjEEEE10hipError_tPvRmT2_T3_mT4_P12ihipStream_tbEUlT_E_NS1_11comp_targetILNS1_3genE3ELNS1_11target_archE908ELNS1_3gpuE7ELNS1_3repE0EEENS1_30default_config_static_selectorELNS0_4arch9wavefront6targetE1EEEvT1_,@function
_ZN7rocprim17ROCPRIM_400000_NS6detail17trampoline_kernelINS0_14default_configENS1_35adjacent_difference_config_selectorILb0EjEEZNS1_24adjacent_difference_implIS3_Lb0ELb0EPjS7_N6thrust23THRUST_200600_302600_NS5minusIjEEEE10hipError_tPvRmT2_T3_mT4_P12ihipStream_tbEUlT_E_NS1_11comp_targetILNS1_3genE3ELNS1_11target_archE908ELNS1_3gpuE7ELNS1_3repE0EEENS1_30default_config_static_selectorELNS0_4arch9wavefront6targetE1EEEvT1_: ; @_ZN7rocprim17ROCPRIM_400000_NS6detail17trampoline_kernelINS0_14default_configENS1_35adjacent_difference_config_selectorILb0EjEEZNS1_24adjacent_difference_implIS3_Lb0ELb0EPjS7_N6thrust23THRUST_200600_302600_NS5minusIjEEEE10hipError_tPvRmT2_T3_mT4_P12ihipStream_tbEUlT_E_NS1_11comp_targetILNS1_3genE3ELNS1_11target_archE908ELNS1_3gpuE7ELNS1_3repE0EEENS1_30default_config_static_selectorELNS0_4arch9wavefront6targetE1EEEvT1_
; %bb.0:
	.section	.rodata,"a",@progbits
	.p2align	6, 0x0
	.amdhsa_kernel _ZN7rocprim17ROCPRIM_400000_NS6detail17trampoline_kernelINS0_14default_configENS1_35adjacent_difference_config_selectorILb0EjEEZNS1_24adjacent_difference_implIS3_Lb0ELb0EPjS7_N6thrust23THRUST_200600_302600_NS5minusIjEEEE10hipError_tPvRmT2_T3_mT4_P12ihipStream_tbEUlT_E_NS1_11comp_targetILNS1_3genE3ELNS1_11target_archE908ELNS1_3gpuE7ELNS1_3repE0EEENS1_30default_config_static_selectorELNS0_4arch9wavefront6targetE1EEEvT1_
		.amdhsa_group_segment_fixed_size 0
		.amdhsa_private_segment_fixed_size 0
		.amdhsa_kernarg_size 56
		.amdhsa_user_sgpr_count 2
		.amdhsa_user_sgpr_dispatch_ptr 0
		.amdhsa_user_sgpr_queue_ptr 0
		.amdhsa_user_sgpr_kernarg_segment_ptr 1
		.amdhsa_user_sgpr_dispatch_id 0
		.amdhsa_user_sgpr_kernarg_preload_length 0
		.amdhsa_user_sgpr_kernarg_preload_offset 0
		.amdhsa_user_sgpr_private_segment_size 0
		.amdhsa_uses_dynamic_stack 0
		.amdhsa_enable_private_segment 0
		.amdhsa_system_sgpr_workgroup_id_x 1
		.amdhsa_system_sgpr_workgroup_id_y 0
		.amdhsa_system_sgpr_workgroup_id_z 0
		.amdhsa_system_sgpr_workgroup_info 0
		.amdhsa_system_vgpr_workitem_id 0
		.amdhsa_next_free_vgpr 1
		.amdhsa_next_free_sgpr 0
		.amdhsa_accum_offset 4
		.amdhsa_reserve_vcc 0
		.amdhsa_float_round_mode_32 0
		.amdhsa_float_round_mode_16_64 0
		.amdhsa_float_denorm_mode_32 3
		.amdhsa_float_denorm_mode_16_64 3
		.amdhsa_dx10_clamp 1
		.amdhsa_ieee_mode 1
		.amdhsa_fp16_overflow 0
		.amdhsa_tg_split 0
		.amdhsa_exception_fp_ieee_invalid_op 0
		.amdhsa_exception_fp_denorm_src 0
		.amdhsa_exception_fp_ieee_div_zero 0
		.amdhsa_exception_fp_ieee_overflow 0
		.amdhsa_exception_fp_ieee_underflow 0
		.amdhsa_exception_fp_ieee_inexact 0
		.amdhsa_exception_int_div_zero 0
	.end_amdhsa_kernel
	.section	.text._ZN7rocprim17ROCPRIM_400000_NS6detail17trampoline_kernelINS0_14default_configENS1_35adjacent_difference_config_selectorILb0EjEEZNS1_24adjacent_difference_implIS3_Lb0ELb0EPjS7_N6thrust23THRUST_200600_302600_NS5minusIjEEEE10hipError_tPvRmT2_T3_mT4_P12ihipStream_tbEUlT_E_NS1_11comp_targetILNS1_3genE3ELNS1_11target_archE908ELNS1_3gpuE7ELNS1_3repE0EEENS1_30default_config_static_selectorELNS0_4arch9wavefront6targetE1EEEvT1_,"axG",@progbits,_ZN7rocprim17ROCPRIM_400000_NS6detail17trampoline_kernelINS0_14default_configENS1_35adjacent_difference_config_selectorILb0EjEEZNS1_24adjacent_difference_implIS3_Lb0ELb0EPjS7_N6thrust23THRUST_200600_302600_NS5minusIjEEEE10hipError_tPvRmT2_T3_mT4_P12ihipStream_tbEUlT_E_NS1_11comp_targetILNS1_3genE3ELNS1_11target_archE908ELNS1_3gpuE7ELNS1_3repE0EEENS1_30default_config_static_selectorELNS0_4arch9wavefront6targetE1EEEvT1_,comdat
.Lfunc_end369:
	.size	_ZN7rocprim17ROCPRIM_400000_NS6detail17trampoline_kernelINS0_14default_configENS1_35adjacent_difference_config_selectorILb0EjEEZNS1_24adjacent_difference_implIS3_Lb0ELb0EPjS7_N6thrust23THRUST_200600_302600_NS5minusIjEEEE10hipError_tPvRmT2_T3_mT4_P12ihipStream_tbEUlT_E_NS1_11comp_targetILNS1_3genE3ELNS1_11target_archE908ELNS1_3gpuE7ELNS1_3repE0EEENS1_30default_config_static_selectorELNS0_4arch9wavefront6targetE1EEEvT1_, .Lfunc_end369-_ZN7rocprim17ROCPRIM_400000_NS6detail17trampoline_kernelINS0_14default_configENS1_35adjacent_difference_config_selectorILb0EjEEZNS1_24adjacent_difference_implIS3_Lb0ELb0EPjS7_N6thrust23THRUST_200600_302600_NS5minusIjEEEE10hipError_tPvRmT2_T3_mT4_P12ihipStream_tbEUlT_E_NS1_11comp_targetILNS1_3genE3ELNS1_11target_archE908ELNS1_3gpuE7ELNS1_3repE0EEENS1_30default_config_static_selectorELNS0_4arch9wavefront6targetE1EEEvT1_
                                        ; -- End function
	.section	.AMDGPU.csdata,"",@progbits
; Kernel info:
; codeLenInByte = 0
; NumSgprs: 6
; NumVgprs: 0
; NumAgprs: 0
; TotalNumVgprs: 0
; ScratchSize: 0
; MemoryBound: 0
; FloatMode: 240
; IeeeMode: 1
; LDSByteSize: 0 bytes/workgroup (compile time only)
; SGPRBlocks: 0
; VGPRBlocks: 0
; NumSGPRsForWavesPerEU: 6
; NumVGPRsForWavesPerEU: 1
; AccumOffset: 4
; Occupancy: 8
; WaveLimiterHint : 0
; COMPUTE_PGM_RSRC2:SCRATCH_EN: 0
; COMPUTE_PGM_RSRC2:USER_SGPR: 2
; COMPUTE_PGM_RSRC2:TRAP_HANDLER: 0
; COMPUTE_PGM_RSRC2:TGID_X_EN: 1
; COMPUTE_PGM_RSRC2:TGID_Y_EN: 0
; COMPUTE_PGM_RSRC2:TGID_Z_EN: 0
; COMPUTE_PGM_RSRC2:TIDIG_COMP_CNT: 0
; COMPUTE_PGM_RSRC3_GFX90A:ACCUM_OFFSET: 0
; COMPUTE_PGM_RSRC3_GFX90A:TG_SPLIT: 0
	.section	.text._ZN7rocprim17ROCPRIM_400000_NS6detail17trampoline_kernelINS0_14default_configENS1_35adjacent_difference_config_selectorILb0EjEEZNS1_24adjacent_difference_implIS3_Lb0ELb0EPjS7_N6thrust23THRUST_200600_302600_NS5minusIjEEEE10hipError_tPvRmT2_T3_mT4_P12ihipStream_tbEUlT_E_NS1_11comp_targetILNS1_3genE2ELNS1_11target_archE906ELNS1_3gpuE6ELNS1_3repE0EEENS1_30default_config_static_selectorELNS0_4arch9wavefront6targetE1EEEvT1_,"axG",@progbits,_ZN7rocprim17ROCPRIM_400000_NS6detail17trampoline_kernelINS0_14default_configENS1_35adjacent_difference_config_selectorILb0EjEEZNS1_24adjacent_difference_implIS3_Lb0ELb0EPjS7_N6thrust23THRUST_200600_302600_NS5minusIjEEEE10hipError_tPvRmT2_T3_mT4_P12ihipStream_tbEUlT_E_NS1_11comp_targetILNS1_3genE2ELNS1_11target_archE906ELNS1_3gpuE6ELNS1_3repE0EEENS1_30default_config_static_selectorELNS0_4arch9wavefront6targetE1EEEvT1_,comdat
	.protected	_ZN7rocprim17ROCPRIM_400000_NS6detail17trampoline_kernelINS0_14default_configENS1_35adjacent_difference_config_selectorILb0EjEEZNS1_24adjacent_difference_implIS3_Lb0ELb0EPjS7_N6thrust23THRUST_200600_302600_NS5minusIjEEEE10hipError_tPvRmT2_T3_mT4_P12ihipStream_tbEUlT_E_NS1_11comp_targetILNS1_3genE2ELNS1_11target_archE906ELNS1_3gpuE6ELNS1_3repE0EEENS1_30default_config_static_selectorELNS0_4arch9wavefront6targetE1EEEvT1_ ; -- Begin function _ZN7rocprim17ROCPRIM_400000_NS6detail17trampoline_kernelINS0_14default_configENS1_35adjacent_difference_config_selectorILb0EjEEZNS1_24adjacent_difference_implIS3_Lb0ELb0EPjS7_N6thrust23THRUST_200600_302600_NS5minusIjEEEE10hipError_tPvRmT2_T3_mT4_P12ihipStream_tbEUlT_E_NS1_11comp_targetILNS1_3genE2ELNS1_11target_archE906ELNS1_3gpuE6ELNS1_3repE0EEENS1_30default_config_static_selectorELNS0_4arch9wavefront6targetE1EEEvT1_
	.globl	_ZN7rocprim17ROCPRIM_400000_NS6detail17trampoline_kernelINS0_14default_configENS1_35adjacent_difference_config_selectorILb0EjEEZNS1_24adjacent_difference_implIS3_Lb0ELb0EPjS7_N6thrust23THRUST_200600_302600_NS5minusIjEEEE10hipError_tPvRmT2_T3_mT4_P12ihipStream_tbEUlT_E_NS1_11comp_targetILNS1_3genE2ELNS1_11target_archE906ELNS1_3gpuE6ELNS1_3repE0EEENS1_30default_config_static_selectorELNS0_4arch9wavefront6targetE1EEEvT1_
	.p2align	8
	.type	_ZN7rocprim17ROCPRIM_400000_NS6detail17trampoline_kernelINS0_14default_configENS1_35adjacent_difference_config_selectorILb0EjEEZNS1_24adjacent_difference_implIS3_Lb0ELb0EPjS7_N6thrust23THRUST_200600_302600_NS5minusIjEEEE10hipError_tPvRmT2_T3_mT4_P12ihipStream_tbEUlT_E_NS1_11comp_targetILNS1_3genE2ELNS1_11target_archE906ELNS1_3gpuE6ELNS1_3repE0EEENS1_30default_config_static_selectorELNS0_4arch9wavefront6targetE1EEEvT1_,@function
_ZN7rocprim17ROCPRIM_400000_NS6detail17trampoline_kernelINS0_14default_configENS1_35adjacent_difference_config_selectorILb0EjEEZNS1_24adjacent_difference_implIS3_Lb0ELb0EPjS7_N6thrust23THRUST_200600_302600_NS5minusIjEEEE10hipError_tPvRmT2_T3_mT4_P12ihipStream_tbEUlT_E_NS1_11comp_targetILNS1_3genE2ELNS1_11target_archE906ELNS1_3gpuE6ELNS1_3repE0EEENS1_30default_config_static_selectorELNS0_4arch9wavefront6targetE1EEEvT1_: ; @_ZN7rocprim17ROCPRIM_400000_NS6detail17trampoline_kernelINS0_14default_configENS1_35adjacent_difference_config_selectorILb0EjEEZNS1_24adjacent_difference_implIS3_Lb0ELb0EPjS7_N6thrust23THRUST_200600_302600_NS5minusIjEEEE10hipError_tPvRmT2_T3_mT4_P12ihipStream_tbEUlT_E_NS1_11comp_targetILNS1_3genE2ELNS1_11target_archE906ELNS1_3gpuE6ELNS1_3repE0EEENS1_30default_config_static_selectorELNS0_4arch9wavefront6targetE1EEEvT1_
; %bb.0:
	.section	.rodata,"a",@progbits
	.p2align	6, 0x0
	.amdhsa_kernel _ZN7rocprim17ROCPRIM_400000_NS6detail17trampoline_kernelINS0_14default_configENS1_35adjacent_difference_config_selectorILb0EjEEZNS1_24adjacent_difference_implIS3_Lb0ELb0EPjS7_N6thrust23THRUST_200600_302600_NS5minusIjEEEE10hipError_tPvRmT2_T3_mT4_P12ihipStream_tbEUlT_E_NS1_11comp_targetILNS1_3genE2ELNS1_11target_archE906ELNS1_3gpuE6ELNS1_3repE0EEENS1_30default_config_static_selectorELNS0_4arch9wavefront6targetE1EEEvT1_
		.amdhsa_group_segment_fixed_size 0
		.amdhsa_private_segment_fixed_size 0
		.amdhsa_kernarg_size 56
		.amdhsa_user_sgpr_count 2
		.amdhsa_user_sgpr_dispatch_ptr 0
		.amdhsa_user_sgpr_queue_ptr 0
		.amdhsa_user_sgpr_kernarg_segment_ptr 1
		.amdhsa_user_sgpr_dispatch_id 0
		.amdhsa_user_sgpr_kernarg_preload_length 0
		.amdhsa_user_sgpr_kernarg_preload_offset 0
		.amdhsa_user_sgpr_private_segment_size 0
		.amdhsa_uses_dynamic_stack 0
		.amdhsa_enable_private_segment 0
		.amdhsa_system_sgpr_workgroup_id_x 1
		.amdhsa_system_sgpr_workgroup_id_y 0
		.amdhsa_system_sgpr_workgroup_id_z 0
		.amdhsa_system_sgpr_workgroup_info 0
		.amdhsa_system_vgpr_workitem_id 0
		.amdhsa_next_free_vgpr 1
		.amdhsa_next_free_sgpr 0
		.amdhsa_accum_offset 4
		.amdhsa_reserve_vcc 0
		.amdhsa_float_round_mode_32 0
		.amdhsa_float_round_mode_16_64 0
		.amdhsa_float_denorm_mode_32 3
		.amdhsa_float_denorm_mode_16_64 3
		.amdhsa_dx10_clamp 1
		.amdhsa_ieee_mode 1
		.amdhsa_fp16_overflow 0
		.amdhsa_tg_split 0
		.amdhsa_exception_fp_ieee_invalid_op 0
		.amdhsa_exception_fp_denorm_src 0
		.amdhsa_exception_fp_ieee_div_zero 0
		.amdhsa_exception_fp_ieee_overflow 0
		.amdhsa_exception_fp_ieee_underflow 0
		.amdhsa_exception_fp_ieee_inexact 0
		.amdhsa_exception_int_div_zero 0
	.end_amdhsa_kernel
	.section	.text._ZN7rocprim17ROCPRIM_400000_NS6detail17trampoline_kernelINS0_14default_configENS1_35adjacent_difference_config_selectorILb0EjEEZNS1_24adjacent_difference_implIS3_Lb0ELb0EPjS7_N6thrust23THRUST_200600_302600_NS5minusIjEEEE10hipError_tPvRmT2_T3_mT4_P12ihipStream_tbEUlT_E_NS1_11comp_targetILNS1_3genE2ELNS1_11target_archE906ELNS1_3gpuE6ELNS1_3repE0EEENS1_30default_config_static_selectorELNS0_4arch9wavefront6targetE1EEEvT1_,"axG",@progbits,_ZN7rocprim17ROCPRIM_400000_NS6detail17trampoline_kernelINS0_14default_configENS1_35adjacent_difference_config_selectorILb0EjEEZNS1_24adjacent_difference_implIS3_Lb0ELb0EPjS7_N6thrust23THRUST_200600_302600_NS5minusIjEEEE10hipError_tPvRmT2_T3_mT4_P12ihipStream_tbEUlT_E_NS1_11comp_targetILNS1_3genE2ELNS1_11target_archE906ELNS1_3gpuE6ELNS1_3repE0EEENS1_30default_config_static_selectorELNS0_4arch9wavefront6targetE1EEEvT1_,comdat
.Lfunc_end370:
	.size	_ZN7rocprim17ROCPRIM_400000_NS6detail17trampoline_kernelINS0_14default_configENS1_35adjacent_difference_config_selectorILb0EjEEZNS1_24adjacent_difference_implIS3_Lb0ELb0EPjS7_N6thrust23THRUST_200600_302600_NS5minusIjEEEE10hipError_tPvRmT2_T3_mT4_P12ihipStream_tbEUlT_E_NS1_11comp_targetILNS1_3genE2ELNS1_11target_archE906ELNS1_3gpuE6ELNS1_3repE0EEENS1_30default_config_static_selectorELNS0_4arch9wavefront6targetE1EEEvT1_, .Lfunc_end370-_ZN7rocprim17ROCPRIM_400000_NS6detail17trampoline_kernelINS0_14default_configENS1_35adjacent_difference_config_selectorILb0EjEEZNS1_24adjacent_difference_implIS3_Lb0ELb0EPjS7_N6thrust23THRUST_200600_302600_NS5minusIjEEEE10hipError_tPvRmT2_T3_mT4_P12ihipStream_tbEUlT_E_NS1_11comp_targetILNS1_3genE2ELNS1_11target_archE906ELNS1_3gpuE6ELNS1_3repE0EEENS1_30default_config_static_selectorELNS0_4arch9wavefront6targetE1EEEvT1_
                                        ; -- End function
	.section	.AMDGPU.csdata,"",@progbits
; Kernel info:
; codeLenInByte = 0
; NumSgprs: 6
; NumVgprs: 0
; NumAgprs: 0
; TotalNumVgprs: 0
; ScratchSize: 0
; MemoryBound: 0
; FloatMode: 240
; IeeeMode: 1
; LDSByteSize: 0 bytes/workgroup (compile time only)
; SGPRBlocks: 0
; VGPRBlocks: 0
; NumSGPRsForWavesPerEU: 6
; NumVGPRsForWavesPerEU: 1
; AccumOffset: 4
; Occupancy: 8
; WaveLimiterHint : 0
; COMPUTE_PGM_RSRC2:SCRATCH_EN: 0
; COMPUTE_PGM_RSRC2:USER_SGPR: 2
; COMPUTE_PGM_RSRC2:TRAP_HANDLER: 0
; COMPUTE_PGM_RSRC2:TGID_X_EN: 1
; COMPUTE_PGM_RSRC2:TGID_Y_EN: 0
; COMPUTE_PGM_RSRC2:TGID_Z_EN: 0
; COMPUTE_PGM_RSRC2:TIDIG_COMP_CNT: 0
; COMPUTE_PGM_RSRC3_GFX90A:ACCUM_OFFSET: 0
; COMPUTE_PGM_RSRC3_GFX90A:TG_SPLIT: 0
	.section	.text._ZN7rocprim17ROCPRIM_400000_NS6detail17trampoline_kernelINS0_14default_configENS1_35adjacent_difference_config_selectorILb0EjEEZNS1_24adjacent_difference_implIS3_Lb0ELb0EPjS7_N6thrust23THRUST_200600_302600_NS5minusIjEEEE10hipError_tPvRmT2_T3_mT4_P12ihipStream_tbEUlT_E_NS1_11comp_targetILNS1_3genE9ELNS1_11target_archE1100ELNS1_3gpuE3ELNS1_3repE0EEENS1_30default_config_static_selectorELNS0_4arch9wavefront6targetE1EEEvT1_,"axG",@progbits,_ZN7rocprim17ROCPRIM_400000_NS6detail17trampoline_kernelINS0_14default_configENS1_35adjacent_difference_config_selectorILb0EjEEZNS1_24adjacent_difference_implIS3_Lb0ELb0EPjS7_N6thrust23THRUST_200600_302600_NS5minusIjEEEE10hipError_tPvRmT2_T3_mT4_P12ihipStream_tbEUlT_E_NS1_11comp_targetILNS1_3genE9ELNS1_11target_archE1100ELNS1_3gpuE3ELNS1_3repE0EEENS1_30default_config_static_selectorELNS0_4arch9wavefront6targetE1EEEvT1_,comdat
	.protected	_ZN7rocprim17ROCPRIM_400000_NS6detail17trampoline_kernelINS0_14default_configENS1_35adjacent_difference_config_selectorILb0EjEEZNS1_24adjacent_difference_implIS3_Lb0ELb0EPjS7_N6thrust23THRUST_200600_302600_NS5minusIjEEEE10hipError_tPvRmT2_T3_mT4_P12ihipStream_tbEUlT_E_NS1_11comp_targetILNS1_3genE9ELNS1_11target_archE1100ELNS1_3gpuE3ELNS1_3repE0EEENS1_30default_config_static_selectorELNS0_4arch9wavefront6targetE1EEEvT1_ ; -- Begin function _ZN7rocprim17ROCPRIM_400000_NS6detail17trampoline_kernelINS0_14default_configENS1_35adjacent_difference_config_selectorILb0EjEEZNS1_24adjacent_difference_implIS3_Lb0ELb0EPjS7_N6thrust23THRUST_200600_302600_NS5minusIjEEEE10hipError_tPvRmT2_T3_mT4_P12ihipStream_tbEUlT_E_NS1_11comp_targetILNS1_3genE9ELNS1_11target_archE1100ELNS1_3gpuE3ELNS1_3repE0EEENS1_30default_config_static_selectorELNS0_4arch9wavefront6targetE1EEEvT1_
	.globl	_ZN7rocprim17ROCPRIM_400000_NS6detail17trampoline_kernelINS0_14default_configENS1_35adjacent_difference_config_selectorILb0EjEEZNS1_24adjacent_difference_implIS3_Lb0ELb0EPjS7_N6thrust23THRUST_200600_302600_NS5minusIjEEEE10hipError_tPvRmT2_T3_mT4_P12ihipStream_tbEUlT_E_NS1_11comp_targetILNS1_3genE9ELNS1_11target_archE1100ELNS1_3gpuE3ELNS1_3repE0EEENS1_30default_config_static_selectorELNS0_4arch9wavefront6targetE1EEEvT1_
	.p2align	8
	.type	_ZN7rocprim17ROCPRIM_400000_NS6detail17trampoline_kernelINS0_14default_configENS1_35adjacent_difference_config_selectorILb0EjEEZNS1_24adjacent_difference_implIS3_Lb0ELb0EPjS7_N6thrust23THRUST_200600_302600_NS5minusIjEEEE10hipError_tPvRmT2_T3_mT4_P12ihipStream_tbEUlT_E_NS1_11comp_targetILNS1_3genE9ELNS1_11target_archE1100ELNS1_3gpuE3ELNS1_3repE0EEENS1_30default_config_static_selectorELNS0_4arch9wavefront6targetE1EEEvT1_,@function
_ZN7rocprim17ROCPRIM_400000_NS6detail17trampoline_kernelINS0_14default_configENS1_35adjacent_difference_config_selectorILb0EjEEZNS1_24adjacent_difference_implIS3_Lb0ELb0EPjS7_N6thrust23THRUST_200600_302600_NS5minusIjEEEE10hipError_tPvRmT2_T3_mT4_P12ihipStream_tbEUlT_E_NS1_11comp_targetILNS1_3genE9ELNS1_11target_archE1100ELNS1_3gpuE3ELNS1_3repE0EEENS1_30default_config_static_selectorELNS0_4arch9wavefront6targetE1EEEvT1_: ; @_ZN7rocprim17ROCPRIM_400000_NS6detail17trampoline_kernelINS0_14default_configENS1_35adjacent_difference_config_selectorILb0EjEEZNS1_24adjacent_difference_implIS3_Lb0ELb0EPjS7_N6thrust23THRUST_200600_302600_NS5minusIjEEEE10hipError_tPvRmT2_T3_mT4_P12ihipStream_tbEUlT_E_NS1_11comp_targetILNS1_3genE9ELNS1_11target_archE1100ELNS1_3gpuE3ELNS1_3repE0EEENS1_30default_config_static_selectorELNS0_4arch9wavefront6targetE1EEEvT1_
; %bb.0:
	.section	.rodata,"a",@progbits
	.p2align	6, 0x0
	.amdhsa_kernel _ZN7rocprim17ROCPRIM_400000_NS6detail17trampoline_kernelINS0_14default_configENS1_35adjacent_difference_config_selectorILb0EjEEZNS1_24adjacent_difference_implIS3_Lb0ELb0EPjS7_N6thrust23THRUST_200600_302600_NS5minusIjEEEE10hipError_tPvRmT2_T3_mT4_P12ihipStream_tbEUlT_E_NS1_11comp_targetILNS1_3genE9ELNS1_11target_archE1100ELNS1_3gpuE3ELNS1_3repE0EEENS1_30default_config_static_selectorELNS0_4arch9wavefront6targetE1EEEvT1_
		.amdhsa_group_segment_fixed_size 0
		.amdhsa_private_segment_fixed_size 0
		.amdhsa_kernarg_size 56
		.amdhsa_user_sgpr_count 2
		.amdhsa_user_sgpr_dispatch_ptr 0
		.amdhsa_user_sgpr_queue_ptr 0
		.amdhsa_user_sgpr_kernarg_segment_ptr 1
		.amdhsa_user_sgpr_dispatch_id 0
		.amdhsa_user_sgpr_kernarg_preload_length 0
		.amdhsa_user_sgpr_kernarg_preload_offset 0
		.amdhsa_user_sgpr_private_segment_size 0
		.amdhsa_uses_dynamic_stack 0
		.amdhsa_enable_private_segment 0
		.amdhsa_system_sgpr_workgroup_id_x 1
		.amdhsa_system_sgpr_workgroup_id_y 0
		.amdhsa_system_sgpr_workgroup_id_z 0
		.amdhsa_system_sgpr_workgroup_info 0
		.amdhsa_system_vgpr_workitem_id 0
		.amdhsa_next_free_vgpr 1
		.amdhsa_next_free_sgpr 0
		.amdhsa_accum_offset 4
		.amdhsa_reserve_vcc 0
		.amdhsa_float_round_mode_32 0
		.amdhsa_float_round_mode_16_64 0
		.amdhsa_float_denorm_mode_32 3
		.amdhsa_float_denorm_mode_16_64 3
		.amdhsa_dx10_clamp 1
		.amdhsa_ieee_mode 1
		.amdhsa_fp16_overflow 0
		.amdhsa_tg_split 0
		.amdhsa_exception_fp_ieee_invalid_op 0
		.amdhsa_exception_fp_denorm_src 0
		.amdhsa_exception_fp_ieee_div_zero 0
		.amdhsa_exception_fp_ieee_overflow 0
		.amdhsa_exception_fp_ieee_underflow 0
		.amdhsa_exception_fp_ieee_inexact 0
		.amdhsa_exception_int_div_zero 0
	.end_amdhsa_kernel
	.section	.text._ZN7rocprim17ROCPRIM_400000_NS6detail17trampoline_kernelINS0_14default_configENS1_35adjacent_difference_config_selectorILb0EjEEZNS1_24adjacent_difference_implIS3_Lb0ELb0EPjS7_N6thrust23THRUST_200600_302600_NS5minusIjEEEE10hipError_tPvRmT2_T3_mT4_P12ihipStream_tbEUlT_E_NS1_11comp_targetILNS1_3genE9ELNS1_11target_archE1100ELNS1_3gpuE3ELNS1_3repE0EEENS1_30default_config_static_selectorELNS0_4arch9wavefront6targetE1EEEvT1_,"axG",@progbits,_ZN7rocprim17ROCPRIM_400000_NS6detail17trampoline_kernelINS0_14default_configENS1_35adjacent_difference_config_selectorILb0EjEEZNS1_24adjacent_difference_implIS3_Lb0ELb0EPjS7_N6thrust23THRUST_200600_302600_NS5minusIjEEEE10hipError_tPvRmT2_T3_mT4_P12ihipStream_tbEUlT_E_NS1_11comp_targetILNS1_3genE9ELNS1_11target_archE1100ELNS1_3gpuE3ELNS1_3repE0EEENS1_30default_config_static_selectorELNS0_4arch9wavefront6targetE1EEEvT1_,comdat
.Lfunc_end371:
	.size	_ZN7rocprim17ROCPRIM_400000_NS6detail17trampoline_kernelINS0_14default_configENS1_35adjacent_difference_config_selectorILb0EjEEZNS1_24adjacent_difference_implIS3_Lb0ELb0EPjS7_N6thrust23THRUST_200600_302600_NS5minusIjEEEE10hipError_tPvRmT2_T3_mT4_P12ihipStream_tbEUlT_E_NS1_11comp_targetILNS1_3genE9ELNS1_11target_archE1100ELNS1_3gpuE3ELNS1_3repE0EEENS1_30default_config_static_selectorELNS0_4arch9wavefront6targetE1EEEvT1_, .Lfunc_end371-_ZN7rocprim17ROCPRIM_400000_NS6detail17trampoline_kernelINS0_14default_configENS1_35adjacent_difference_config_selectorILb0EjEEZNS1_24adjacent_difference_implIS3_Lb0ELb0EPjS7_N6thrust23THRUST_200600_302600_NS5minusIjEEEE10hipError_tPvRmT2_T3_mT4_P12ihipStream_tbEUlT_E_NS1_11comp_targetILNS1_3genE9ELNS1_11target_archE1100ELNS1_3gpuE3ELNS1_3repE0EEENS1_30default_config_static_selectorELNS0_4arch9wavefront6targetE1EEEvT1_
                                        ; -- End function
	.section	.AMDGPU.csdata,"",@progbits
; Kernel info:
; codeLenInByte = 0
; NumSgprs: 6
; NumVgprs: 0
; NumAgprs: 0
; TotalNumVgprs: 0
; ScratchSize: 0
; MemoryBound: 0
; FloatMode: 240
; IeeeMode: 1
; LDSByteSize: 0 bytes/workgroup (compile time only)
; SGPRBlocks: 0
; VGPRBlocks: 0
; NumSGPRsForWavesPerEU: 6
; NumVGPRsForWavesPerEU: 1
; AccumOffset: 4
; Occupancy: 8
; WaveLimiterHint : 0
; COMPUTE_PGM_RSRC2:SCRATCH_EN: 0
; COMPUTE_PGM_RSRC2:USER_SGPR: 2
; COMPUTE_PGM_RSRC2:TRAP_HANDLER: 0
; COMPUTE_PGM_RSRC2:TGID_X_EN: 1
; COMPUTE_PGM_RSRC2:TGID_Y_EN: 0
; COMPUTE_PGM_RSRC2:TGID_Z_EN: 0
; COMPUTE_PGM_RSRC2:TIDIG_COMP_CNT: 0
; COMPUTE_PGM_RSRC3_GFX90A:ACCUM_OFFSET: 0
; COMPUTE_PGM_RSRC3_GFX90A:TG_SPLIT: 0
	.section	.text._ZN7rocprim17ROCPRIM_400000_NS6detail17trampoline_kernelINS0_14default_configENS1_35adjacent_difference_config_selectorILb0EjEEZNS1_24adjacent_difference_implIS3_Lb0ELb0EPjS7_N6thrust23THRUST_200600_302600_NS5minusIjEEEE10hipError_tPvRmT2_T3_mT4_P12ihipStream_tbEUlT_E_NS1_11comp_targetILNS1_3genE8ELNS1_11target_archE1030ELNS1_3gpuE2ELNS1_3repE0EEENS1_30default_config_static_selectorELNS0_4arch9wavefront6targetE1EEEvT1_,"axG",@progbits,_ZN7rocprim17ROCPRIM_400000_NS6detail17trampoline_kernelINS0_14default_configENS1_35adjacent_difference_config_selectorILb0EjEEZNS1_24adjacent_difference_implIS3_Lb0ELb0EPjS7_N6thrust23THRUST_200600_302600_NS5minusIjEEEE10hipError_tPvRmT2_T3_mT4_P12ihipStream_tbEUlT_E_NS1_11comp_targetILNS1_3genE8ELNS1_11target_archE1030ELNS1_3gpuE2ELNS1_3repE0EEENS1_30default_config_static_selectorELNS0_4arch9wavefront6targetE1EEEvT1_,comdat
	.protected	_ZN7rocprim17ROCPRIM_400000_NS6detail17trampoline_kernelINS0_14default_configENS1_35adjacent_difference_config_selectorILb0EjEEZNS1_24adjacent_difference_implIS3_Lb0ELb0EPjS7_N6thrust23THRUST_200600_302600_NS5minusIjEEEE10hipError_tPvRmT2_T3_mT4_P12ihipStream_tbEUlT_E_NS1_11comp_targetILNS1_3genE8ELNS1_11target_archE1030ELNS1_3gpuE2ELNS1_3repE0EEENS1_30default_config_static_selectorELNS0_4arch9wavefront6targetE1EEEvT1_ ; -- Begin function _ZN7rocprim17ROCPRIM_400000_NS6detail17trampoline_kernelINS0_14default_configENS1_35adjacent_difference_config_selectorILb0EjEEZNS1_24adjacent_difference_implIS3_Lb0ELb0EPjS7_N6thrust23THRUST_200600_302600_NS5minusIjEEEE10hipError_tPvRmT2_T3_mT4_P12ihipStream_tbEUlT_E_NS1_11comp_targetILNS1_3genE8ELNS1_11target_archE1030ELNS1_3gpuE2ELNS1_3repE0EEENS1_30default_config_static_selectorELNS0_4arch9wavefront6targetE1EEEvT1_
	.globl	_ZN7rocprim17ROCPRIM_400000_NS6detail17trampoline_kernelINS0_14default_configENS1_35adjacent_difference_config_selectorILb0EjEEZNS1_24adjacent_difference_implIS3_Lb0ELb0EPjS7_N6thrust23THRUST_200600_302600_NS5minusIjEEEE10hipError_tPvRmT2_T3_mT4_P12ihipStream_tbEUlT_E_NS1_11comp_targetILNS1_3genE8ELNS1_11target_archE1030ELNS1_3gpuE2ELNS1_3repE0EEENS1_30default_config_static_selectorELNS0_4arch9wavefront6targetE1EEEvT1_
	.p2align	8
	.type	_ZN7rocprim17ROCPRIM_400000_NS6detail17trampoline_kernelINS0_14default_configENS1_35adjacent_difference_config_selectorILb0EjEEZNS1_24adjacent_difference_implIS3_Lb0ELb0EPjS7_N6thrust23THRUST_200600_302600_NS5minusIjEEEE10hipError_tPvRmT2_T3_mT4_P12ihipStream_tbEUlT_E_NS1_11comp_targetILNS1_3genE8ELNS1_11target_archE1030ELNS1_3gpuE2ELNS1_3repE0EEENS1_30default_config_static_selectorELNS0_4arch9wavefront6targetE1EEEvT1_,@function
_ZN7rocprim17ROCPRIM_400000_NS6detail17trampoline_kernelINS0_14default_configENS1_35adjacent_difference_config_selectorILb0EjEEZNS1_24adjacent_difference_implIS3_Lb0ELb0EPjS7_N6thrust23THRUST_200600_302600_NS5minusIjEEEE10hipError_tPvRmT2_T3_mT4_P12ihipStream_tbEUlT_E_NS1_11comp_targetILNS1_3genE8ELNS1_11target_archE1030ELNS1_3gpuE2ELNS1_3repE0EEENS1_30default_config_static_selectorELNS0_4arch9wavefront6targetE1EEEvT1_: ; @_ZN7rocprim17ROCPRIM_400000_NS6detail17trampoline_kernelINS0_14default_configENS1_35adjacent_difference_config_selectorILb0EjEEZNS1_24adjacent_difference_implIS3_Lb0ELb0EPjS7_N6thrust23THRUST_200600_302600_NS5minusIjEEEE10hipError_tPvRmT2_T3_mT4_P12ihipStream_tbEUlT_E_NS1_11comp_targetILNS1_3genE8ELNS1_11target_archE1030ELNS1_3gpuE2ELNS1_3repE0EEENS1_30default_config_static_selectorELNS0_4arch9wavefront6targetE1EEEvT1_
; %bb.0:
	.section	.rodata,"a",@progbits
	.p2align	6, 0x0
	.amdhsa_kernel _ZN7rocprim17ROCPRIM_400000_NS6detail17trampoline_kernelINS0_14default_configENS1_35adjacent_difference_config_selectorILb0EjEEZNS1_24adjacent_difference_implIS3_Lb0ELb0EPjS7_N6thrust23THRUST_200600_302600_NS5minusIjEEEE10hipError_tPvRmT2_T3_mT4_P12ihipStream_tbEUlT_E_NS1_11comp_targetILNS1_3genE8ELNS1_11target_archE1030ELNS1_3gpuE2ELNS1_3repE0EEENS1_30default_config_static_selectorELNS0_4arch9wavefront6targetE1EEEvT1_
		.amdhsa_group_segment_fixed_size 0
		.amdhsa_private_segment_fixed_size 0
		.amdhsa_kernarg_size 56
		.amdhsa_user_sgpr_count 2
		.amdhsa_user_sgpr_dispatch_ptr 0
		.amdhsa_user_sgpr_queue_ptr 0
		.amdhsa_user_sgpr_kernarg_segment_ptr 1
		.amdhsa_user_sgpr_dispatch_id 0
		.amdhsa_user_sgpr_kernarg_preload_length 0
		.amdhsa_user_sgpr_kernarg_preload_offset 0
		.amdhsa_user_sgpr_private_segment_size 0
		.amdhsa_uses_dynamic_stack 0
		.amdhsa_enable_private_segment 0
		.amdhsa_system_sgpr_workgroup_id_x 1
		.amdhsa_system_sgpr_workgroup_id_y 0
		.amdhsa_system_sgpr_workgroup_id_z 0
		.amdhsa_system_sgpr_workgroup_info 0
		.amdhsa_system_vgpr_workitem_id 0
		.amdhsa_next_free_vgpr 1
		.amdhsa_next_free_sgpr 0
		.amdhsa_accum_offset 4
		.amdhsa_reserve_vcc 0
		.amdhsa_float_round_mode_32 0
		.amdhsa_float_round_mode_16_64 0
		.amdhsa_float_denorm_mode_32 3
		.amdhsa_float_denorm_mode_16_64 3
		.amdhsa_dx10_clamp 1
		.amdhsa_ieee_mode 1
		.amdhsa_fp16_overflow 0
		.amdhsa_tg_split 0
		.amdhsa_exception_fp_ieee_invalid_op 0
		.amdhsa_exception_fp_denorm_src 0
		.amdhsa_exception_fp_ieee_div_zero 0
		.amdhsa_exception_fp_ieee_overflow 0
		.amdhsa_exception_fp_ieee_underflow 0
		.amdhsa_exception_fp_ieee_inexact 0
		.amdhsa_exception_int_div_zero 0
	.end_amdhsa_kernel
	.section	.text._ZN7rocprim17ROCPRIM_400000_NS6detail17trampoline_kernelINS0_14default_configENS1_35adjacent_difference_config_selectorILb0EjEEZNS1_24adjacent_difference_implIS3_Lb0ELb0EPjS7_N6thrust23THRUST_200600_302600_NS5minusIjEEEE10hipError_tPvRmT2_T3_mT4_P12ihipStream_tbEUlT_E_NS1_11comp_targetILNS1_3genE8ELNS1_11target_archE1030ELNS1_3gpuE2ELNS1_3repE0EEENS1_30default_config_static_selectorELNS0_4arch9wavefront6targetE1EEEvT1_,"axG",@progbits,_ZN7rocprim17ROCPRIM_400000_NS6detail17trampoline_kernelINS0_14default_configENS1_35adjacent_difference_config_selectorILb0EjEEZNS1_24adjacent_difference_implIS3_Lb0ELb0EPjS7_N6thrust23THRUST_200600_302600_NS5minusIjEEEE10hipError_tPvRmT2_T3_mT4_P12ihipStream_tbEUlT_E_NS1_11comp_targetILNS1_3genE8ELNS1_11target_archE1030ELNS1_3gpuE2ELNS1_3repE0EEENS1_30default_config_static_selectorELNS0_4arch9wavefront6targetE1EEEvT1_,comdat
.Lfunc_end372:
	.size	_ZN7rocprim17ROCPRIM_400000_NS6detail17trampoline_kernelINS0_14default_configENS1_35adjacent_difference_config_selectorILb0EjEEZNS1_24adjacent_difference_implIS3_Lb0ELb0EPjS7_N6thrust23THRUST_200600_302600_NS5minusIjEEEE10hipError_tPvRmT2_T3_mT4_P12ihipStream_tbEUlT_E_NS1_11comp_targetILNS1_3genE8ELNS1_11target_archE1030ELNS1_3gpuE2ELNS1_3repE0EEENS1_30default_config_static_selectorELNS0_4arch9wavefront6targetE1EEEvT1_, .Lfunc_end372-_ZN7rocprim17ROCPRIM_400000_NS6detail17trampoline_kernelINS0_14default_configENS1_35adjacent_difference_config_selectorILb0EjEEZNS1_24adjacent_difference_implIS3_Lb0ELb0EPjS7_N6thrust23THRUST_200600_302600_NS5minusIjEEEE10hipError_tPvRmT2_T3_mT4_P12ihipStream_tbEUlT_E_NS1_11comp_targetILNS1_3genE8ELNS1_11target_archE1030ELNS1_3gpuE2ELNS1_3repE0EEENS1_30default_config_static_selectorELNS0_4arch9wavefront6targetE1EEEvT1_
                                        ; -- End function
	.section	.AMDGPU.csdata,"",@progbits
; Kernel info:
; codeLenInByte = 0
; NumSgprs: 6
; NumVgprs: 0
; NumAgprs: 0
; TotalNumVgprs: 0
; ScratchSize: 0
; MemoryBound: 0
; FloatMode: 240
; IeeeMode: 1
; LDSByteSize: 0 bytes/workgroup (compile time only)
; SGPRBlocks: 0
; VGPRBlocks: 0
; NumSGPRsForWavesPerEU: 6
; NumVGPRsForWavesPerEU: 1
; AccumOffset: 4
; Occupancy: 8
; WaveLimiterHint : 0
; COMPUTE_PGM_RSRC2:SCRATCH_EN: 0
; COMPUTE_PGM_RSRC2:USER_SGPR: 2
; COMPUTE_PGM_RSRC2:TRAP_HANDLER: 0
; COMPUTE_PGM_RSRC2:TGID_X_EN: 1
; COMPUTE_PGM_RSRC2:TGID_Y_EN: 0
; COMPUTE_PGM_RSRC2:TGID_Z_EN: 0
; COMPUTE_PGM_RSRC2:TIDIG_COMP_CNT: 0
; COMPUTE_PGM_RSRC3_GFX90A:ACCUM_OFFSET: 0
; COMPUTE_PGM_RSRC3_GFX90A:TG_SPLIT: 0
	.section	.text._ZN7rocprim17ROCPRIM_400000_NS6detail17trampoline_kernelINS0_14default_configENS1_25transform_config_selectorIjLb0EEEZNS1_14transform_implILb0ES3_S5_NS0_18transform_iteratorINS0_17counting_iteratorImlEEZNS1_24adjacent_difference_implIS3_Lb1ELb0EPjSB_N6thrust23THRUST_200600_302600_NS5minusIjEEEE10hipError_tPvRmT2_T3_mT4_P12ihipStream_tbEUlmE_jEESB_NS0_8identityIvEEEESG_SJ_SK_mSL_SN_bEUlT_E_NS1_11comp_targetILNS1_3genE0ELNS1_11target_archE4294967295ELNS1_3gpuE0ELNS1_3repE0EEENS1_30default_config_static_selectorELNS0_4arch9wavefront6targetE1EEEvT1_,"axG",@progbits,_ZN7rocprim17ROCPRIM_400000_NS6detail17trampoline_kernelINS0_14default_configENS1_25transform_config_selectorIjLb0EEEZNS1_14transform_implILb0ES3_S5_NS0_18transform_iteratorINS0_17counting_iteratorImlEEZNS1_24adjacent_difference_implIS3_Lb1ELb0EPjSB_N6thrust23THRUST_200600_302600_NS5minusIjEEEE10hipError_tPvRmT2_T3_mT4_P12ihipStream_tbEUlmE_jEESB_NS0_8identityIvEEEESG_SJ_SK_mSL_SN_bEUlT_E_NS1_11comp_targetILNS1_3genE0ELNS1_11target_archE4294967295ELNS1_3gpuE0ELNS1_3repE0EEENS1_30default_config_static_selectorELNS0_4arch9wavefront6targetE1EEEvT1_,comdat
	.protected	_ZN7rocprim17ROCPRIM_400000_NS6detail17trampoline_kernelINS0_14default_configENS1_25transform_config_selectorIjLb0EEEZNS1_14transform_implILb0ES3_S5_NS0_18transform_iteratorINS0_17counting_iteratorImlEEZNS1_24adjacent_difference_implIS3_Lb1ELb0EPjSB_N6thrust23THRUST_200600_302600_NS5minusIjEEEE10hipError_tPvRmT2_T3_mT4_P12ihipStream_tbEUlmE_jEESB_NS0_8identityIvEEEESG_SJ_SK_mSL_SN_bEUlT_E_NS1_11comp_targetILNS1_3genE0ELNS1_11target_archE4294967295ELNS1_3gpuE0ELNS1_3repE0EEENS1_30default_config_static_selectorELNS0_4arch9wavefront6targetE1EEEvT1_ ; -- Begin function _ZN7rocprim17ROCPRIM_400000_NS6detail17trampoline_kernelINS0_14default_configENS1_25transform_config_selectorIjLb0EEEZNS1_14transform_implILb0ES3_S5_NS0_18transform_iteratorINS0_17counting_iteratorImlEEZNS1_24adjacent_difference_implIS3_Lb1ELb0EPjSB_N6thrust23THRUST_200600_302600_NS5minusIjEEEE10hipError_tPvRmT2_T3_mT4_P12ihipStream_tbEUlmE_jEESB_NS0_8identityIvEEEESG_SJ_SK_mSL_SN_bEUlT_E_NS1_11comp_targetILNS1_3genE0ELNS1_11target_archE4294967295ELNS1_3gpuE0ELNS1_3repE0EEENS1_30default_config_static_selectorELNS0_4arch9wavefront6targetE1EEEvT1_
	.globl	_ZN7rocprim17ROCPRIM_400000_NS6detail17trampoline_kernelINS0_14default_configENS1_25transform_config_selectorIjLb0EEEZNS1_14transform_implILb0ES3_S5_NS0_18transform_iteratorINS0_17counting_iteratorImlEEZNS1_24adjacent_difference_implIS3_Lb1ELb0EPjSB_N6thrust23THRUST_200600_302600_NS5minusIjEEEE10hipError_tPvRmT2_T3_mT4_P12ihipStream_tbEUlmE_jEESB_NS0_8identityIvEEEESG_SJ_SK_mSL_SN_bEUlT_E_NS1_11comp_targetILNS1_3genE0ELNS1_11target_archE4294967295ELNS1_3gpuE0ELNS1_3repE0EEENS1_30default_config_static_selectorELNS0_4arch9wavefront6targetE1EEEvT1_
	.p2align	8
	.type	_ZN7rocprim17ROCPRIM_400000_NS6detail17trampoline_kernelINS0_14default_configENS1_25transform_config_selectorIjLb0EEEZNS1_14transform_implILb0ES3_S5_NS0_18transform_iteratorINS0_17counting_iteratorImlEEZNS1_24adjacent_difference_implIS3_Lb1ELb0EPjSB_N6thrust23THRUST_200600_302600_NS5minusIjEEEE10hipError_tPvRmT2_T3_mT4_P12ihipStream_tbEUlmE_jEESB_NS0_8identityIvEEEESG_SJ_SK_mSL_SN_bEUlT_E_NS1_11comp_targetILNS1_3genE0ELNS1_11target_archE4294967295ELNS1_3gpuE0ELNS1_3repE0EEENS1_30default_config_static_selectorELNS0_4arch9wavefront6targetE1EEEvT1_,@function
_ZN7rocprim17ROCPRIM_400000_NS6detail17trampoline_kernelINS0_14default_configENS1_25transform_config_selectorIjLb0EEEZNS1_14transform_implILb0ES3_S5_NS0_18transform_iteratorINS0_17counting_iteratorImlEEZNS1_24adjacent_difference_implIS3_Lb1ELb0EPjSB_N6thrust23THRUST_200600_302600_NS5minusIjEEEE10hipError_tPvRmT2_T3_mT4_P12ihipStream_tbEUlmE_jEESB_NS0_8identityIvEEEESG_SJ_SK_mSL_SN_bEUlT_E_NS1_11comp_targetILNS1_3genE0ELNS1_11target_archE4294967295ELNS1_3gpuE0ELNS1_3repE0EEENS1_30default_config_static_selectorELNS0_4arch9wavefront6targetE1EEEvT1_: ; @_ZN7rocprim17ROCPRIM_400000_NS6detail17trampoline_kernelINS0_14default_configENS1_25transform_config_selectorIjLb0EEEZNS1_14transform_implILb0ES3_S5_NS0_18transform_iteratorINS0_17counting_iteratorImlEEZNS1_24adjacent_difference_implIS3_Lb1ELb0EPjSB_N6thrust23THRUST_200600_302600_NS5minusIjEEEE10hipError_tPvRmT2_T3_mT4_P12ihipStream_tbEUlmE_jEESB_NS0_8identityIvEEEESG_SJ_SK_mSL_SN_bEUlT_E_NS1_11comp_targetILNS1_3genE0ELNS1_11target_archE4294967295ELNS1_3gpuE0ELNS1_3repE0EEENS1_30default_config_static_selectorELNS0_4arch9wavefront6targetE1EEEvT1_
; %bb.0:
	.section	.rodata,"a",@progbits
	.p2align	6, 0x0
	.amdhsa_kernel _ZN7rocprim17ROCPRIM_400000_NS6detail17trampoline_kernelINS0_14default_configENS1_25transform_config_selectorIjLb0EEEZNS1_14transform_implILb0ES3_S5_NS0_18transform_iteratorINS0_17counting_iteratorImlEEZNS1_24adjacent_difference_implIS3_Lb1ELb0EPjSB_N6thrust23THRUST_200600_302600_NS5minusIjEEEE10hipError_tPvRmT2_T3_mT4_P12ihipStream_tbEUlmE_jEESB_NS0_8identityIvEEEESG_SJ_SK_mSL_SN_bEUlT_E_NS1_11comp_targetILNS1_3genE0ELNS1_11target_archE4294967295ELNS1_3gpuE0ELNS1_3repE0EEENS1_30default_config_static_selectorELNS0_4arch9wavefront6targetE1EEEvT1_
		.amdhsa_group_segment_fixed_size 0
		.amdhsa_private_segment_fixed_size 0
		.amdhsa_kernarg_size 56
		.amdhsa_user_sgpr_count 2
		.amdhsa_user_sgpr_dispatch_ptr 0
		.amdhsa_user_sgpr_queue_ptr 0
		.amdhsa_user_sgpr_kernarg_segment_ptr 1
		.amdhsa_user_sgpr_dispatch_id 0
		.amdhsa_user_sgpr_kernarg_preload_length 0
		.amdhsa_user_sgpr_kernarg_preload_offset 0
		.amdhsa_user_sgpr_private_segment_size 0
		.amdhsa_uses_dynamic_stack 0
		.amdhsa_enable_private_segment 0
		.amdhsa_system_sgpr_workgroup_id_x 1
		.amdhsa_system_sgpr_workgroup_id_y 0
		.amdhsa_system_sgpr_workgroup_id_z 0
		.amdhsa_system_sgpr_workgroup_info 0
		.amdhsa_system_vgpr_workitem_id 0
		.amdhsa_next_free_vgpr 1
		.amdhsa_next_free_sgpr 0
		.amdhsa_accum_offset 4
		.amdhsa_reserve_vcc 0
		.amdhsa_float_round_mode_32 0
		.amdhsa_float_round_mode_16_64 0
		.amdhsa_float_denorm_mode_32 3
		.amdhsa_float_denorm_mode_16_64 3
		.amdhsa_dx10_clamp 1
		.amdhsa_ieee_mode 1
		.amdhsa_fp16_overflow 0
		.amdhsa_tg_split 0
		.amdhsa_exception_fp_ieee_invalid_op 0
		.amdhsa_exception_fp_denorm_src 0
		.amdhsa_exception_fp_ieee_div_zero 0
		.amdhsa_exception_fp_ieee_overflow 0
		.amdhsa_exception_fp_ieee_underflow 0
		.amdhsa_exception_fp_ieee_inexact 0
		.amdhsa_exception_int_div_zero 0
	.end_amdhsa_kernel
	.section	.text._ZN7rocprim17ROCPRIM_400000_NS6detail17trampoline_kernelINS0_14default_configENS1_25transform_config_selectorIjLb0EEEZNS1_14transform_implILb0ES3_S5_NS0_18transform_iteratorINS0_17counting_iteratorImlEEZNS1_24adjacent_difference_implIS3_Lb1ELb0EPjSB_N6thrust23THRUST_200600_302600_NS5minusIjEEEE10hipError_tPvRmT2_T3_mT4_P12ihipStream_tbEUlmE_jEESB_NS0_8identityIvEEEESG_SJ_SK_mSL_SN_bEUlT_E_NS1_11comp_targetILNS1_3genE0ELNS1_11target_archE4294967295ELNS1_3gpuE0ELNS1_3repE0EEENS1_30default_config_static_selectorELNS0_4arch9wavefront6targetE1EEEvT1_,"axG",@progbits,_ZN7rocprim17ROCPRIM_400000_NS6detail17trampoline_kernelINS0_14default_configENS1_25transform_config_selectorIjLb0EEEZNS1_14transform_implILb0ES3_S5_NS0_18transform_iteratorINS0_17counting_iteratorImlEEZNS1_24adjacent_difference_implIS3_Lb1ELb0EPjSB_N6thrust23THRUST_200600_302600_NS5minusIjEEEE10hipError_tPvRmT2_T3_mT4_P12ihipStream_tbEUlmE_jEESB_NS0_8identityIvEEEESG_SJ_SK_mSL_SN_bEUlT_E_NS1_11comp_targetILNS1_3genE0ELNS1_11target_archE4294967295ELNS1_3gpuE0ELNS1_3repE0EEENS1_30default_config_static_selectorELNS0_4arch9wavefront6targetE1EEEvT1_,comdat
.Lfunc_end373:
	.size	_ZN7rocprim17ROCPRIM_400000_NS6detail17trampoline_kernelINS0_14default_configENS1_25transform_config_selectorIjLb0EEEZNS1_14transform_implILb0ES3_S5_NS0_18transform_iteratorINS0_17counting_iteratorImlEEZNS1_24adjacent_difference_implIS3_Lb1ELb0EPjSB_N6thrust23THRUST_200600_302600_NS5minusIjEEEE10hipError_tPvRmT2_T3_mT4_P12ihipStream_tbEUlmE_jEESB_NS0_8identityIvEEEESG_SJ_SK_mSL_SN_bEUlT_E_NS1_11comp_targetILNS1_3genE0ELNS1_11target_archE4294967295ELNS1_3gpuE0ELNS1_3repE0EEENS1_30default_config_static_selectorELNS0_4arch9wavefront6targetE1EEEvT1_, .Lfunc_end373-_ZN7rocprim17ROCPRIM_400000_NS6detail17trampoline_kernelINS0_14default_configENS1_25transform_config_selectorIjLb0EEEZNS1_14transform_implILb0ES3_S5_NS0_18transform_iteratorINS0_17counting_iteratorImlEEZNS1_24adjacent_difference_implIS3_Lb1ELb0EPjSB_N6thrust23THRUST_200600_302600_NS5minusIjEEEE10hipError_tPvRmT2_T3_mT4_P12ihipStream_tbEUlmE_jEESB_NS0_8identityIvEEEESG_SJ_SK_mSL_SN_bEUlT_E_NS1_11comp_targetILNS1_3genE0ELNS1_11target_archE4294967295ELNS1_3gpuE0ELNS1_3repE0EEENS1_30default_config_static_selectorELNS0_4arch9wavefront6targetE1EEEvT1_
                                        ; -- End function
	.section	.AMDGPU.csdata,"",@progbits
; Kernel info:
; codeLenInByte = 0
; NumSgprs: 6
; NumVgprs: 0
; NumAgprs: 0
; TotalNumVgprs: 0
; ScratchSize: 0
; MemoryBound: 0
; FloatMode: 240
; IeeeMode: 1
; LDSByteSize: 0 bytes/workgroup (compile time only)
; SGPRBlocks: 0
; VGPRBlocks: 0
; NumSGPRsForWavesPerEU: 6
; NumVGPRsForWavesPerEU: 1
; AccumOffset: 4
; Occupancy: 8
; WaveLimiterHint : 0
; COMPUTE_PGM_RSRC2:SCRATCH_EN: 0
; COMPUTE_PGM_RSRC2:USER_SGPR: 2
; COMPUTE_PGM_RSRC2:TRAP_HANDLER: 0
; COMPUTE_PGM_RSRC2:TGID_X_EN: 1
; COMPUTE_PGM_RSRC2:TGID_Y_EN: 0
; COMPUTE_PGM_RSRC2:TGID_Z_EN: 0
; COMPUTE_PGM_RSRC2:TIDIG_COMP_CNT: 0
; COMPUTE_PGM_RSRC3_GFX90A:ACCUM_OFFSET: 0
; COMPUTE_PGM_RSRC3_GFX90A:TG_SPLIT: 0
	.section	.text._ZN7rocprim17ROCPRIM_400000_NS6detail17trampoline_kernelINS0_14default_configENS1_25transform_config_selectorIjLb0EEEZNS1_14transform_implILb0ES3_S5_NS0_18transform_iteratorINS0_17counting_iteratorImlEEZNS1_24adjacent_difference_implIS3_Lb1ELb0EPjSB_N6thrust23THRUST_200600_302600_NS5minusIjEEEE10hipError_tPvRmT2_T3_mT4_P12ihipStream_tbEUlmE_jEESB_NS0_8identityIvEEEESG_SJ_SK_mSL_SN_bEUlT_E_NS1_11comp_targetILNS1_3genE5ELNS1_11target_archE942ELNS1_3gpuE9ELNS1_3repE0EEENS1_30default_config_static_selectorELNS0_4arch9wavefront6targetE1EEEvT1_,"axG",@progbits,_ZN7rocprim17ROCPRIM_400000_NS6detail17trampoline_kernelINS0_14default_configENS1_25transform_config_selectorIjLb0EEEZNS1_14transform_implILb0ES3_S5_NS0_18transform_iteratorINS0_17counting_iteratorImlEEZNS1_24adjacent_difference_implIS3_Lb1ELb0EPjSB_N6thrust23THRUST_200600_302600_NS5minusIjEEEE10hipError_tPvRmT2_T3_mT4_P12ihipStream_tbEUlmE_jEESB_NS0_8identityIvEEEESG_SJ_SK_mSL_SN_bEUlT_E_NS1_11comp_targetILNS1_3genE5ELNS1_11target_archE942ELNS1_3gpuE9ELNS1_3repE0EEENS1_30default_config_static_selectorELNS0_4arch9wavefront6targetE1EEEvT1_,comdat
	.protected	_ZN7rocprim17ROCPRIM_400000_NS6detail17trampoline_kernelINS0_14default_configENS1_25transform_config_selectorIjLb0EEEZNS1_14transform_implILb0ES3_S5_NS0_18transform_iteratorINS0_17counting_iteratorImlEEZNS1_24adjacent_difference_implIS3_Lb1ELb0EPjSB_N6thrust23THRUST_200600_302600_NS5minusIjEEEE10hipError_tPvRmT2_T3_mT4_P12ihipStream_tbEUlmE_jEESB_NS0_8identityIvEEEESG_SJ_SK_mSL_SN_bEUlT_E_NS1_11comp_targetILNS1_3genE5ELNS1_11target_archE942ELNS1_3gpuE9ELNS1_3repE0EEENS1_30default_config_static_selectorELNS0_4arch9wavefront6targetE1EEEvT1_ ; -- Begin function _ZN7rocprim17ROCPRIM_400000_NS6detail17trampoline_kernelINS0_14default_configENS1_25transform_config_selectorIjLb0EEEZNS1_14transform_implILb0ES3_S5_NS0_18transform_iteratorINS0_17counting_iteratorImlEEZNS1_24adjacent_difference_implIS3_Lb1ELb0EPjSB_N6thrust23THRUST_200600_302600_NS5minusIjEEEE10hipError_tPvRmT2_T3_mT4_P12ihipStream_tbEUlmE_jEESB_NS0_8identityIvEEEESG_SJ_SK_mSL_SN_bEUlT_E_NS1_11comp_targetILNS1_3genE5ELNS1_11target_archE942ELNS1_3gpuE9ELNS1_3repE0EEENS1_30default_config_static_selectorELNS0_4arch9wavefront6targetE1EEEvT1_
	.globl	_ZN7rocprim17ROCPRIM_400000_NS6detail17trampoline_kernelINS0_14default_configENS1_25transform_config_selectorIjLb0EEEZNS1_14transform_implILb0ES3_S5_NS0_18transform_iteratorINS0_17counting_iteratorImlEEZNS1_24adjacent_difference_implIS3_Lb1ELb0EPjSB_N6thrust23THRUST_200600_302600_NS5minusIjEEEE10hipError_tPvRmT2_T3_mT4_P12ihipStream_tbEUlmE_jEESB_NS0_8identityIvEEEESG_SJ_SK_mSL_SN_bEUlT_E_NS1_11comp_targetILNS1_3genE5ELNS1_11target_archE942ELNS1_3gpuE9ELNS1_3repE0EEENS1_30default_config_static_selectorELNS0_4arch9wavefront6targetE1EEEvT1_
	.p2align	8
	.type	_ZN7rocprim17ROCPRIM_400000_NS6detail17trampoline_kernelINS0_14default_configENS1_25transform_config_selectorIjLb0EEEZNS1_14transform_implILb0ES3_S5_NS0_18transform_iteratorINS0_17counting_iteratorImlEEZNS1_24adjacent_difference_implIS3_Lb1ELb0EPjSB_N6thrust23THRUST_200600_302600_NS5minusIjEEEE10hipError_tPvRmT2_T3_mT4_P12ihipStream_tbEUlmE_jEESB_NS0_8identityIvEEEESG_SJ_SK_mSL_SN_bEUlT_E_NS1_11comp_targetILNS1_3genE5ELNS1_11target_archE942ELNS1_3gpuE9ELNS1_3repE0EEENS1_30default_config_static_selectorELNS0_4arch9wavefront6targetE1EEEvT1_,@function
_ZN7rocprim17ROCPRIM_400000_NS6detail17trampoline_kernelINS0_14default_configENS1_25transform_config_selectorIjLb0EEEZNS1_14transform_implILb0ES3_S5_NS0_18transform_iteratorINS0_17counting_iteratorImlEEZNS1_24adjacent_difference_implIS3_Lb1ELb0EPjSB_N6thrust23THRUST_200600_302600_NS5minusIjEEEE10hipError_tPvRmT2_T3_mT4_P12ihipStream_tbEUlmE_jEESB_NS0_8identityIvEEEESG_SJ_SK_mSL_SN_bEUlT_E_NS1_11comp_targetILNS1_3genE5ELNS1_11target_archE942ELNS1_3gpuE9ELNS1_3repE0EEENS1_30default_config_static_selectorELNS0_4arch9wavefront6targetE1EEEvT1_: ; @_ZN7rocprim17ROCPRIM_400000_NS6detail17trampoline_kernelINS0_14default_configENS1_25transform_config_selectorIjLb0EEEZNS1_14transform_implILb0ES3_S5_NS0_18transform_iteratorINS0_17counting_iteratorImlEEZNS1_24adjacent_difference_implIS3_Lb1ELb0EPjSB_N6thrust23THRUST_200600_302600_NS5minusIjEEEE10hipError_tPvRmT2_T3_mT4_P12ihipStream_tbEUlmE_jEESB_NS0_8identityIvEEEESG_SJ_SK_mSL_SN_bEUlT_E_NS1_11comp_targetILNS1_3genE5ELNS1_11target_archE942ELNS1_3gpuE9ELNS1_3repE0EEENS1_30default_config_static_selectorELNS0_4arch9wavefront6targetE1EEEvT1_
; %bb.0:
	s_load_dwordx4 s[8:11], s[0:1], 0x18
	s_load_dwordx2 s[14:15], s[0:1], 0x28
	s_load_dwordx4 s[4:7], s[0:1], 0x0
	s_load_dword s12, s[0:1], 0x10
	s_load_dword s3, s[0:1], 0x38
	s_waitcnt lgkmcnt(0)
	s_lshl_b64 s[0:1], s[8:9], 2
	s_add_u32 s18, s14, s0
	s_addc_u32 s19, s15, s1
	s_lshl_b32 s14, s2, 11
	s_add_i32 s3, s3, -1
	s_add_u32 s0, s4, s14
	s_addc_u32 s1, s5, 0
	s_add_u32 s16, s0, s8
	s_addc_u32 s17, s1, s9
	s_mov_b32 s15, 0
	s_cmp_lg_u32 s2, s3
	v_lshlrev_b32_e32 v6, 2, v0
	s_cbranch_scc0 .LBB374_2
; %bb.1:
	v_mov_b32_e32 v1, 0
	v_lshl_add_u64 v[2:3], s[16:17], 0, v[0:1]
	v_mad_u64_u32 v[4:5], s[0:1], v2, s12, 0
	v_mov_b32_e32 v2, v5
	v_mad_u64_u32 v[2:3], s[0:1], v3, s12, v[2:3]
	s_mov_b32 s13, s15
	v_mov_b32_e32 v5, v2
	v_lshl_add_u64 v[2:3], v[4:5], 2, s[6:7]
	s_lshl_b64 s[0:1], s[12:13], 11
	v_lshl_add_u64 v[4:5], v[2:3], 0, s[0:1]
	v_lshl_add_u64 v[8:9], v[4:5], 0, s[0:1]
	global_load_dword v10, v[2:3], off
	global_load_dword v11, v[4:5], off
	;; [unrolled: 1-line block ×3, first 2 shown]
	v_lshl_add_u64 v[2:3], v[8:9], 0, s[0:1]
	global_load_dword v2, v[2:3], off
	s_lshl_b64 s[2:3], s[14:15], 2
	s_add_u32 s2, s18, s2
	v_mov_b32_e32 v7, v1
	s_addc_u32 s3, s19, s3
	v_lshl_add_u64 v[8:9], s[2:3], 0, v[6:7]
	v_add_co_u32_e32 v4, vcc, 0x1000, v8
	s_nop 1
	v_addc_co_u32_e32 v5, vcc, 0, v9, vcc
	s_mov_b64 s[8:9], -1
	s_waitcnt vmcnt(3)
	global_store_dword v6, v10, s[2:3]
	s_waitcnt vmcnt(3)
	global_store_dword v6, v11, s[2:3] offset:2048
	s_waitcnt vmcnt(3)
	global_store_dword v[4:5], v12, off
	s_cbranch_execz .LBB374_3
	s_branch .LBB374_17
.LBB374_2:
	s_mov_b64 s[8:9], 0
                                        ; implicit-def: $vgpr2
                                        ; implicit-def: $vgpr8_vgpr9
.LBB374_3:
	s_sub_i32 s10, s10, s14
	v_cmp_gt_u32_e32 vcc, s10, v0
                                        ; implicit-def: $vgpr2_vgpr3_vgpr4_vgpr5
	s_and_saveexec_b64 s[0:1], vcc
	s_cbranch_execz .LBB374_5
; %bb.4:
	v_mov_b32_e32 v1, 0
	s_waitcnt vmcnt(3)
	v_lshl_add_u64 v[2:3], s[16:17], 0, v[0:1]
	v_mad_u64_u32 v[4:5], s[2:3], v2, s12, 0
	v_mov_b32_e32 v2, v5
	v_mad_u64_u32 v[2:3], s[2:3], v3, s12, v[2:3]
	v_mov_b32_e32 v5, v2
	v_lshl_add_u64 v[2:3], v[4:5], 2, s[6:7]
	global_load_dword v2, v[2:3], off
.LBB374_5:
	s_or_b64 exec, exec, s[0:1]
	v_or_b32_e32 v8, 0x200, v0
	v_cmp_gt_u32_e64 s[0:1], s10, v8
	s_and_saveexec_b64 s[2:3], s[0:1]
	s_cbranch_execz .LBB374_7
; %bb.6:
	v_mov_b32_e32 v9, 0
	v_lshl_add_u64 v[8:9], s[16:17], 0, v[8:9]
	v_mad_u64_u32 v[10:11], s[4:5], v8, s12, 0
	v_mov_b32_e32 v8, v11
	v_mad_u64_u32 v[8:9], s[4:5], v9, s12, v[8:9]
	v_mov_b32_e32 v11, v8
	v_lshl_add_u64 v[8:9], v[10:11], 2, s[6:7]
	global_load_dword v3, v[8:9], off
.LBB374_7:
	s_or_b64 exec, exec, s[2:3]
	v_or_b32_e32 v8, 0x400, v0
	v_cmp_gt_u32_e64 s[2:3], s10, v8
	s_and_saveexec_b64 s[4:5], s[2:3]
	s_cbranch_execz .LBB374_9
; %bb.8:
	v_mov_b32_e32 v9, 0
	v_lshl_add_u64 v[8:9], s[16:17], 0, v[8:9]
	v_mad_u64_u32 v[10:11], s[20:21], v8, s12, 0
	v_mov_b32_e32 v4, v11
	v_mad_u64_u32 v[8:9], s[20:21], v9, s12, v[4:5]
	v_mov_b32_e32 v11, v8
	v_lshl_add_u64 v[8:9], v[10:11], 2, s[6:7]
	global_load_dword v4, v[8:9], off
.LBB374_9:
	;; [unrolled: 15-line block ×3, first 2 shown]
	s_or_b64 exec, exec, s[10:11]
	s_lshl_b64 s[6:7], s[14:15], 2
	s_add_u32 s6, s18, s6
	s_addc_u32 s7, s19, s7
	v_mov_b32_e32 v7, 0
	v_lshl_add_u64 v[8:9], s[6:7], 0, v[6:7]
	s_and_saveexec_b64 s[6:7], vcc
	s_cbranch_execnz .LBB374_20
; %bb.12:
	s_or_b64 exec, exec, s[6:7]
	s_and_saveexec_b64 s[6:7], s[0:1]
	s_cbranch_execnz .LBB374_21
.LBB374_13:
	s_or_b64 exec, exec, s[6:7]
	s_and_saveexec_b64 s[0:1], s[2:3]
	s_cbranch_execnz .LBB374_22
.LBB374_14:
	s_or_b64 exec, exec, s[0:1]
                                        ; implicit-def: $vgpr2
	s_and_saveexec_b64 s[0:1], s[4:5]
	s_cbranch_execz .LBB374_16
.LBB374_15:
	s_waitcnt vmcnt(0)
	v_cndmask_b32_e64 v2, v5, v5, s[4:5]
	s_or_b64 s[8:9], s[8:9], exec
.LBB374_16:
	s_or_b64 exec, exec, s[0:1]
.LBB374_17:
	s_and_saveexec_b64 s[0:1], s[8:9]
	s_cbranch_execnz .LBB374_19
; %bb.18:
	s_endpgm
.LBB374_19:
	v_add_co_u32_e32 v0, vcc, 0x1000, v8
	s_nop 1
	v_addc_co_u32_e32 v1, vcc, 0, v9, vcc
	s_waitcnt vmcnt(0)
	global_store_dword v[0:1], v2, off offset:2048
	s_endpgm
.LBB374_20:
	s_waitcnt vmcnt(0)
	global_store_dword v[8:9], v2, off
	s_or_b64 exec, exec, s[6:7]
	s_and_saveexec_b64 s[6:7], s[0:1]
	s_cbranch_execz .LBB374_13
.LBB374_21:
	s_waitcnt vmcnt(0)
	global_store_dword v[8:9], v3, off offset:2048
	s_or_b64 exec, exec, s[6:7]
	s_and_saveexec_b64 s[0:1], s[2:3]
	s_cbranch_execz .LBB374_14
.LBB374_22:
	v_add_co_u32_e32 v0, vcc, 0x1000, v8
	s_waitcnt vmcnt(0)
	v_cndmask_b32_e64 v2, v4, v4, s[2:3]
	v_addc_co_u32_e32 v1, vcc, 0, v9, vcc
	global_store_dword v[0:1], v2, off
	s_or_b64 exec, exec, s[0:1]
                                        ; implicit-def: $vgpr2
	s_and_saveexec_b64 s[0:1], s[4:5]
	s_cbranch_execnz .LBB374_15
	s_branch .LBB374_16
	.section	.rodata,"a",@progbits
	.p2align	6, 0x0
	.amdhsa_kernel _ZN7rocprim17ROCPRIM_400000_NS6detail17trampoline_kernelINS0_14default_configENS1_25transform_config_selectorIjLb0EEEZNS1_14transform_implILb0ES3_S5_NS0_18transform_iteratorINS0_17counting_iteratorImlEEZNS1_24adjacent_difference_implIS3_Lb1ELb0EPjSB_N6thrust23THRUST_200600_302600_NS5minusIjEEEE10hipError_tPvRmT2_T3_mT4_P12ihipStream_tbEUlmE_jEESB_NS0_8identityIvEEEESG_SJ_SK_mSL_SN_bEUlT_E_NS1_11comp_targetILNS1_3genE5ELNS1_11target_archE942ELNS1_3gpuE9ELNS1_3repE0EEENS1_30default_config_static_selectorELNS0_4arch9wavefront6targetE1EEEvT1_
		.amdhsa_group_segment_fixed_size 0
		.amdhsa_private_segment_fixed_size 0
		.amdhsa_kernarg_size 312
		.amdhsa_user_sgpr_count 2
		.amdhsa_user_sgpr_dispatch_ptr 0
		.amdhsa_user_sgpr_queue_ptr 0
		.amdhsa_user_sgpr_kernarg_segment_ptr 1
		.amdhsa_user_sgpr_dispatch_id 0
		.amdhsa_user_sgpr_kernarg_preload_length 0
		.amdhsa_user_sgpr_kernarg_preload_offset 0
		.amdhsa_user_sgpr_private_segment_size 0
		.amdhsa_uses_dynamic_stack 0
		.amdhsa_enable_private_segment 0
		.amdhsa_system_sgpr_workgroup_id_x 1
		.amdhsa_system_sgpr_workgroup_id_y 0
		.amdhsa_system_sgpr_workgroup_id_z 0
		.amdhsa_system_sgpr_workgroup_info 0
		.amdhsa_system_vgpr_workitem_id 0
		.amdhsa_next_free_vgpr 13
		.amdhsa_next_free_sgpr 22
		.amdhsa_accum_offset 16
		.amdhsa_reserve_vcc 1
		.amdhsa_float_round_mode_32 0
		.amdhsa_float_round_mode_16_64 0
		.amdhsa_float_denorm_mode_32 3
		.amdhsa_float_denorm_mode_16_64 3
		.amdhsa_dx10_clamp 1
		.amdhsa_ieee_mode 1
		.amdhsa_fp16_overflow 0
		.amdhsa_tg_split 0
		.amdhsa_exception_fp_ieee_invalid_op 0
		.amdhsa_exception_fp_denorm_src 0
		.amdhsa_exception_fp_ieee_div_zero 0
		.amdhsa_exception_fp_ieee_overflow 0
		.amdhsa_exception_fp_ieee_underflow 0
		.amdhsa_exception_fp_ieee_inexact 0
		.amdhsa_exception_int_div_zero 0
	.end_amdhsa_kernel
	.section	.text._ZN7rocprim17ROCPRIM_400000_NS6detail17trampoline_kernelINS0_14default_configENS1_25transform_config_selectorIjLb0EEEZNS1_14transform_implILb0ES3_S5_NS0_18transform_iteratorINS0_17counting_iteratorImlEEZNS1_24adjacent_difference_implIS3_Lb1ELb0EPjSB_N6thrust23THRUST_200600_302600_NS5minusIjEEEE10hipError_tPvRmT2_T3_mT4_P12ihipStream_tbEUlmE_jEESB_NS0_8identityIvEEEESG_SJ_SK_mSL_SN_bEUlT_E_NS1_11comp_targetILNS1_3genE5ELNS1_11target_archE942ELNS1_3gpuE9ELNS1_3repE0EEENS1_30default_config_static_selectorELNS0_4arch9wavefront6targetE1EEEvT1_,"axG",@progbits,_ZN7rocprim17ROCPRIM_400000_NS6detail17trampoline_kernelINS0_14default_configENS1_25transform_config_selectorIjLb0EEEZNS1_14transform_implILb0ES3_S5_NS0_18transform_iteratorINS0_17counting_iteratorImlEEZNS1_24adjacent_difference_implIS3_Lb1ELb0EPjSB_N6thrust23THRUST_200600_302600_NS5minusIjEEEE10hipError_tPvRmT2_T3_mT4_P12ihipStream_tbEUlmE_jEESB_NS0_8identityIvEEEESG_SJ_SK_mSL_SN_bEUlT_E_NS1_11comp_targetILNS1_3genE5ELNS1_11target_archE942ELNS1_3gpuE9ELNS1_3repE0EEENS1_30default_config_static_selectorELNS0_4arch9wavefront6targetE1EEEvT1_,comdat
.Lfunc_end374:
	.size	_ZN7rocprim17ROCPRIM_400000_NS6detail17trampoline_kernelINS0_14default_configENS1_25transform_config_selectorIjLb0EEEZNS1_14transform_implILb0ES3_S5_NS0_18transform_iteratorINS0_17counting_iteratorImlEEZNS1_24adjacent_difference_implIS3_Lb1ELb0EPjSB_N6thrust23THRUST_200600_302600_NS5minusIjEEEE10hipError_tPvRmT2_T3_mT4_P12ihipStream_tbEUlmE_jEESB_NS0_8identityIvEEEESG_SJ_SK_mSL_SN_bEUlT_E_NS1_11comp_targetILNS1_3genE5ELNS1_11target_archE942ELNS1_3gpuE9ELNS1_3repE0EEENS1_30default_config_static_selectorELNS0_4arch9wavefront6targetE1EEEvT1_, .Lfunc_end374-_ZN7rocprim17ROCPRIM_400000_NS6detail17trampoline_kernelINS0_14default_configENS1_25transform_config_selectorIjLb0EEEZNS1_14transform_implILb0ES3_S5_NS0_18transform_iteratorINS0_17counting_iteratorImlEEZNS1_24adjacent_difference_implIS3_Lb1ELb0EPjSB_N6thrust23THRUST_200600_302600_NS5minusIjEEEE10hipError_tPvRmT2_T3_mT4_P12ihipStream_tbEUlmE_jEESB_NS0_8identityIvEEEESG_SJ_SK_mSL_SN_bEUlT_E_NS1_11comp_targetILNS1_3genE5ELNS1_11target_archE942ELNS1_3gpuE9ELNS1_3repE0EEENS1_30default_config_static_selectorELNS0_4arch9wavefront6targetE1EEEvT1_
                                        ; -- End function
	.section	.AMDGPU.csdata,"",@progbits
; Kernel info:
; codeLenInByte = 840
; NumSgprs: 28
; NumVgprs: 13
; NumAgprs: 0
; TotalNumVgprs: 13
; ScratchSize: 0
; MemoryBound: 0
; FloatMode: 240
; IeeeMode: 1
; LDSByteSize: 0 bytes/workgroup (compile time only)
; SGPRBlocks: 3
; VGPRBlocks: 1
; NumSGPRsForWavesPerEU: 28
; NumVGPRsForWavesPerEU: 13
; AccumOffset: 16
; Occupancy: 8
; WaveLimiterHint : 1
; COMPUTE_PGM_RSRC2:SCRATCH_EN: 0
; COMPUTE_PGM_RSRC2:USER_SGPR: 2
; COMPUTE_PGM_RSRC2:TRAP_HANDLER: 0
; COMPUTE_PGM_RSRC2:TGID_X_EN: 1
; COMPUTE_PGM_RSRC2:TGID_Y_EN: 0
; COMPUTE_PGM_RSRC2:TGID_Z_EN: 0
; COMPUTE_PGM_RSRC2:TIDIG_COMP_CNT: 0
; COMPUTE_PGM_RSRC3_GFX90A:ACCUM_OFFSET: 3
; COMPUTE_PGM_RSRC3_GFX90A:TG_SPLIT: 0
	.section	.text._ZN7rocprim17ROCPRIM_400000_NS6detail17trampoline_kernelINS0_14default_configENS1_25transform_config_selectorIjLb0EEEZNS1_14transform_implILb0ES3_S5_NS0_18transform_iteratorINS0_17counting_iteratorImlEEZNS1_24adjacent_difference_implIS3_Lb1ELb0EPjSB_N6thrust23THRUST_200600_302600_NS5minusIjEEEE10hipError_tPvRmT2_T3_mT4_P12ihipStream_tbEUlmE_jEESB_NS0_8identityIvEEEESG_SJ_SK_mSL_SN_bEUlT_E_NS1_11comp_targetILNS1_3genE4ELNS1_11target_archE910ELNS1_3gpuE8ELNS1_3repE0EEENS1_30default_config_static_selectorELNS0_4arch9wavefront6targetE1EEEvT1_,"axG",@progbits,_ZN7rocprim17ROCPRIM_400000_NS6detail17trampoline_kernelINS0_14default_configENS1_25transform_config_selectorIjLb0EEEZNS1_14transform_implILb0ES3_S5_NS0_18transform_iteratorINS0_17counting_iteratorImlEEZNS1_24adjacent_difference_implIS3_Lb1ELb0EPjSB_N6thrust23THRUST_200600_302600_NS5minusIjEEEE10hipError_tPvRmT2_T3_mT4_P12ihipStream_tbEUlmE_jEESB_NS0_8identityIvEEEESG_SJ_SK_mSL_SN_bEUlT_E_NS1_11comp_targetILNS1_3genE4ELNS1_11target_archE910ELNS1_3gpuE8ELNS1_3repE0EEENS1_30default_config_static_selectorELNS0_4arch9wavefront6targetE1EEEvT1_,comdat
	.protected	_ZN7rocprim17ROCPRIM_400000_NS6detail17trampoline_kernelINS0_14default_configENS1_25transform_config_selectorIjLb0EEEZNS1_14transform_implILb0ES3_S5_NS0_18transform_iteratorINS0_17counting_iteratorImlEEZNS1_24adjacent_difference_implIS3_Lb1ELb0EPjSB_N6thrust23THRUST_200600_302600_NS5minusIjEEEE10hipError_tPvRmT2_T3_mT4_P12ihipStream_tbEUlmE_jEESB_NS0_8identityIvEEEESG_SJ_SK_mSL_SN_bEUlT_E_NS1_11comp_targetILNS1_3genE4ELNS1_11target_archE910ELNS1_3gpuE8ELNS1_3repE0EEENS1_30default_config_static_selectorELNS0_4arch9wavefront6targetE1EEEvT1_ ; -- Begin function _ZN7rocprim17ROCPRIM_400000_NS6detail17trampoline_kernelINS0_14default_configENS1_25transform_config_selectorIjLb0EEEZNS1_14transform_implILb0ES3_S5_NS0_18transform_iteratorINS0_17counting_iteratorImlEEZNS1_24adjacent_difference_implIS3_Lb1ELb0EPjSB_N6thrust23THRUST_200600_302600_NS5minusIjEEEE10hipError_tPvRmT2_T3_mT4_P12ihipStream_tbEUlmE_jEESB_NS0_8identityIvEEEESG_SJ_SK_mSL_SN_bEUlT_E_NS1_11comp_targetILNS1_3genE4ELNS1_11target_archE910ELNS1_3gpuE8ELNS1_3repE0EEENS1_30default_config_static_selectorELNS0_4arch9wavefront6targetE1EEEvT1_
	.globl	_ZN7rocprim17ROCPRIM_400000_NS6detail17trampoline_kernelINS0_14default_configENS1_25transform_config_selectorIjLb0EEEZNS1_14transform_implILb0ES3_S5_NS0_18transform_iteratorINS0_17counting_iteratorImlEEZNS1_24adjacent_difference_implIS3_Lb1ELb0EPjSB_N6thrust23THRUST_200600_302600_NS5minusIjEEEE10hipError_tPvRmT2_T3_mT4_P12ihipStream_tbEUlmE_jEESB_NS0_8identityIvEEEESG_SJ_SK_mSL_SN_bEUlT_E_NS1_11comp_targetILNS1_3genE4ELNS1_11target_archE910ELNS1_3gpuE8ELNS1_3repE0EEENS1_30default_config_static_selectorELNS0_4arch9wavefront6targetE1EEEvT1_
	.p2align	8
	.type	_ZN7rocprim17ROCPRIM_400000_NS6detail17trampoline_kernelINS0_14default_configENS1_25transform_config_selectorIjLb0EEEZNS1_14transform_implILb0ES3_S5_NS0_18transform_iteratorINS0_17counting_iteratorImlEEZNS1_24adjacent_difference_implIS3_Lb1ELb0EPjSB_N6thrust23THRUST_200600_302600_NS5minusIjEEEE10hipError_tPvRmT2_T3_mT4_P12ihipStream_tbEUlmE_jEESB_NS0_8identityIvEEEESG_SJ_SK_mSL_SN_bEUlT_E_NS1_11comp_targetILNS1_3genE4ELNS1_11target_archE910ELNS1_3gpuE8ELNS1_3repE0EEENS1_30default_config_static_selectorELNS0_4arch9wavefront6targetE1EEEvT1_,@function
_ZN7rocprim17ROCPRIM_400000_NS6detail17trampoline_kernelINS0_14default_configENS1_25transform_config_selectorIjLb0EEEZNS1_14transform_implILb0ES3_S5_NS0_18transform_iteratorINS0_17counting_iteratorImlEEZNS1_24adjacent_difference_implIS3_Lb1ELb0EPjSB_N6thrust23THRUST_200600_302600_NS5minusIjEEEE10hipError_tPvRmT2_T3_mT4_P12ihipStream_tbEUlmE_jEESB_NS0_8identityIvEEEESG_SJ_SK_mSL_SN_bEUlT_E_NS1_11comp_targetILNS1_3genE4ELNS1_11target_archE910ELNS1_3gpuE8ELNS1_3repE0EEENS1_30default_config_static_selectorELNS0_4arch9wavefront6targetE1EEEvT1_: ; @_ZN7rocprim17ROCPRIM_400000_NS6detail17trampoline_kernelINS0_14default_configENS1_25transform_config_selectorIjLb0EEEZNS1_14transform_implILb0ES3_S5_NS0_18transform_iteratorINS0_17counting_iteratorImlEEZNS1_24adjacent_difference_implIS3_Lb1ELb0EPjSB_N6thrust23THRUST_200600_302600_NS5minusIjEEEE10hipError_tPvRmT2_T3_mT4_P12ihipStream_tbEUlmE_jEESB_NS0_8identityIvEEEESG_SJ_SK_mSL_SN_bEUlT_E_NS1_11comp_targetILNS1_3genE4ELNS1_11target_archE910ELNS1_3gpuE8ELNS1_3repE0EEENS1_30default_config_static_selectorELNS0_4arch9wavefront6targetE1EEEvT1_
; %bb.0:
	.section	.rodata,"a",@progbits
	.p2align	6, 0x0
	.amdhsa_kernel _ZN7rocprim17ROCPRIM_400000_NS6detail17trampoline_kernelINS0_14default_configENS1_25transform_config_selectorIjLb0EEEZNS1_14transform_implILb0ES3_S5_NS0_18transform_iteratorINS0_17counting_iteratorImlEEZNS1_24adjacent_difference_implIS3_Lb1ELb0EPjSB_N6thrust23THRUST_200600_302600_NS5minusIjEEEE10hipError_tPvRmT2_T3_mT4_P12ihipStream_tbEUlmE_jEESB_NS0_8identityIvEEEESG_SJ_SK_mSL_SN_bEUlT_E_NS1_11comp_targetILNS1_3genE4ELNS1_11target_archE910ELNS1_3gpuE8ELNS1_3repE0EEENS1_30default_config_static_selectorELNS0_4arch9wavefront6targetE1EEEvT1_
		.amdhsa_group_segment_fixed_size 0
		.amdhsa_private_segment_fixed_size 0
		.amdhsa_kernarg_size 56
		.amdhsa_user_sgpr_count 2
		.amdhsa_user_sgpr_dispatch_ptr 0
		.amdhsa_user_sgpr_queue_ptr 0
		.amdhsa_user_sgpr_kernarg_segment_ptr 1
		.amdhsa_user_sgpr_dispatch_id 0
		.amdhsa_user_sgpr_kernarg_preload_length 0
		.amdhsa_user_sgpr_kernarg_preload_offset 0
		.amdhsa_user_sgpr_private_segment_size 0
		.amdhsa_uses_dynamic_stack 0
		.amdhsa_enable_private_segment 0
		.amdhsa_system_sgpr_workgroup_id_x 1
		.amdhsa_system_sgpr_workgroup_id_y 0
		.amdhsa_system_sgpr_workgroup_id_z 0
		.amdhsa_system_sgpr_workgroup_info 0
		.amdhsa_system_vgpr_workitem_id 0
		.amdhsa_next_free_vgpr 1
		.amdhsa_next_free_sgpr 0
		.amdhsa_accum_offset 4
		.amdhsa_reserve_vcc 0
		.amdhsa_float_round_mode_32 0
		.amdhsa_float_round_mode_16_64 0
		.amdhsa_float_denorm_mode_32 3
		.amdhsa_float_denorm_mode_16_64 3
		.amdhsa_dx10_clamp 1
		.amdhsa_ieee_mode 1
		.amdhsa_fp16_overflow 0
		.amdhsa_tg_split 0
		.amdhsa_exception_fp_ieee_invalid_op 0
		.amdhsa_exception_fp_denorm_src 0
		.amdhsa_exception_fp_ieee_div_zero 0
		.amdhsa_exception_fp_ieee_overflow 0
		.amdhsa_exception_fp_ieee_underflow 0
		.amdhsa_exception_fp_ieee_inexact 0
		.amdhsa_exception_int_div_zero 0
	.end_amdhsa_kernel
	.section	.text._ZN7rocprim17ROCPRIM_400000_NS6detail17trampoline_kernelINS0_14default_configENS1_25transform_config_selectorIjLb0EEEZNS1_14transform_implILb0ES3_S5_NS0_18transform_iteratorINS0_17counting_iteratorImlEEZNS1_24adjacent_difference_implIS3_Lb1ELb0EPjSB_N6thrust23THRUST_200600_302600_NS5minusIjEEEE10hipError_tPvRmT2_T3_mT4_P12ihipStream_tbEUlmE_jEESB_NS0_8identityIvEEEESG_SJ_SK_mSL_SN_bEUlT_E_NS1_11comp_targetILNS1_3genE4ELNS1_11target_archE910ELNS1_3gpuE8ELNS1_3repE0EEENS1_30default_config_static_selectorELNS0_4arch9wavefront6targetE1EEEvT1_,"axG",@progbits,_ZN7rocprim17ROCPRIM_400000_NS6detail17trampoline_kernelINS0_14default_configENS1_25transform_config_selectorIjLb0EEEZNS1_14transform_implILb0ES3_S5_NS0_18transform_iteratorINS0_17counting_iteratorImlEEZNS1_24adjacent_difference_implIS3_Lb1ELb0EPjSB_N6thrust23THRUST_200600_302600_NS5minusIjEEEE10hipError_tPvRmT2_T3_mT4_P12ihipStream_tbEUlmE_jEESB_NS0_8identityIvEEEESG_SJ_SK_mSL_SN_bEUlT_E_NS1_11comp_targetILNS1_3genE4ELNS1_11target_archE910ELNS1_3gpuE8ELNS1_3repE0EEENS1_30default_config_static_selectorELNS0_4arch9wavefront6targetE1EEEvT1_,comdat
.Lfunc_end375:
	.size	_ZN7rocprim17ROCPRIM_400000_NS6detail17trampoline_kernelINS0_14default_configENS1_25transform_config_selectorIjLb0EEEZNS1_14transform_implILb0ES3_S5_NS0_18transform_iteratorINS0_17counting_iteratorImlEEZNS1_24adjacent_difference_implIS3_Lb1ELb0EPjSB_N6thrust23THRUST_200600_302600_NS5minusIjEEEE10hipError_tPvRmT2_T3_mT4_P12ihipStream_tbEUlmE_jEESB_NS0_8identityIvEEEESG_SJ_SK_mSL_SN_bEUlT_E_NS1_11comp_targetILNS1_3genE4ELNS1_11target_archE910ELNS1_3gpuE8ELNS1_3repE0EEENS1_30default_config_static_selectorELNS0_4arch9wavefront6targetE1EEEvT1_, .Lfunc_end375-_ZN7rocprim17ROCPRIM_400000_NS6detail17trampoline_kernelINS0_14default_configENS1_25transform_config_selectorIjLb0EEEZNS1_14transform_implILb0ES3_S5_NS0_18transform_iteratorINS0_17counting_iteratorImlEEZNS1_24adjacent_difference_implIS3_Lb1ELb0EPjSB_N6thrust23THRUST_200600_302600_NS5minusIjEEEE10hipError_tPvRmT2_T3_mT4_P12ihipStream_tbEUlmE_jEESB_NS0_8identityIvEEEESG_SJ_SK_mSL_SN_bEUlT_E_NS1_11comp_targetILNS1_3genE4ELNS1_11target_archE910ELNS1_3gpuE8ELNS1_3repE0EEENS1_30default_config_static_selectorELNS0_4arch9wavefront6targetE1EEEvT1_
                                        ; -- End function
	.section	.AMDGPU.csdata,"",@progbits
; Kernel info:
; codeLenInByte = 0
; NumSgprs: 6
; NumVgprs: 0
; NumAgprs: 0
; TotalNumVgprs: 0
; ScratchSize: 0
; MemoryBound: 0
; FloatMode: 240
; IeeeMode: 1
; LDSByteSize: 0 bytes/workgroup (compile time only)
; SGPRBlocks: 0
; VGPRBlocks: 0
; NumSGPRsForWavesPerEU: 6
; NumVGPRsForWavesPerEU: 1
; AccumOffset: 4
; Occupancy: 8
; WaveLimiterHint : 0
; COMPUTE_PGM_RSRC2:SCRATCH_EN: 0
; COMPUTE_PGM_RSRC2:USER_SGPR: 2
; COMPUTE_PGM_RSRC2:TRAP_HANDLER: 0
; COMPUTE_PGM_RSRC2:TGID_X_EN: 1
; COMPUTE_PGM_RSRC2:TGID_Y_EN: 0
; COMPUTE_PGM_RSRC2:TGID_Z_EN: 0
; COMPUTE_PGM_RSRC2:TIDIG_COMP_CNT: 0
; COMPUTE_PGM_RSRC3_GFX90A:ACCUM_OFFSET: 0
; COMPUTE_PGM_RSRC3_GFX90A:TG_SPLIT: 0
	.section	.text._ZN7rocprim17ROCPRIM_400000_NS6detail17trampoline_kernelINS0_14default_configENS1_25transform_config_selectorIjLb0EEEZNS1_14transform_implILb0ES3_S5_NS0_18transform_iteratorINS0_17counting_iteratorImlEEZNS1_24adjacent_difference_implIS3_Lb1ELb0EPjSB_N6thrust23THRUST_200600_302600_NS5minusIjEEEE10hipError_tPvRmT2_T3_mT4_P12ihipStream_tbEUlmE_jEESB_NS0_8identityIvEEEESG_SJ_SK_mSL_SN_bEUlT_E_NS1_11comp_targetILNS1_3genE3ELNS1_11target_archE908ELNS1_3gpuE7ELNS1_3repE0EEENS1_30default_config_static_selectorELNS0_4arch9wavefront6targetE1EEEvT1_,"axG",@progbits,_ZN7rocprim17ROCPRIM_400000_NS6detail17trampoline_kernelINS0_14default_configENS1_25transform_config_selectorIjLb0EEEZNS1_14transform_implILb0ES3_S5_NS0_18transform_iteratorINS0_17counting_iteratorImlEEZNS1_24adjacent_difference_implIS3_Lb1ELb0EPjSB_N6thrust23THRUST_200600_302600_NS5minusIjEEEE10hipError_tPvRmT2_T3_mT4_P12ihipStream_tbEUlmE_jEESB_NS0_8identityIvEEEESG_SJ_SK_mSL_SN_bEUlT_E_NS1_11comp_targetILNS1_3genE3ELNS1_11target_archE908ELNS1_3gpuE7ELNS1_3repE0EEENS1_30default_config_static_selectorELNS0_4arch9wavefront6targetE1EEEvT1_,comdat
	.protected	_ZN7rocprim17ROCPRIM_400000_NS6detail17trampoline_kernelINS0_14default_configENS1_25transform_config_selectorIjLb0EEEZNS1_14transform_implILb0ES3_S5_NS0_18transform_iteratorINS0_17counting_iteratorImlEEZNS1_24adjacent_difference_implIS3_Lb1ELb0EPjSB_N6thrust23THRUST_200600_302600_NS5minusIjEEEE10hipError_tPvRmT2_T3_mT4_P12ihipStream_tbEUlmE_jEESB_NS0_8identityIvEEEESG_SJ_SK_mSL_SN_bEUlT_E_NS1_11comp_targetILNS1_3genE3ELNS1_11target_archE908ELNS1_3gpuE7ELNS1_3repE0EEENS1_30default_config_static_selectorELNS0_4arch9wavefront6targetE1EEEvT1_ ; -- Begin function _ZN7rocprim17ROCPRIM_400000_NS6detail17trampoline_kernelINS0_14default_configENS1_25transform_config_selectorIjLb0EEEZNS1_14transform_implILb0ES3_S5_NS0_18transform_iteratorINS0_17counting_iteratorImlEEZNS1_24adjacent_difference_implIS3_Lb1ELb0EPjSB_N6thrust23THRUST_200600_302600_NS5minusIjEEEE10hipError_tPvRmT2_T3_mT4_P12ihipStream_tbEUlmE_jEESB_NS0_8identityIvEEEESG_SJ_SK_mSL_SN_bEUlT_E_NS1_11comp_targetILNS1_3genE3ELNS1_11target_archE908ELNS1_3gpuE7ELNS1_3repE0EEENS1_30default_config_static_selectorELNS0_4arch9wavefront6targetE1EEEvT1_
	.globl	_ZN7rocprim17ROCPRIM_400000_NS6detail17trampoline_kernelINS0_14default_configENS1_25transform_config_selectorIjLb0EEEZNS1_14transform_implILb0ES3_S5_NS0_18transform_iteratorINS0_17counting_iteratorImlEEZNS1_24adjacent_difference_implIS3_Lb1ELb0EPjSB_N6thrust23THRUST_200600_302600_NS5minusIjEEEE10hipError_tPvRmT2_T3_mT4_P12ihipStream_tbEUlmE_jEESB_NS0_8identityIvEEEESG_SJ_SK_mSL_SN_bEUlT_E_NS1_11comp_targetILNS1_3genE3ELNS1_11target_archE908ELNS1_3gpuE7ELNS1_3repE0EEENS1_30default_config_static_selectorELNS0_4arch9wavefront6targetE1EEEvT1_
	.p2align	8
	.type	_ZN7rocprim17ROCPRIM_400000_NS6detail17trampoline_kernelINS0_14default_configENS1_25transform_config_selectorIjLb0EEEZNS1_14transform_implILb0ES3_S5_NS0_18transform_iteratorINS0_17counting_iteratorImlEEZNS1_24adjacent_difference_implIS3_Lb1ELb0EPjSB_N6thrust23THRUST_200600_302600_NS5minusIjEEEE10hipError_tPvRmT2_T3_mT4_P12ihipStream_tbEUlmE_jEESB_NS0_8identityIvEEEESG_SJ_SK_mSL_SN_bEUlT_E_NS1_11comp_targetILNS1_3genE3ELNS1_11target_archE908ELNS1_3gpuE7ELNS1_3repE0EEENS1_30default_config_static_selectorELNS0_4arch9wavefront6targetE1EEEvT1_,@function
_ZN7rocprim17ROCPRIM_400000_NS6detail17trampoline_kernelINS0_14default_configENS1_25transform_config_selectorIjLb0EEEZNS1_14transform_implILb0ES3_S5_NS0_18transform_iteratorINS0_17counting_iteratorImlEEZNS1_24adjacent_difference_implIS3_Lb1ELb0EPjSB_N6thrust23THRUST_200600_302600_NS5minusIjEEEE10hipError_tPvRmT2_T3_mT4_P12ihipStream_tbEUlmE_jEESB_NS0_8identityIvEEEESG_SJ_SK_mSL_SN_bEUlT_E_NS1_11comp_targetILNS1_3genE3ELNS1_11target_archE908ELNS1_3gpuE7ELNS1_3repE0EEENS1_30default_config_static_selectorELNS0_4arch9wavefront6targetE1EEEvT1_: ; @_ZN7rocprim17ROCPRIM_400000_NS6detail17trampoline_kernelINS0_14default_configENS1_25transform_config_selectorIjLb0EEEZNS1_14transform_implILb0ES3_S5_NS0_18transform_iteratorINS0_17counting_iteratorImlEEZNS1_24adjacent_difference_implIS3_Lb1ELb0EPjSB_N6thrust23THRUST_200600_302600_NS5minusIjEEEE10hipError_tPvRmT2_T3_mT4_P12ihipStream_tbEUlmE_jEESB_NS0_8identityIvEEEESG_SJ_SK_mSL_SN_bEUlT_E_NS1_11comp_targetILNS1_3genE3ELNS1_11target_archE908ELNS1_3gpuE7ELNS1_3repE0EEENS1_30default_config_static_selectorELNS0_4arch9wavefront6targetE1EEEvT1_
; %bb.0:
	.section	.rodata,"a",@progbits
	.p2align	6, 0x0
	.amdhsa_kernel _ZN7rocprim17ROCPRIM_400000_NS6detail17trampoline_kernelINS0_14default_configENS1_25transform_config_selectorIjLb0EEEZNS1_14transform_implILb0ES3_S5_NS0_18transform_iteratorINS0_17counting_iteratorImlEEZNS1_24adjacent_difference_implIS3_Lb1ELb0EPjSB_N6thrust23THRUST_200600_302600_NS5minusIjEEEE10hipError_tPvRmT2_T3_mT4_P12ihipStream_tbEUlmE_jEESB_NS0_8identityIvEEEESG_SJ_SK_mSL_SN_bEUlT_E_NS1_11comp_targetILNS1_3genE3ELNS1_11target_archE908ELNS1_3gpuE7ELNS1_3repE0EEENS1_30default_config_static_selectorELNS0_4arch9wavefront6targetE1EEEvT1_
		.amdhsa_group_segment_fixed_size 0
		.amdhsa_private_segment_fixed_size 0
		.amdhsa_kernarg_size 56
		.amdhsa_user_sgpr_count 2
		.amdhsa_user_sgpr_dispatch_ptr 0
		.amdhsa_user_sgpr_queue_ptr 0
		.amdhsa_user_sgpr_kernarg_segment_ptr 1
		.amdhsa_user_sgpr_dispatch_id 0
		.amdhsa_user_sgpr_kernarg_preload_length 0
		.amdhsa_user_sgpr_kernarg_preload_offset 0
		.amdhsa_user_sgpr_private_segment_size 0
		.amdhsa_uses_dynamic_stack 0
		.amdhsa_enable_private_segment 0
		.amdhsa_system_sgpr_workgroup_id_x 1
		.amdhsa_system_sgpr_workgroup_id_y 0
		.amdhsa_system_sgpr_workgroup_id_z 0
		.amdhsa_system_sgpr_workgroup_info 0
		.amdhsa_system_vgpr_workitem_id 0
		.amdhsa_next_free_vgpr 1
		.amdhsa_next_free_sgpr 0
		.amdhsa_accum_offset 4
		.amdhsa_reserve_vcc 0
		.amdhsa_float_round_mode_32 0
		.amdhsa_float_round_mode_16_64 0
		.amdhsa_float_denorm_mode_32 3
		.amdhsa_float_denorm_mode_16_64 3
		.amdhsa_dx10_clamp 1
		.amdhsa_ieee_mode 1
		.amdhsa_fp16_overflow 0
		.amdhsa_tg_split 0
		.amdhsa_exception_fp_ieee_invalid_op 0
		.amdhsa_exception_fp_denorm_src 0
		.amdhsa_exception_fp_ieee_div_zero 0
		.amdhsa_exception_fp_ieee_overflow 0
		.amdhsa_exception_fp_ieee_underflow 0
		.amdhsa_exception_fp_ieee_inexact 0
		.amdhsa_exception_int_div_zero 0
	.end_amdhsa_kernel
	.section	.text._ZN7rocprim17ROCPRIM_400000_NS6detail17trampoline_kernelINS0_14default_configENS1_25transform_config_selectorIjLb0EEEZNS1_14transform_implILb0ES3_S5_NS0_18transform_iteratorINS0_17counting_iteratorImlEEZNS1_24adjacent_difference_implIS3_Lb1ELb0EPjSB_N6thrust23THRUST_200600_302600_NS5minusIjEEEE10hipError_tPvRmT2_T3_mT4_P12ihipStream_tbEUlmE_jEESB_NS0_8identityIvEEEESG_SJ_SK_mSL_SN_bEUlT_E_NS1_11comp_targetILNS1_3genE3ELNS1_11target_archE908ELNS1_3gpuE7ELNS1_3repE0EEENS1_30default_config_static_selectorELNS0_4arch9wavefront6targetE1EEEvT1_,"axG",@progbits,_ZN7rocprim17ROCPRIM_400000_NS6detail17trampoline_kernelINS0_14default_configENS1_25transform_config_selectorIjLb0EEEZNS1_14transform_implILb0ES3_S5_NS0_18transform_iteratorINS0_17counting_iteratorImlEEZNS1_24adjacent_difference_implIS3_Lb1ELb0EPjSB_N6thrust23THRUST_200600_302600_NS5minusIjEEEE10hipError_tPvRmT2_T3_mT4_P12ihipStream_tbEUlmE_jEESB_NS0_8identityIvEEEESG_SJ_SK_mSL_SN_bEUlT_E_NS1_11comp_targetILNS1_3genE3ELNS1_11target_archE908ELNS1_3gpuE7ELNS1_3repE0EEENS1_30default_config_static_selectorELNS0_4arch9wavefront6targetE1EEEvT1_,comdat
.Lfunc_end376:
	.size	_ZN7rocprim17ROCPRIM_400000_NS6detail17trampoline_kernelINS0_14default_configENS1_25transform_config_selectorIjLb0EEEZNS1_14transform_implILb0ES3_S5_NS0_18transform_iteratorINS0_17counting_iteratorImlEEZNS1_24adjacent_difference_implIS3_Lb1ELb0EPjSB_N6thrust23THRUST_200600_302600_NS5minusIjEEEE10hipError_tPvRmT2_T3_mT4_P12ihipStream_tbEUlmE_jEESB_NS0_8identityIvEEEESG_SJ_SK_mSL_SN_bEUlT_E_NS1_11comp_targetILNS1_3genE3ELNS1_11target_archE908ELNS1_3gpuE7ELNS1_3repE0EEENS1_30default_config_static_selectorELNS0_4arch9wavefront6targetE1EEEvT1_, .Lfunc_end376-_ZN7rocprim17ROCPRIM_400000_NS6detail17trampoline_kernelINS0_14default_configENS1_25transform_config_selectorIjLb0EEEZNS1_14transform_implILb0ES3_S5_NS0_18transform_iteratorINS0_17counting_iteratorImlEEZNS1_24adjacent_difference_implIS3_Lb1ELb0EPjSB_N6thrust23THRUST_200600_302600_NS5minusIjEEEE10hipError_tPvRmT2_T3_mT4_P12ihipStream_tbEUlmE_jEESB_NS0_8identityIvEEEESG_SJ_SK_mSL_SN_bEUlT_E_NS1_11comp_targetILNS1_3genE3ELNS1_11target_archE908ELNS1_3gpuE7ELNS1_3repE0EEENS1_30default_config_static_selectorELNS0_4arch9wavefront6targetE1EEEvT1_
                                        ; -- End function
	.section	.AMDGPU.csdata,"",@progbits
; Kernel info:
; codeLenInByte = 0
; NumSgprs: 6
; NumVgprs: 0
; NumAgprs: 0
; TotalNumVgprs: 0
; ScratchSize: 0
; MemoryBound: 0
; FloatMode: 240
; IeeeMode: 1
; LDSByteSize: 0 bytes/workgroup (compile time only)
; SGPRBlocks: 0
; VGPRBlocks: 0
; NumSGPRsForWavesPerEU: 6
; NumVGPRsForWavesPerEU: 1
; AccumOffset: 4
; Occupancy: 8
; WaveLimiterHint : 0
; COMPUTE_PGM_RSRC2:SCRATCH_EN: 0
; COMPUTE_PGM_RSRC2:USER_SGPR: 2
; COMPUTE_PGM_RSRC2:TRAP_HANDLER: 0
; COMPUTE_PGM_RSRC2:TGID_X_EN: 1
; COMPUTE_PGM_RSRC2:TGID_Y_EN: 0
; COMPUTE_PGM_RSRC2:TGID_Z_EN: 0
; COMPUTE_PGM_RSRC2:TIDIG_COMP_CNT: 0
; COMPUTE_PGM_RSRC3_GFX90A:ACCUM_OFFSET: 0
; COMPUTE_PGM_RSRC3_GFX90A:TG_SPLIT: 0
	.section	.text._ZN7rocprim17ROCPRIM_400000_NS6detail17trampoline_kernelINS0_14default_configENS1_25transform_config_selectorIjLb0EEEZNS1_14transform_implILb0ES3_S5_NS0_18transform_iteratorINS0_17counting_iteratorImlEEZNS1_24adjacent_difference_implIS3_Lb1ELb0EPjSB_N6thrust23THRUST_200600_302600_NS5minusIjEEEE10hipError_tPvRmT2_T3_mT4_P12ihipStream_tbEUlmE_jEESB_NS0_8identityIvEEEESG_SJ_SK_mSL_SN_bEUlT_E_NS1_11comp_targetILNS1_3genE2ELNS1_11target_archE906ELNS1_3gpuE6ELNS1_3repE0EEENS1_30default_config_static_selectorELNS0_4arch9wavefront6targetE1EEEvT1_,"axG",@progbits,_ZN7rocprim17ROCPRIM_400000_NS6detail17trampoline_kernelINS0_14default_configENS1_25transform_config_selectorIjLb0EEEZNS1_14transform_implILb0ES3_S5_NS0_18transform_iteratorINS0_17counting_iteratorImlEEZNS1_24adjacent_difference_implIS3_Lb1ELb0EPjSB_N6thrust23THRUST_200600_302600_NS5minusIjEEEE10hipError_tPvRmT2_T3_mT4_P12ihipStream_tbEUlmE_jEESB_NS0_8identityIvEEEESG_SJ_SK_mSL_SN_bEUlT_E_NS1_11comp_targetILNS1_3genE2ELNS1_11target_archE906ELNS1_3gpuE6ELNS1_3repE0EEENS1_30default_config_static_selectorELNS0_4arch9wavefront6targetE1EEEvT1_,comdat
	.protected	_ZN7rocprim17ROCPRIM_400000_NS6detail17trampoline_kernelINS0_14default_configENS1_25transform_config_selectorIjLb0EEEZNS1_14transform_implILb0ES3_S5_NS0_18transform_iteratorINS0_17counting_iteratorImlEEZNS1_24adjacent_difference_implIS3_Lb1ELb0EPjSB_N6thrust23THRUST_200600_302600_NS5minusIjEEEE10hipError_tPvRmT2_T3_mT4_P12ihipStream_tbEUlmE_jEESB_NS0_8identityIvEEEESG_SJ_SK_mSL_SN_bEUlT_E_NS1_11comp_targetILNS1_3genE2ELNS1_11target_archE906ELNS1_3gpuE6ELNS1_3repE0EEENS1_30default_config_static_selectorELNS0_4arch9wavefront6targetE1EEEvT1_ ; -- Begin function _ZN7rocprim17ROCPRIM_400000_NS6detail17trampoline_kernelINS0_14default_configENS1_25transform_config_selectorIjLb0EEEZNS1_14transform_implILb0ES3_S5_NS0_18transform_iteratorINS0_17counting_iteratorImlEEZNS1_24adjacent_difference_implIS3_Lb1ELb0EPjSB_N6thrust23THRUST_200600_302600_NS5minusIjEEEE10hipError_tPvRmT2_T3_mT4_P12ihipStream_tbEUlmE_jEESB_NS0_8identityIvEEEESG_SJ_SK_mSL_SN_bEUlT_E_NS1_11comp_targetILNS1_3genE2ELNS1_11target_archE906ELNS1_3gpuE6ELNS1_3repE0EEENS1_30default_config_static_selectorELNS0_4arch9wavefront6targetE1EEEvT1_
	.globl	_ZN7rocprim17ROCPRIM_400000_NS6detail17trampoline_kernelINS0_14default_configENS1_25transform_config_selectorIjLb0EEEZNS1_14transform_implILb0ES3_S5_NS0_18transform_iteratorINS0_17counting_iteratorImlEEZNS1_24adjacent_difference_implIS3_Lb1ELb0EPjSB_N6thrust23THRUST_200600_302600_NS5minusIjEEEE10hipError_tPvRmT2_T3_mT4_P12ihipStream_tbEUlmE_jEESB_NS0_8identityIvEEEESG_SJ_SK_mSL_SN_bEUlT_E_NS1_11comp_targetILNS1_3genE2ELNS1_11target_archE906ELNS1_3gpuE6ELNS1_3repE0EEENS1_30default_config_static_selectorELNS0_4arch9wavefront6targetE1EEEvT1_
	.p2align	8
	.type	_ZN7rocprim17ROCPRIM_400000_NS6detail17trampoline_kernelINS0_14default_configENS1_25transform_config_selectorIjLb0EEEZNS1_14transform_implILb0ES3_S5_NS0_18transform_iteratorINS0_17counting_iteratorImlEEZNS1_24adjacent_difference_implIS3_Lb1ELb0EPjSB_N6thrust23THRUST_200600_302600_NS5minusIjEEEE10hipError_tPvRmT2_T3_mT4_P12ihipStream_tbEUlmE_jEESB_NS0_8identityIvEEEESG_SJ_SK_mSL_SN_bEUlT_E_NS1_11comp_targetILNS1_3genE2ELNS1_11target_archE906ELNS1_3gpuE6ELNS1_3repE0EEENS1_30default_config_static_selectorELNS0_4arch9wavefront6targetE1EEEvT1_,@function
_ZN7rocprim17ROCPRIM_400000_NS6detail17trampoline_kernelINS0_14default_configENS1_25transform_config_selectorIjLb0EEEZNS1_14transform_implILb0ES3_S5_NS0_18transform_iteratorINS0_17counting_iteratorImlEEZNS1_24adjacent_difference_implIS3_Lb1ELb0EPjSB_N6thrust23THRUST_200600_302600_NS5minusIjEEEE10hipError_tPvRmT2_T3_mT4_P12ihipStream_tbEUlmE_jEESB_NS0_8identityIvEEEESG_SJ_SK_mSL_SN_bEUlT_E_NS1_11comp_targetILNS1_3genE2ELNS1_11target_archE906ELNS1_3gpuE6ELNS1_3repE0EEENS1_30default_config_static_selectorELNS0_4arch9wavefront6targetE1EEEvT1_: ; @_ZN7rocprim17ROCPRIM_400000_NS6detail17trampoline_kernelINS0_14default_configENS1_25transform_config_selectorIjLb0EEEZNS1_14transform_implILb0ES3_S5_NS0_18transform_iteratorINS0_17counting_iteratorImlEEZNS1_24adjacent_difference_implIS3_Lb1ELb0EPjSB_N6thrust23THRUST_200600_302600_NS5minusIjEEEE10hipError_tPvRmT2_T3_mT4_P12ihipStream_tbEUlmE_jEESB_NS0_8identityIvEEEESG_SJ_SK_mSL_SN_bEUlT_E_NS1_11comp_targetILNS1_3genE2ELNS1_11target_archE906ELNS1_3gpuE6ELNS1_3repE0EEENS1_30default_config_static_selectorELNS0_4arch9wavefront6targetE1EEEvT1_
; %bb.0:
	.section	.rodata,"a",@progbits
	.p2align	6, 0x0
	.amdhsa_kernel _ZN7rocprim17ROCPRIM_400000_NS6detail17trampoline_kernelINS0_14default_configENS1_25transform_config_selectorIjLb0EEEZNS1_14transform_implILb0ES3_S5_NS0_18transform_iteratorINS0_17counting_iteratorImlEEZNS1_24adjacent_difference_implIS3_Lb1ELb0EPjSB_N6thrust23THRUST_200600_302600_NS5minusIjEEEE10hipError_tPvRmT2_T3_mT4_P12ihipStream_tbEUlmE_jEESB_NS0_8identityIvEEEESG_SJ_SK_mSL_SN_bEUlT_E_NS1_11comp_targetILNS1_3genE2ELNS1_11target_archE906ELNS1_3gpuE6ELNS1_3repE0EEENS1_30default_config_static_selectorELNS0_4arch9wavefront6targetE1EEEvT1_
		.amdhsa_group_segment_fixed_size 0
		.amdhsa_private_segment_fixed_size 0
		.amdhsa_kernarg_size 56
		.amdhsa_user_sgpr_count 2
		.amdhsa_user_sgpr_dispatch_ptr 0
		.amdhsa_user_sgpr_queue_ptr 0
		.amdhsa_user_sgpr_kernarg_segment_ptr 1
		.amdhsa_user_sgpr_dispatch_id 0
		.amdhsa_user_sgpr_kernarg_preload_length 0
		.amdhsa_user_sgpr_kernarg_preload_offset 0
		.amdhsa_user_sgpr_private_segment_size 0
		.amdhsa_uses_dynamic_stack 0
		.amdhsa_enable_private_segment 0
		.amdhsa_system_sgpr_workgroup_id_x 1
		.amdhsa_system_sgpr_workgroup_id_y 0
		.amdhsa_system_sgpr_workgroup_id_z 0
		.amdhsa_system_sgpr_workgroup_info 0
		.amdhsa_system_vgpr_workitem_id 0
		.amdhsa_next_free_vgpr 1
		.amdhsa_next_free_sgpr 0
		.amdhsa_accum_offset 4
		.amdhsa_reserve_vcc 0
		.amdhsa_float_round_mode_32 0
		.amdhsa_float_round_mode_16_64 0
		.amdhsa_float_denorm_mode_32 3
		.amdhsa_float_denorm_mode_16_64 3
		.amdhsa_dx10_clamp 1
		.amdhsa_ieee_mode 1
		.amdhsa_fp16_overflow 0
		.amdhsa_tg_split 0
		.amdhsa_exception_fp_ieee_invalid_op 0
		.amdhsa_exception_fp_denorm_src 0
		.amdhsa_exception_fp_ieee_div_zero 0
		.amdhsa_exception_fp_ieee_overflow 0
		.amdhsa_exception_fp_ieee_underflow 0
		.amdhsa_exception_fp_ieee_inexact 0
		.amdhsa_exception_int_div_zero 0
	.end_amdhsa_kernel
	.section	.text._ZN7rocprim17ROCPRIM_400000_NS6detail17trampoline_kernelINS0_14default_configENS1_25transform_config_selectorIjLb0EEEZNS1_14transform_implILb0ES3_S5_NS0_18transform_iteratorINS0_17counting_iteratorImlEEZNS1_24adjacent_difference_implIS3_Lb1ELb0EPjSB_N6thrust23THRUST_200600_302600_NS5minusIjEEEE10hipError_tPvRmT2_T3_mT4_P12ihipStream_tbEUlmE_jEESB_NS0_8identityIvEEEESG_SJ_SK_mSL_SN_bEUlT_E_NS1_11comp_targetILNS1_3genE2ELNS1_11target_archE906ELNS1_3gpuE6ELNS1_3repE0EEENS1_30default_config_static_selectorELNS0_4arch9wavefront6targetE1EEEvT1_,"axG",@progbits,_ZN7rocprim17ROCPRIM_400000_NS6detail17trampoline_kernelINS0_14default_configENS1_25transform_config_selectorIjLb0EEEZNS1_14transform_implILb0ES3_S5_NS0_18transform_iteratorINS0_17counting_iteratorImlEEZNS1_24adjacent_difference_implIS3_Lb1ELb0EPjSB_N6thrust23THRUST_200600_302600_NS5minusIjEEEE10hipError_tPvRmT2_T3_mT4_P12ihipStream_tbEUlmE_jEESB_NS0_8identityIvEEEESG_SJ_SK_mSL_SN_bEUlT_E_NS1_11comp_targetILNS1_3genE2ELNS1_11target_archE906ELNS1_3gpuE6ELNS1_3repE0EEENS1_30default_config_static_selectorELNS0_4arch9wavefront6targetE1EEEvT1_,comdat
.Lfunc_end377:
	.size	_ZN7rocprim17ROCPRIM_400000_NS6detail17trampoline_kernelINS0_14default_configENS1_25transform_config_selectorIjLb0EEEZNS1_14transform_implILb0ES3_S5_NS0_18transform_iteratorINS0_17counting_iteratorImlEEZNS1_24adjacent_difference_implIS3_Lb1ELb0EPjSB_N6thrust23THRUST_200600_302600_NS5minusIjEEEE10hipError_tPvRmT2_T3_mT4_P12ihipStream_tbEUlmE_jEESB_NS0_8identityIvEEEESG_SJ_SK_mSL_SN_bEUlT_E_NS1_11comp_targetILNS1_3genE2ELNS1_11target_archE906ELNS1_3gpuE6ELNS1_3repE0EEENS1_30default_config_static_selectorELNS0_4arch9wavefront6targetE1EEEvT1_, .Lfunc_end377-_ZN7rocprim17ROCPRIM_400000_NS6detail17trampoline_kernelINS0_14default_configENS1_25transform_config_selectorIjLb0EEEZNS1_14transform_implILb0ES3_S5_NS0_18transform_iteratorINS0_17counting_iteratorImlEEZNS1_24adjacent_difference_implIS3_Lb1ELb0EPjSB_N6thrust23THRUST_200600_302600_NS5minusIjEEEE10hipError_tPvRmT2_T3_mT4_P12ihipStream_tbEUlmE_jEESB_NS0_8identityIvEEEESG_SJ_SK_mSL_SN_bEUlT_E_NS1_11comp_targetILNS1_3genE2ELNS1_11target_archE906ELNS1_3gpuE6ELNS1_3repE0EEENS1_30default_config_static_selectorELNS0_4arch9wavefront6targetE1EEEvT1_
                                        ; -- End function
	.section	.AMDGPU.csdata,"",@progbits
; Kernel info:
; codeLenInByte = 0
; NumSgprs: 6
; NumVgprs: 0
; NumAgprs: 0
; TotalNumVgprs: 0
; ScratchSize: 0
; MemoryBound: 0
; FloatMode: 240
; IeeeMode: 1
; LDSByteSize: 0 bytes/workgroup (compile time only)
; SGPRBlocks: 0
; VGPRBlocks: 0
; NumSGPRsForWavesPerEU: 6
; NumVGPRsForWavesPerEU: 1
; AccumOffset: 4
; Occupancy: 8
; WaveLimiterHint : 0
; COMPUTE_PGM_RSRC2:SCRATCH_EN: 0
; COMPUTE_PGM_RSRC2:USER_SGPR: 2
; COMPUTE_PGM_RSRC2:TRAP_HANDLER: 0
; COMPUTE_PGM_RSRC2:TGID_X_EN: 1
; COMPUTE_PGM_RSRC2:TGID_Y_EN: 0
; COMPUTE_PGM_RSRC2:TGID_Z_EN: 0
; COMPUTE_PGM_RSRC2:TIDIG_COMP_CNT: 0
; COMPUTE_PGM_RSRC3_GFX90A:ACCUM_OFFSET: 0
; COMPUTE_PGM_RSRC3_GFX90A:TG_SPLIT: 0
	.section	.text._ZN7rocprim17ROCPRIM_400000_NS6detail17trampoline_kernelINS0_14default_configENS1_25transform_config_selectorIjLb0EEEZNS1_14transform_implILb0ES3_S5_NS0_18transform_iteratorINS0_17counting_iteratorImlEEZNS1_24adjacent_difference_implIS3_Lb1ELb0EPjSB_N6thrust23THRUST_200600_302600_NS5minusIjEEEE10hipError_tPvRmT2_T3_mT4_P12ihipStream_tbEUlmE_jEESB_NS0_8identityIvEEEESG_SJ_SK_mSL_SN_bEUlT_E_NS1_11comp_targetILNS1_3genE10ELNS1_11target_archE1201ELNS1_3gpuE5ELNS1_3repE0EEENS1_30default_config_static_selectorELNS0_4arch9wavefront6targetE1EEEvT1_,"axG",@progbits,_ZN7rocprim17ROCPRIM_400000_NS6detail17trampoline_kernelINS0_14default_configENS1_25transform_config_selectorIjLb0EEEZNS1_14transform_implILb0ES3_S5_NS0_18transform_iteratorINS0_17counting_iteratorImlEEZNS1_24adjacent_difference_implIS3_Lb1ELb0EPjSB_N6thrust23THRUST_200600_302600_NS5minusIjEEEE10hipError_tPvRmT2_T3_mT4_P12ihipStream_tbEUlmE_jEESB_NS0_8identityIvEEEESG_SJ_SK_mSL_SN_bEUlT_E_NS1_11comp_targetILNS1_3genE10ELNS1_11target_archE1201ELNS1_3gpuE5ELNS1_3repE0EEENS1_30default_config_static_selectorELNS0_4arch9wavefront6targetE1EEEvT1_,comdat
	.protected	_ZN7rocprim17ROCPRIM_400000_NS6detail17trampoline_kernelINS0_14default_configENS1_25transform_config_selectorIjLb0EEEZNS1_14transform_implILb0ES3_S5_NS0_18transform_iteratorINS0_17counting_iteratorImlEEZNS1_24adjacent_difference_implIS3_Lb1ELb0EPjSB_N6thrust23THRUST_200600_302600_NS5minusIjEEEE10hipError_tPvRmT2_T3_mT4_P12ihipStream_tbEUlmE_jEESB_NS0_8identityIvEEEESG_SJ_SK_mSL_SN_bEUlT_E_NS1_11comp_targetILNS1_3genE10ELNS1_11target_archE1201ELNS1_3gpuE5ELNS1_3repE0EEENS1_30default_config_static_selectorELNS0_4arch9wavefront6targetE1EEEvT1_ ; -- Begin function _ZN7rocprim17ROCPRIM_400000_NS6detail17trampoline_kernelINS0_14default_configENS1_25transform_config_selectorIjLb0EEEZNS1_14transform_implILb0ES3_S5_NS0_18transform_iteratorINS0_17counting_iteratorImlEEZNS1_24adjacent_difference_implIS3_Lb1ELb0EPjSB_N6thrust23THRUST_200600_302600_NS5minusIjEEEE10hipError_tPvRmT2_T3_mT4_P12ihipStream_tbEUlmE_jEESB_NS0_8identityIvEEEESG_SJ_SK_mSL_SN_bEUlT_E_NS1_11comp_targetILNS1_3genE10ELNS1_11target_archE1201ELNS1_3gpuE5ELNS1_3repE0EEENS1_30default_config_static_selectorELNS0_4arch9wavefront6targetE1EEEvT1_
	.globl	_ZN7rocprim17ROCPRIM_400000_NS6detail17trampoline_kernelINS0_14default_configENS1_25transform_config_selectorIjLb0EEEZNS1_14transform_implILb0ES3_S5_NS0_18transform_iteratorINS0_17counting_iteratorImlEEZNS1_24adjacent_difference_implIS3_Lb1ELb0EPjSB_N6thrust23THRUST_200600_302600_NS5minusIjEEEE10hipError_tPvRmT2_T3_mT4_P12ihipStream_tbEUlmE_jEESB_NS0_8identityIvEEEESG_SJ_SK_mSL_SN_bEUlT_E_NS1_11comp_targetILNS1_3genE10ELNS1_11target_archE1201ELNS1_3gpuE5ELNS1_3repE0EEENS1_30default_config_static_selectorELNS0_4arch9wavefront6targetE1EEEvT1_
	.p2align	8
	.type	_ZN7rocprim17ROCPRIM_400000_NS6detail17trampoline_kernelINS0_14default_configENS1_25transform_config_selectorIjLb0EEEZNS1_14transform_implILb0ES3_S5_NS0_18transform_iteratorINS0_17counting_iteratorImlEEZNS1_24adjacent_difference_implIS3_Lb1ELb0EPjSB_N6thrust23THRUST_200600_302600_NS5minusIjEEEE10hipError_tPvRmT2_T3_mT4_P12ihipStream_tbEUlmE_jEESB_NS0_8identityIvEEEESG_SJ_SK_mSL_SN_bEUlT_E_NS1_11comp_targetILNS1_3genE10ELNS1_11target_archE1201ELNS1_3gpuE5ELNS1_3repE0EEENS1_30default_config_static_selectorELNS0_4arch9wavefront6targetE1EEEvT1_,@function
_ZN7rocprim17ROCPRIM_400000_NS6detail17trampoline_kernelINS0_14default_configENS1_25transform_config_selectorIjLb0EEEZNS1_14transform_implILb0ES3_S5_NS0_18transform_iteratorINS0_17counting_iteratorImlEEZNS1_24adjacent_difference_implIS3_Lb1ELb0EPjSB_N6thrust23THRUST_200600_302600_NS5minusIjEEEE10hipError_tPvRmT2_T3_mT4_P12ihipStream_tbEUlmE_jEESB_NS0_8identityIvEEEESG_SJ_SK_mSL_SN_bEUlT_E_NS1_11comp_targetILNS1_3genE10ELNS1_11target_archE1201ELNS1_3gpuE5ELNS1_3repE0EEENS1_30default_config_static_selectorELNS0_4arch9wavefront6targetE1EEEvT1_: ; @_ZN7rocprim17ROCPRIM_400000_NS6detail17trampoline_kernelINS0_14default_configENS1_25transform_config_selectorIjLb0EEEZNS1_14transform_implILb0ES3_S5_NS0_18transform_iteratorINS0_17counting_iteratorImlEEZNS1_24adjacent_difference_implIS3_Lb1ELb0EPjSB_N6thrust23THRUST_200600_302600_NS5minusIjEEEE10hipError_tPvRmT2_T3_mT4_P12ihipStream_tbEUlmE_jEESB_NS0_8identityIvEEEESG_SJ_SK_mSL_SN_bEUlT_E_NS1_11comp_targetILNS1_3genE10ELNS1_11target_archE1201ELNS1_3gpuE5ELNS1_3repE0EEENS1_30default_config_static_selectorELNS0_4arch9wavefront6targetE1EEEvT1_
; %bb.0:
	.section	.rodata,"a",@progbits
	.p2align	6, 0x0
	.amdhsa_kernel _ZN7rocprim17ROCPRIM_400000_NS6detail17trampoline_kernelINS0_14default_configENS1_25transform_config_selectorIjLb0EEEZNS1_14transform_implILb0ES3_S5_NS0_18transform_iteratorINS0_17counting_iteratorImlEEZNS1_24adjacent_difference_implIS3_Lb1ELb0EPjSB_N6thrust23THRUST_200600_302600_NS5minusIjEEEE10hipError_tPvRmT2_T3_mT4_P12ihipStream_tbEUlmE_jEESB_NS0_8identityIvEEEESG_SJ_SK_mSL_SN_bEUlT_E_NS1_11comp_targetILNS1_3genE10ELNS1_11target_archE1201ELNS1_3gpuE5ELNS1_3repE0EEENS1_30default_config_static_selectorELNS0_4arch9wavefront6targetE1EEEvT1_
		.amdhsa_group_segment_fixed_size 0
		.amdhsa_private_segment_fixed_size 0
		.amdhsa_kernarg_size 56
		.amdhsa_user_sgpr_count 2
		.amdhsa_user_sgpr_dispatch_ptr 0
		.amdhsa_user_sgpr_queue_ptr 0
		.amdhsa_user_sgpr_kernarg_segment_ptr 1
		.amdhsa_user_sgpr_dispatch_id 0
		.amdhsa_user_sgpr_kernarg_preload_length 0
		.amdhsa_user_sgpr_kernarg_preload_offset 0
		.amdhsa_user_sgpr_private_segment_size 0
		.amdhsa_uses_dynamic_stack 0
		.amdhsa_enable_private_segment 0
		.amdhsa_system_sgpr_workgroup_id_x 1
		.amdhsa_system_sgpr_workgroup_id_y 0
		.amdhsa_system_sgpr_workgroup_id_z 0
		.amdhsa_system_sgpr_workgroup_info 0
		.amdhsa_system_vgpr_workitem_id 0
		.amdhsa_next_free_vgpr 1
		.amdhsa_next_free_sgpr 0
		.amdhsa_accum_offset 4
		.amdhsa_reserve_vcc 0
		.amdhsa_float_round_mode_32 0
		.amdhsa_float_round_mode_16_64 0
		.amdhsa_float_denorm_mode_32 3
		.amdhsa_float_denorm_mode_16_64 3
		.amdhsa_dx10_clamp 1
		.amdhsa_ieee_mode 1
		.amdhsa_fp16_overflow 0
		.amdhsa_tg_split 0
		.amdhsa_exception_fp_ieee_invalid_op 0
		.amdhsa_exception_fp_denorm_src 0
		.amdhsa_exception_fp_ieee_div_zero 0
		.amdhsa_exception_fp_ieee_overflow 0
		.amdhsa_exception_fp_ieee_underflow 0
		.amdhsa_exception_fp_ieee_inexact 0
		.amdhsa_exception_int_div_zero 0
	.end_amdhsa_kernel
	.section	.text._ZN7rocprim17ROCPRIM_400000_NS6detail17trampoline_kernelINS0_14default_configENS1_25transform_config_selectorIjLb0EEEZNS1_14transform_implILb0ES3_S5_NS0_18transform_iteratorINS0_17counting_iteratorImlEEZNS1_24adjacent_difference_implIS3_Lb1ELb0EPjSB_N6thrust23THRUST_200600_302600_NS5minusIjEEEE10hipError_tPvRmT2_T3_mT4_P12ihipStream_tbEUlmE_jEESB_NS0_8identityIvEEEESG_SJ_SK_mSL_SN_bEUlT_E_NS1_11comp_targetILNS1_3genE10ELNS1_11target_archE1201ELNS1_3gpuE5ELNS1_3repE0EEENS1_30default_config_static_selectorELNS0_4arch9wavefront6targetE1EEEvT1_,"axG",@progbits,_ZN7rocprim17ROCPRIM_400000_NS6detail17trampoline_kernelINS0_14default_configENS1_25transform_config_selectorIjLb0EEEZNS1_14transform_implILb0ES3_S5_NS0_18transform_iteratorINS0_17counting_iteratorImlEEZNS1_24adjacent_difference_implIS3_Lb1ELb0EPjSB_N6thrust23THRUST_200600_302600_NS5minusIjEEEE10hipError_tPvRmT2_T3_mT4_P12ihipStream_tbEUlmE_jEESB_NS0_8identityIvEEEESG_SJ_SK_mSL_SN_bEUlT_E_NS1_11comp_targetILNS1_3genE10ELNS1_11target_archE1201ELNS1_3gpuE5ELNS1_3repE0EEENS1_30default_config_static_selectorELNS0_4arch9wavefront6targetE1EEEvT1_,comdat
.Lfunc_end378:
	.size	_ZN7rocprim17ROCPRIM_400000_NS6detail17trampoline_kernelINS0_14default_configENS1_25transform_config_selectorIjLb0EEEZNS1_14transform_implILb0ES3_S5_NS0_18transform_iteratorINS0_17counting_iteratorImlEEZNS1_24adjacent_difference_implIS3_Lb1ELb0EPjSB_N6thrust23THRUST_200600_302600_NS5minusIjEEEE10hipError_tPvRmT2_T3_mT4_P12ihipStream_tbEUlmE_jEESB_NS0_8identityIvEEEESG_SJ_SK_mSL_SN_bEUlT_E_NS1_11comp_targetILNS1_3genE10ELNS1_11target_archE1201ELNS1_3gpuE5ELNS1_3repE0EEENS1_30default_config_static_selectorELNS0_4arch9wavefront6targetE1EEEvT1_, .Lfunc_end378-_ZN7rocprim17ROCPRIM_400000_NS6detail17trampoline_kernelINS0_14default_configENS1_25transform_config_selectorIjLb0EEEZNS1_14transform_implILb0ES3_S5_NS0_18transform_iteratorINS0_17counting_iteratorImlEEZNS1_24adjacent_difference_implIS3_Lb1ELb0EPjSB_N6thrust23THRUST_200600_302600_NS5minusIjEEEE10hipError_tPvRmT2_T3_mT4_P12ihipStream_tbEUlmE_jEESB_NS0_8identityIvEEEESG_SJ_SK_mSL_SN_bEUlT_E_NS1_11comp_targetILNS1_3genE10ELNS1_11target_archE1201ELNS1_3gpuE5ELNS1_3repE0EEENS1_30default_config_static_selectorELNS0_4arch9wavefront6targetE1EEEvT1_
                                        ; -- End function
	.section	.AMDGPU.csdata,"",@progbits
; Kernel info:
; codeLenInByte = 0
; NumSgprs: 6
; NumVgprs: 0
; NumAgprs: 0
; TotalNumVgprs: 0
; ScratchSize: 0
; MemoryBound: 0
; FloatMode: 240
; IeeeMode: 1
; LDSByteSize: 0 bytes/workgroup (compile time only)
; SGPRBlocks: 0
; VGPRBlocks: 0
; NumSGPRsForWavesPerEU: 6
; NumVGPRsForWavesPerEU: 1
; AccumOffset: 4
; Occupancy: 8
; WaveLimiterHint : 0
; COMPUTE_PGM_RSRC2:SCRATCH_EN: 0
; COMPUTE_PGM_RSRC2:USER_SGPR: 2
; COMPUTE_PGM_RSRC2:TRAP_HANDLER: 0
; COMPUTE_PGM_RSRC2:TGID_X_EN: 1
; COMPUTE_PGM_RSRC2:TGID_Y_EN: 0
; COMPUTE_PGM_RSRC2:TGID_Z_EN: 0
; COMPUTE_PGM_RSRC2:TIDIG_COMP_CNT: 0
; COMPUTE_PGM_RSRC3_GFX90A:ACCUM_OFFSET: 0
; COMPUTE_PGM_RSRC3_GFX90A:TG_SPLIT: 0
	.section	.text._ZN7rocprim17ROCPRIM_400000_NS6detail17trampoline_kernelINS0_14default_configENS1_25transform_config_selectorIjLb0EEEZNS1_14transform_implILb0ES3_S5_NS0_18transform_iteratorINS0_17counting_iteratorImlEEZNS1_24adjacent_difference_implIS3_Lb1ELb0EPjSB_N6thrust23THRUST_200600_302600_NS5minusIjEEEE10hipError_tPvRmT2_T3_mT4_P12ihipStream_tbEUlmE_jEESB_NS0_8identityIvEEEESG_SJ_SK_mSL_SN_bEUlT_E_NS1_11comp_targetILNS1_3genE10ELNS1_11target_archE1200ELNS1_3gpuE4ELNS1_3repE0EEENS1_30default_config_static_selectorELNS0_4arch9wavefront6targetE1EEEvT1_,"axG",@progbits,_ZN7rocprim17ROCPRIM_400000_NS6detail17trampoline_kernelINS0_14default_configENS1_25transform_config_selectorIjLb0EEEZNS1_14transform_implILb0ES3_S5_NS0_18transform_iteratorINS0_17counting_iteratorImlEEZNS1_24adjacent_difference_implIS3_Lb1ELb0EPjSB_N6thrust23THRUST_200600_302600_NS5minusIjEEEE10hipError_tPvRmT2_T3_mT4_P12ihipStream_tbEUlmE_jEESB_NS0_8identityIvEEEESG_SJ_SK_mSL_SN_bEUlT_E_NS1_11comp_targetILNS1_3genE10ELNS1_11target_archE1200ELNS1_3gpuE4ELNS1_3repE0EEENS1_30default_config_static_selectorELNS0_4arch9wavefront6targetE1EEEvT1_,comdat
	.protected	_ZN7rocprim17ROCPRIM_400000_NS6detail17trampoline_kernelINS0_14default_configENS1_25transform_config_selectorIjLb0EEEZNS1_14transform_implILb0ES3_S5_NS0_18transform_iteratorINS0_17counting_iteratorImlEEZNS1_24adjacent_difference_implIS3_Lb1ELb0EPjSB_N6thrust23THRUST_200600_302600_NS5minusIjEEEE10hipError_tPvRmT2_T3_mT4_P12ihipStream_tbEUlmE_jEESB_NS0_8identityIvEEEESG_SJ_SK_mSL_SN_bEUlT_E_NS1_11comp_targetILNS1_3genE10ELNS1_11target_archE1200ELNS1_3gpuE4ELNS1_3repE0EEENS1_30default_config_static_selectorELNS0_4arch9wavefront6targetE1EEEvT1_ ; -- Begin function _ZN7rocprim17ROCPRIM_400000_NS6detail17trampoline_kernelINS0_14default_configENS1_25transform_config_selectorIjLb0EEEZNS1_14transform_implILb0ES3_S5_NS0_18transform_iteratorINS0_17counting_iteratorImlEEZNS1_24adjacent_difference_implIS3_Lb1ELb0EPjSB_N6thrust23THRUST_200600_302600_NS5minusIjEEEE10hipError_tPvRmT2_T3_mT4_P12ihipStream_tbEUlmE_jEESB_NS0_8identityIvEEEESG_SJ_SK_mSL_SN_bEUlT_E_NS1_11comp_targetILNS1_3genE10ELNS1_11target_archE1200ELNS1_3gpuE4ELNS1_3repE0EEENS1_30default_config_static_selectorELNS0_4arch9wavefront6targetE1EEEvT1_
	.globl	_ZN7rocprim17ROCPRIM_400000_NS6detail17trampoline_kernelINS0_14default_configENS1_25transform_config_selectorIjLb0EEEZNS1_14transform_implILb0ES3_S5_NS0_18transform_iteratorINS0_17counting_iteratorImlEEZNS1_24adjacent_difference_implIS3_Lb1ELb0EPjSB_N6thrust23THRUST_200600_302600_NS5minusIjEEEE10hipError_tPvRmT2_T3_mT4_P12ihipStream_tbEUlmE_jEESB_NS0_8identityIvEEEESG_SJ_SK_mSL_SN_bEUlT_E_NS1_11comp_targetILNS1_3genE10ELNS1_11target_archE1200ELNS1_3gpuE4ELNS1_3repE0EEENS1_30default_config_static_selectorELNS0_4arch9wavefront6targetE1EEEvT1_
	.p2align	8
	.type	_ZN7rocprim17ROCPRIM_400000_NS6detail17trampoline_kernelINS0_14default_configENS1_25transform_config_selectorIjLb0EEEZNS1_14transform_implILb0ES3_S5_NS0_18transform_iteratorINS0_17counting_iteratorImlEEZNS1_24adjacent_difference_implIS3_Lb1ELb0EPjSB_N6thrust23THRUST_200600_302600_NS5minusIjEEEE10hipError_tPvRmT2_T3_mT4_P12ihipStream_tbEUlmE_jEESB_NS0_8identityIvEEEESG_SJ_SK_mSL_SN_bEUlT_E_NS1_11comp_targetILNS1_3genE10ELNS1_11target_archE1200ELNS1_3gpuE4ELNS1_3repE0EEENS1_30default_config_static_selectorELNS0_4arch9wavefront6targetE1EEEvT1_,@function
_ZN7rocprim17ROCPRIM_400000_NS6detail17trampoline_kernelINS0_14default_configENS1_25transform_config_selectorIjLb0EEEZNS1_14transform_implILb0ES3_S5_NS0_18transform_iteratorINS0_17counting_iteratorImlEEZNS1_24adjacent_difference_implIS3_Lb1ELb0EPjSB_N6thrust23THRUST_200600_302600_NS5minusIjEEEE10hipError_tPvRmT2_T3_mT4_P12ihipStream_tbEUlmE_jEESB_NS0_8identityIvEEEESG_SJ_SK_mSL_SN_bEUlT_E_NS1_11comp_targetILNS1_3genE10ELNS1_11target_archE1200ELNS1_3gpuE4ELNS1_3repE0EEENS1_30default_config_static_selectorELNS0_4arch9wavefront6targetE1EEEvT1_: ; @_ZN7rocprim17ROCPRIM_400000_NS6detail17trampoline_kernelINS0_14default_configENS1_25transform_config_selectorIjLb0EEEZNS1_14transform_implILb0ES3_S5_NS0_18transform_iteratorINS0_17counting_iteratorImlEEZNS1_24adjacent_difference_implIS3_Lb1ELb0EPjSB_N6thrust23THRUST_200600_302600_NS5minusIjEEEE10hipError_tPvRmT2_T3_mT4_P12ihipStream_tbEUlmE_jEESB_NS0_8identityIvEEEESG_SJ_SK_mSL_SN_bEUlT_E_NS1_11comp_targetILNS1_3genE10ELNS1_11target_archE1200ELNS1_3gpuE4ELNS1_3repE0EEENS1_30default_config_static_selectorELNS0_4arch9wavefront6targetE1EEEvT1_
; %bb.0:
	.section	.rodata,"a",@progbits
	.p2align	6, 0x0
	.amdhsa_kernel _ZN7rocprim17ROCPRIM_400000_NS6detail17trampoline_kernelINS0_14default_configENS1_25transform_config_selectorIjLb0EEEZNS1_14transform_implILb0ES3_S5_NS0_18transform_iteratorINS0_17counting_iteratorImlEEZNS1_24adjacent_difference_implIS3_Lb1ELb0EPjSB_N6thrust23THRUST_200600_302600_NS5minusIjEEEE10hipError_tPvRmT2_T3_mT4_P12ihipStream_tbEUlmE_jEESB_NS0_8identityIvEEEESG_SJ_SK_mSL_SN_bEUlT_E_NS1_11comp_targetILNS1_3genE10ELNS1_11target_archE1200ELNS1_3gpuE4ELNS1_3repE0EEENS1_30default_config_static_selectorELNS0_4arch9wavefront6targetE1EEEvT1_
		.amdhsa_group_segment_fixed_size 0
		.amdhsa_private_segment_fixed_size 0
		.amdhsa_kernarg_size 56
		.amdhsa_user_sgpr_count 2
		.amdhsa_user_sgpr_dispatch_ptr 0
		.amdhsa_user_sgpr_queue_ptr 0
		.amdhsa_user_sgpr_kernarg_segment_ptr 1
		.amdhsa_user_sgpr_dispatch_id 0
		.amdhsa_user_sgpr_kernarg_preload_length 0
		.amdhsa_user_sgpr_kernarg_preload_offset 0
		.amdhsa_user_sgpr_private_segment_size 0
		.amdhsa_uses_dynamic_stack 0
		.amdhsa_enable_private_segment 0
		.amdhsa_system_sgpr_workgroup_id_x 1
		.amdhsa_system_sgpr_workgroup_id_y 0
		.amdhsa_system_sgpr_workgroup_id_z 0
		.amdhsa_system_sgpr_workgroup_info 0
		.amdhsa_system_vgpr_workitem_id 0
		.amdhsa_next_free_vgpr 1
		.amdhsa_next_free_sgpr 0
		.amdhsa_accum_offset 4
		.amdhsa_reserve_vcc 0
		.amdhsa_float_round_mode_32 0
		.amdhsa_float_round_mode_16_64 0
		.amdhsa_float_denorm_mode_32 3
		.amdhsa_float_denorm_mode_16_64 3
		.amdhsa_dx10_clamp 1
		.amdhsa_ieee_mode 1
		.amdhsa_fp16_overflow 0
		.amdhsa_tg_split 0
		.amdhsa_exception_fp_ieee_invalid_op 0
		.amdhsa_exception_fp_denorm_src 0
		.amdhsa_exception_fp_ieee_div_zero 0
		.amdhsa_exception_fp_ieee_overflow 0
		.amdhsa_exception_fp_ieee_underflow 0
		.amdhsa_exception_fp_ieee_inexact 0
		.amdhsa_exception_int_div_zero 0
	.end_amdhsa_kernel
	.section	.text._ZN7rocprim17ROCPRIM_400000_NS6detail17trampoline_kernelINS0_14default_configENS1_25transform_config_selectorIjLb0EEEZNS1_14transform_implILb0ES3_S5_NS0_18transform_iteratorINS0_17counting_iteratorImlEEZNS1_24adjacent_difference_implIS3_Lb1ELb0EPjSB_N6thrust23THRUST_200600_302600_NS5minusIjEEEE10hipError_tPvRmT2_T3_mT4_P12ihipStream_tbEUlmE_jEESB_NS0_8identityIvEEEESG_SJ_SK_mSL_SN_bEUlT_E_NS1_11comp_targetILNS1_3genE10ELNS1_11target_archE1200ELNS1_3gpuE4ELNS1_3repE0EEENS1_30default_config_static_selectorELNS0_4arch9wavefront6targetE1EEEvT1_,"axG",@progbits,_ZN7rocprim17ROCPRIM_400000_NS6detail17trampoline_kernelINS0_14default_configENS1_25transform_config_selectorIjLb0EEEZNS1_14transform_implILb0ES3_S5_NS0_18transform_iteratorINS0_17counting_iteratorImlEEZNS1_24adjacent_difference_implIS3_Lb1ELb0EPjSB_N6thrust23THRUST_200600_302600_NS5minusIjEEEE10hipError_tPvRmT2_T3_mT4_P12ihipStream_tbEUlmE_jEESB_NS0_8identityIvEEEESG_SJ_SK_mSL_SN_bEUlT_E_NS1_11comp_targetILNS1_3genE10ELNS1_11target_archE1200ELNS1_3gpuE4ELNS1_3repE0EEENS1_30default_config_static_selectorELNS0_4arch9wavefront6targetE1EEEvT1_,comdat
.Lfunc_end379:
	.size	_ZN7rocprim17ROCPRIM_400000_NS6detail17trampoline_kernelINS0_14default_configENS1_25transform_config_selectorIjLb0EEEZNS1_14transform_implILb0ES3_S5_NS0_18transform_iteratorINS0_17counting_iteratorImlEEZNS1_24adjacent_difference_implIS3_Lb1ELb0EPjSB_N6thrust23THRUST_200600_302600_NS5minusIjEEEE10hipError_tPvRmT2_T3_mT4_P12ihipStream_tbEUlmE_jEESB_NS0_8identityIvEEEESG_SJ_SK_mSL_SN_bEUlT_E_NS1_11comp_targetILNS1_3genE10ELNS1_11target_archE1200ELNS1_3gpuE4ELNS1_3repE0EEENS1_30default_config_static_selectorELNS0_4arch9wavefront6targetE1EEEvT1_, .Lfunc_end379-_ZN7rocprim17ROCPRIM_400000_NS6detail17trampoline_kernelINS0_14default_configENS1_25transform_config_selectorIjLb0EEEZNS1_14transform_implILb0ES3_S5_NS0_18transform_iteratorINS0_17counting_iteratorImlEEZNS1_24adjacent_difference_implIS3_Lb1ELb0EPjSB_N6thrust23THRUST_200600_302600_NS5minusIjEEEE10hipError_tPvRmT2_T3_mT4_P12ihipStream_tbEUlmE_jEESB_NS0_8identityIvEEEESG_SJ_SK_mSL_SN_bEUlT_E_NS1_11comp_targetILNS1_3genE10ELNS1_11target_archE1200ELNS1_3gpuE4ELNS1_3repE0EEENS1_30default_config_static_selectorELNS0_4arch9wavefront6targetE1EEEvT1_
                                        ; -- End function
	.section	.AMDGPU.csdata,"",@progbits
; Kernel info:
; codeLenInByte = 0
; NumSgprs: 6
; NumVgprs: 0
; NumAgprs: 0
; TotalNumVgprs: 0
; ScratchSize: 0
; MemoryBound: 0
; FloatMode: 240
; IeeeMode: 1
; LDSByteSize: 0 bytes/workgroup (compile time only)
; SGPRBlocks: 0
; VGPRBlocks: 0
; NumSGPRsForWavesPerEU: 6
; NumVGPRsForWavesPerEU: 1
; AccumOffset: 4
; Occupancy: 8
; WaveLimiterHint : 0
; COMPUTE_PGM_RSRC2:SCRATCH_EN: 0
; COMPUTE_PGM_RSRC2:USER_SGPR: 2
; COMPUTE_PGM_RSRC2:TRAP_HANDLER: 0
; COMPUTE_PGM_RSRC2:TGID_X_EN: 1
; COMPUTE_PGM_RSRC2:TGID_Y_EN: 0
; COMPUTE_PGM_RSRC2:TGID_Z_EN: 0
; COMPUTE_PGM_RSRC2:TIDIG_COMP_CNT: 0
; COMPUTE_PGM_RSRC3_GFX90A:ACCUM_OFFSET: 0
; COMPUTE_PGM_RSRC3_GFX90A:TG_SPLIT: 0
	.section	.text._ZN7rocprim17ROCPRIM_400000_NS6detail17trampoline_kernelINS0_14default_configENS1_25transform_config_selectorIjLb0EEEZNS1_14transform_implILb0ES3_S5_NS0_18transform_iteratorINS0_17counting_iteratorImlEEZNS1_24adjacent_difference_implIS3_Lb1ELb0EPjSB_N6thrust23THRUST_200600_302600_NS5minusIjEEEE10hipError_tPvRmT2_T3_mT4_P12ihipStream_tbEUlmE_jEESB_NS0_8identityIvEEEESG_SJ_SK_mSL_SN_bEUlT_E_NS1_11comp_targetILNS1_3genE9ELNS1_11target_archE1100ELNS1_3gpuE3ELNS1_3repE0EEENS1_30default_config_static_selectorELNS0_4arch9wavefront6targetE1EEEvT1_,"axG",@progbits,_ZN7rocprim17ROCPRIM_400000_NS6detail17trampoline_kernelINS0_14default_configENS1_25transform_config_selectorIjLb0EEEZNS1_14transform_implILb0ES3_S5_NS0_18transform_iteratorINS0_17counting_iteratorImlEEZNS1_24adjacent_difference_implIS3_Lb1ELb0EPjSB_N6thrust23THRUST_200600_302600_NS5minusIjEEEE10hipError_tPvRmT2_T3_mT4_P12ihipStream_tbEUlmE_jEESB_NS0_8identityIvEEEESG_SJ_SK_mSL_SN_bEUlT_E_NS1_11comp_targetILNS1_3genE9ELNS1_11target_archE1100ELNS1_3gpuE3ELNS1_3repE0EEENS1_30default_config_static_selectorELNS0_4arch9wavefront6targetE1EEEvT1_,comdat
	.protected	_ZN7rocprim17ROCPRIM_400000_NS6detail17trampoline_kernelINS0_14default_configENS1_25transform_config_selectorIjLb0EEEZNS1_14transform_implILb0ES3_S5_NS0_18transform_iteratorINS0_17counting_iteratorImlEEZNS1_24adjacent_difference_implIS3_Lb1ELb0EPjSB_N6thrust23THRUST_200600_302600_NS5minusIjEEEE10hipError_tPvRmT2_T3_mT4_P12ihipStream_tbEUlmE_jEESB_NS0_8identityIvEEEESG_SJ_SK_mSL_SN_bEUlT_E_NS1_11comp_targetILNS1_3genE9ELNS1_11target_archE1100ELNS1_3gpuE3ELNS1_3repE0EEENS1_30default_config_static_selectorELNS0_4arch9wavefront6targetE1EEEvT1_ ; -- Begin function _ZN7rocprim17ROCPRIM_400000_NS6detail17trampoline_kernelINS0_14default_configENS1_25transform_config_selectorIjLb0EEEZNS1_14transform_implILb0ES3_S5_NS0_18transform_iteratorINS0_17counting_iteratorImlEEZNS1_24adjacent_difference_implIS3_Lb1ELb0EPjSB_N6thrust23THRUST_200600_302600_NS5minusIjEEEE10hipError_tPvRmT2_T3_mT4_P12ihipStream_tbEUlmE_jEESB_NS0_8identityIvEEEESG_SJ_SK_mSL_SN_bEUlT_E_NS1_11comp_targetILNS1_3genE9ELNS1_11target_archE1100ELNS1_3gpuE3ELNS1_3repE0EEENS1_30default_config_static_selectorELNS0_4arch9wavefront6targetE1EEEvT1_
	.globl	_ZN7rocprim17ROCPRIM_400000_NS6detail17trampoline_kernelINS0_14default_configENS1_25transform_config_selectorIjLb0EEEZNS1_14transform_implILb0ES3_S5_NS0_18transform_iteratorINS0_17counting_iteratorImlEEZNS1_24adjacent_difference_implIS3_Lb1ELb0EPjSB_N6thrust23THRUST_200600_302600_NS5minusIjEEEE10hipError_tPvRmT2_T3_mT4_P12ihipStream_tbEUlmE_jEESB_NS0_8identityIvEEEESG_SJ_SK_mSL_SN_bEUlT_E_NS1_11comp_targetILNS1_3genE9ELNS1_11target_archE1100ELNS1_3gpuE3ELNS1_3repE0EEENS1_30default_config_static_selectorELNS0_4arch9wavefront6targetE1EEEvT1_
	.p2align	8
	.type	_ZN7rocprim17ROCPRIM_400000_NS6detail17trampoline_kernelINS0_14default_configENS1_25transform_config_selectorIjLb0EEEZNS1_14transform_implILb0ES3_S5_NS0_18transform_iteratorINS0_17counting_iteratorImlEEZNS1_24adjacent_difference_implIS3_Lb1ELb0EPjSB_N6thrust23THRUST_200600_302600_NS5minusIjEEEE10hipError_tPvRmT2_T3_mT4_P12ihipStream_tbEUlmE_jEESB_NS0_8identityIvEEEESG_SJ_SK_mSL_SN_bEUlT_E_NS1_11comp_targetILNS1_3genE9ELNS1_11target_archE1100ELNS1_3gpuE3ELNS1_3repE0EEENS1_30default_config_static_selectorELNS0_4arch9wavefront6targetE1EEEvT1_,@function
_ZN7rocprim17ROCPRIM_400000_NS6detail17trampoline_kernelINS0_14default_configENS1_25transform_config_selectorIjLb0EEEZNS1_14transform_implILb0ES3_S5_NS0_18transform_iteratorINS0_17counting_iteratorImlEEZNS1_24adjacent_difference_implIS3_Lb1ELb0EPjSB_N6thrust23THRUST_200600_302600_NS5minusIjEEEE10hipError_tPvRmT2_T3_mT4_P12ihipStream_tbEUlmE_jEESB_NS0_8identityIvEEEESG_SJ_SK_mSL_SN_bEUlT_E_NS1_11comp_targetILNS1_3genE9ELNS1_11target_archE1100ELNS1_3gpuE3ELNS1_3repE0EEENS1_30default_config_static_selectorELNS0_4arch9wavefront6targetE1EEEvT1_: ; @_ZN7rocprim17ROCPRIM_400000_NS6detail17trampoline_kernelINS0_14default_configENS1_25transform_config_selectorIjLb0EEEZNS1_14transform_implILb0ES3_S5_NS0_18transform_iteratorINS0_17counting_iteratorImlEEZNS1_24adjacent_difference_implIS3_Lb1ELb0EPjSB_N6thrust23THRUST_200600_302600_NS5minusIjEEEE10hipError_tPvRmT2_T3_mT4_P12ihipStream_tbEUlmE_jEESB_NS0_8identityIvEEEESG_SJ_SK_mSL_SN_bEUlT_E_NS1_11comp_targetILNS1_3genE9ELNS1_11target_archE1100ELNS1_3gpuE3ELNS1_3repE0EEENS1_30default_config_static_selectorELNS0_4arch9wavefront6targetE1EEEvT1_
; %bb.0:
	.section	.rodata,"a",@progbits
	.p2align	6, 0x0
	.amdhsa_kernel _ZN7rocprim17ROCPRIM_400000_NS6detail17trampoline_kernelINS0_14default_configENS1_25transform_config_selectorIjLb0EEEZNS1_14transform_implILb0ES3_S5_NS0_18transform_iteratorINS0_17counting_iteratorImlEEZNS1_24adjacent_difference_implIS3_Lb1ELb0EPjSB_N6thrust23THRUST_200600_302600_NS5minusIjEEEE10hipError_tPvRmT2_T3_mT4_P12ihipStream_tbEUlmE_jEESB_NS0_8identityIvEEEESG_SJ_SK_mSL_SN_bEUlT_E_NS1_11comp_targetILNS1_3genE9ELNS1_11target_archE1100ELNS1_3gpuE3ELNS1_3repE0EEENS1_30default_config_static_selectorELNS0_4arch9wavefront6targetE1EEEvT1_
		.amdhsa_group_segment_fixed_size 0
		.amdhsa_private_segment_fixed_size 0
		.amdhsa_kernarg_size 56
		.amdhsa_user_sgpr_count 2
		.amdhsa_user_sgpr_dispatch_ptr 0
		.amdhsa_user_sgpr_queue_ptr 0
		.amdhsa_user_sgpr_kernarg_segment_ptr 1
		.amdhsa_user_sgpr_dispatch_id 0
		.amdhsa_user_sgpr_kernarg_preload_length 0
		.amdhsa_user_sgpr_kernarg_preload_offset 0
		.amdhsa_user_sgpr_private_segment_size 0
		.amdhsa_uses_dynamic_stack 0
		.amdhsa_enable_private_segment 0
		.amdhsa_system_sgpr_workgroup_id_x 1
		.amdhsa_system_sgpr_workgroup_id_y 0
		.amdhsa_system_sgpr_workgroup_id_z 0
		.amdhsa_system_sgpr_workgroup_info 0
		.amdhsa_system_vgpr_workitem_id 0
		.amdhsa_next_free_vgpr 1
		.amdhsa_next_free_sgpr 0
		.amdhsa_accum_offset 4
		.amdhsa_reserve_vcc 0
		.amdhsa_float_round_mode_32 0
		.amdhsa_float_round_mode_16_64 0
		.amdhsa_float_denorm_mode_32 3
		.amdhsa_float_denorm_mode_16_64 3
		.amdhsa_dx10_clamp 1
		.amdhsa_ieee_mode 1
		.amdhsa_fp16_overflow 0
		.amdhsa_tg_split 0
		.amdhsa_exception_fp_ieee_invalid_op 0
		.amdhsa_exception_fp_denorm_src 0
		.amdhsa_exception_fp_ieee_div_zero 0
		.amdhsa_exception_fp_ieee_overflow 0
		.amdhsa_exception_fp_ieee_underflow 0
		.amdhsa_exception_fp_ieee_inexact 0
		.amdhsa_exception_int_div_zero 0
	.end_amdhsa_kernel
	.section	.text._ZN7rocprim17ROCPRIM_400000_NS6detail17trampoline_kernelINS0_14default_configENS1_25transform_config_selectorIjLb0EEEZNS1_14transform_implILb0ES3_S5_NS0_18transform_iteratorINS0_17counting_iteratorImlEEZNS1_24adjacent_difference_implIS3_Lb1ELb0EPjSB_N6thrust23THRUST_200600_302600_NS5minusIjEEEE10hipError_tPvRmT2_T3_mT4_P12ihipStream_tbEUlmE_jEESB_NS0_8identityIvEEEESG_SJ_SK_mSL_SN_bEUlT_E_NS1_11comp_targetILNS1_3genE9ELNS1_11target_archE1100ELNS1_3gpuE3ELNS1_3repE0EEENS1_30default_config_static_selectorELNS0_4arch9wavefront6targetE1EEEvT1_,"axG",@progbits,_ZN7rocprim17ROCPRIM_400000_NS6detail17trampoline_kernelINS0_14default_configENS1_25transform_config_selectorIjLb0EEEZNS1_14transform_implILb0ES3_S5_NS0_18transform_iteratorINS0_17counting_iteratorImlEEZNS1_24adjacent_difference_implIS3_Lb1ELb0EPjSB_N6thrust23THRUST_200600_302600_NS5minusIjEEEE10hipError_tPvRmT2_T3_mT4_P12ihipStream_tbEUlmE_jEESB_NS0_8identityIvEEEESG_SJ_SK_mSL_SN_bEUlT_E_NS1_11comp_targetILNS1_3genE9ELNS1_11target_archE1100ELNS1_3gpuE3ELNS1_3repE0EEENS1_30default_config_static_selectorELNS0_4arch9wavefront6targetE1EEEvT1_,comdat
.Lfunc_end380:
	.size	_ZN7rocprim17ROCPRIM_400000_NS6detail17trampoline_kernelINS0_14default_configENS1_25transform_config_selectorIjLb0EEEZNS1_14transform_implILb0ES3_S5_NS0_18transform_iteratorINS0_17counting_iteratorImlEEZNS1_24adjacent_difference_implIS3_Lb1ELb0EPjSB_N6thrust23THRUST_200600_302600_NS5minusIjEEEE10hipError_tPvRmT2_T3_mT4_P12ihipStream_tbEUlmE_jEESB_NS0_8identityIvEEEESG_SJ_SK_mSL_SN_bEUlT_E_NS1_11comp_targetILNS1_3genE9ELNS1_11target_archE1100ELNS1_3gpuE3ELNS1_3repE0EEENS1_30default_config_static_selectorELNS0_4arch9wavefront6targetE1EEEvT1_, .Lfunc_end380-_ZN7rocprim17ROCPRIM_400000_NS6detail17trampoline_kernelINS0_14default_configENS1_25transform_config_selectorIjLb0EEEZNS1_14transform_implILb0ES3_S5_NS0_18transform_iteratorINS0_17counting_iteratorImlEEZNS1_24adjacent_difference_implIS3_Lb1ELb0EPjSB_N6thrust23THRUST_200600_302600_NS5minusIjEEEE10hipError_tPvRmT2_T3_mT4_P12ihipStream_tbEUlmE_jEESB_NS0_8identityIvEEEESG_SJ_SK_mSL_SN_bEUlT_E_NS1_11comp_targetILNS1_3genE9ELNS1_11target_archE1100ELNS1_3gpuE3ELNS1_3repE0EEENS1_30default_config_static_selectorELNS0_4arch9wavefront6targetE1EEEvT1_
                                        ; -- End function
	.section	.AMDGPU.csdata,"",@progbits
; Kernel info:
; codeLenInByte = 0
; NumSgprs: 6
; NumVgprs: 0
; NumAgprs: 0
; TotalNumVgprs: 0
; ScratchSize: 0
; MemoryBound: 0
; FloatMode: 240
; IeeeMode: 1
; LDSByteSize: 0 bytes/workgroup (compile time only)
; SGPRBlocks: 0
; VGPRBlocks: 0
; NumSGPRsForWavesPerEU: 6
; NumVGPRsForWavesPerEU: 1
; AccumOffset: 4
; Occupancy: 8
; WaveLimiterHint : 0
; COMPUTE_PGM_RSRC2:SCRATCH_EN: 0
; COMPUTE_PGM_RSRC2:USER_SGPR: 2
; COMPUTE_PGM_RSRC2:TRAP_HANDLER: 0
; COMPUTE_PGM_RSRC2:TGID_X_EN: 1
; COMPUTE_PGM_RSRC2:TGID_Y_EN: 0
; COMPUTE_PGM_RSRC2:TGID_Z_EN: 0
; COMPUTE_PGM_RSRC2:TIDIG_COMP_CNT: 0
; COMPUTE_PGM_RSRC3_GFX90A:ACCUM_OFFSET: 0
; COMPUTE_PGM_RSRC3_GFX90A:TG_SPLIT: 0
	.section	.text._ZN7rocprim17ROCPRIM_400000_NS6detail17trampoline_kernelINS0_14default_configENS1_25transform_config_selectorIjLb0EEEZNS1_14transform_implILb0ES3_S5_NS0_18transform_iteratorINS0_17counting_iteratorImlEEZNS1_24adjacent_difference_implIS3_Lb1ELb0EPjSB_N6thrust23THRUST_200600_302600_NS5minusIjEEEE10hipError_tPvRmT2_T3_mT4_P12ihipStream_tbEUlmE_jEESB_NS0_8identityIvEEEESG_SJ_SK_mSL_SN_bEUlT_E_NS1_11comp_targetILNS1_3genE8ELNS1_11target_archE1030ELNS1_3gpuE2ELNS1_3repE0EEENS1_30default_config_static_selectorELNS0_4arch9wavefront6targetE1EEEvT1_,"axG",@progbits,_ZN7rocprim17ROCPRIM_400000_NS6detail17trampoline_kernelINS0_14default_configENS1_25transform_config_selectorIjLb0EEEZNS1_14transform_implILb0ES3_S5_NS0_18transform_iteratorINS0_17counting_iteratorImlEEZNS1_24adjacent_difference_implIS3_Lb1ELb0EPjSB_N6thrust23THRUST_200600_302600_NS5minusIjEEEE10hipError_tPvRmT2_T3_mT4_P12ihipStream_tbEUlmE_jEESB_NS0_8identityIvEEEESG_SJ_SK_mSL_SN_bEUlT_E_NS1_11comp_targetILNS1_3genE8ELNS1_11target_archE1030ELNS1_3gpuE2ELNS1_3repE0EEENS1_30default_config_static_selectorELNS0_4arch9wavefront6targetE1EEEvT1_,comdat
	.protected	_ZN7rocprim17ROCPRIM_400000_NS6detail17trampoline_kernelINS0_14default_configENS1_25transform_config_selectorIjLb0EEEZNS1_14transform_implILb0ES3_S5_NS0_18transform_iteratorINS0_17counting_iteratorImlEEZNS1_24adjacent_difference_implIS3_Lb1ELb0EPjSB_N6thrust23THRUST_200600_302600_NS5minusIjEEEE10hipError_tPvRmT2_T3_mT4_P12ihipStream_tbEUlmE_jEESB_NS0_8identityIvEEEESG_SJ_SK_mSL_SN_bEUlT_E_NS1_11comp_targetILNS1_3genE8ELNS1_11target_archE1030ELNS1_3gpuE2ELNS1_3repE0EEENS1_30default_config_static_selectorELNS0_4arch9wavefront6targetE1EEEvT1_ ; -- Begin function _ZN7rocprim17ROCPRIM_400000_NS6detail17trampoline_kernelINS0_14default_configENS1_25transform_config_selectorIjLb0EEEZNS1_14transform_implILb0ES3_S5_NS0_18transform_iteratorINS0_17counting_iteratorImlEEZNS1_24adjacent_difference_implIS3_Lb1ELb0EPjSB_N6thrust23THRUST_200600_302600_NS5minusIjEEEE10hipError_tPvRmT2_T3_mT4_P12ihipStream_tbEUlmE_jEESB_NS0_8identityIvEEEESG_SJ_SK_mSL_SN_bEUlT_E_NS1_11comp_targetILNS1_3genE8ELNS1_11target_archE1030ELNS1_3gpuE2ELNS1_3repE0EEENS1_30default_config_static_selectorELNS0_4arch9wavefront6targetE1EEEvT1_
	.globl	_ZN7rocprim17ROCPRIM_400000_NS6detail17trampoline_kernelINS0_14default_configENS1_25transform_config_selectorIjLb0EEEZNS1_14transform_implILb0ES3_S5_NS0_18transform_iteratorINS0_17counting_iteratorImlEEZNS1_24adjacent_difference_implIS3_Lb1ELb0EPjSB_N6thrust23THRUST_200600_302600_NS5minusIjEEEE10hipError_tPvRmT2_T3_mT4_P12ihipStream_tbEUlmE_jEESB_NS0_8identityIvEEEESG_SJ_SK_mSL_SN_bEUlT_E_NS1_11comp_targetILNS1_3genE8ELNS1_11target_archE1030ELNS1_3gpuE2ELNS1_3repE0EEENS1_30default_config_static_selectorELNS0_4arch9wavefront6targetE1EEEvT1_
	.p2align	8
	.type	_ZN7rocprim17ROCPRIM_400000_NS6detail17trampoline_kernelINS0_14default_configENS1_25transform_config_selectorIjLb0EEEZNS1_14transform_implILb0ES3_S5_NS0_18transform_iteratorINS0_17counting_iteratorImlEEZNS1_24adjacent_difference_implIS3_Lb1ELb0EPjSB_N6thrust23THRUST_200600_302600_NS5minusIjEEEE10hipError_tPvRmT2_T3_mT4_P12ihipStream_tbEUlmE_jEESB_NS0_8identityIvEEEESG_SJ_SK_mSL_SN_bEUlT_E_NS1_11comp_targetILNS1_3genE8ELNS1_11target_archE1030ELNS1_3gpuE2ELNS1_3repE0EEENS1_30default_config_static_selectorELNS0_4arch9wavefront6targetE1EEEvT1_,@function
_ZN7rocprim17ROCPRIM_400000_NS6detail17trampoline_kernelINS0_14default_configENS1_25transform_config_selectorIjLb0EEEZNS1_14transform_implILb0ES3_S5_NS0_18transform_iteratorINS0_17counting_iteratorImlEEZNS1_24adjacent_difference_implIS3_Lb1ELb0EPjSB_N6thrust23THRUST_200600_302600_NS5minusIjEEEE10hipError_tPvRmT2_T3_mT4_P12ihipStream_tbEUlmE_jEESB_NS0_8identityIvEEEESG_SJ_SK_mSL_SN_bEUlT_E_NS1_11comp_targetILNS1_3genE8ELNS1_11target_archE1030ELNS1_3gpuE2ELNS1_3repE0EEENS1_30default_config_static_selectorELNS0_4arch9wavefront6targetE1EEEvT1_: ; @_ZN7rocprim17ROCPRIM_400000_NS6detail17trampoline_kernelINS0_14default_configENS1_25transform_config_selectorIjLb0EEEZNS1_14transform_implILb0ES3_S5_NS0_18transform_iteratorINS0_17counting_iteratorImlEEZNS1_24adjacent_difference_implIS3_Lb1ELb0EPjSB_N6thrust23THRUST_200600_302600_NS5minusIjEEEE10hipError_tPvRmT2_T3_mT4_P12ihipStream_tbEUlmE_jEESB_NS0_8identityIvEEEESG_SJ_SK_mSL_SN_bEUlT_E_NS1_11comp_targetILNS1_3genE8ELNS1_11target_archE1030ELNS1_3gpuE2ELNS1_3repE0EEENS1_30default_config_static_selectorELNS0_4arch9wavefront6targetE1EEEvT1_
; %bb.0:
	.section	.rodata,"a",@progbits
	.p2align	6, 0x0
	.amdhsa_kernel _ZN7rocprim17ROCPRIM_400000_NS6detail17trampoline_kernelINS0_14default_configENS1_25transform_config_selectorIjLb0EEEZNS1_14transform_implILb0ES3_S5_NS0_18transform_iteratorINS0_17counting_iteratorImlEEZNS1_24adjacent_difference_implIS3_Lb1ELb0EPjSB_N6thrust23THRUST_200600_302600_NS5minusIjEEEE10hipError_tPvRmT2_T3_mT4_P12ihipStream_tbEUlmE_jEESB_NS0_8identityIvEEEESG_SJ_SK_mSL_SN_bEUlT_E_NS1_11comp_targetILNS1_3genE8ELNS1_11target_archE1030ELNS1_3gpuE2ELNS1_3repE0EEENS1_30default_config_static_selectorELNS0_4arch9wavefront6targetE1EEEvT1_
		.amdhsa_group_segment_fixed_size 0
		.amdhsa_private_segment_fixed_size 0
		.amdhsa_kernarg_size 56
		.amdhsa_user_sgpr_count 2
		.amdhsa_user_sgpr_dispatch_ptr 0
		.amdhsa_user_sgpr_queue_ptr 0
		.amdhsa_user_sgpr_kernarg_segment_ptr 1
		.amdhsa_user_sgpr_dispatch_id 0
		.amdhsa_user_sgpr_kernarg_preload_length 0
		.amdhsa_user_sgpr_kernarg_preload_offset 0
		.amdhsa_user_sgpr_private_segment_size 0
		.amdhsa_uses_dynamic_stack 0
		.amdhsa_enable_private_segment 0
		.amdhsa_system_sgpr_workgroup_id_x 1
		.amdhsa_system_sgpr_workgroup_id_y 0
		.amdhsa_system_sgpr_workgroup_id_z 0
		.amdhsa_system_sgpr_workgroup_info 0
		.amdhsa_system_vgpr_workitem_id 0
		.amdhsa_next_free_vgpr 1
		.amdhsa_next_free_sgpr 0
		.amdhsa_accum_offset 4
		.amdhsa_reserve_vcc 0
		.amdhsa_float_round_mode_32 0
		.amdhsa_float_round_mode_16_64 0
		.amdhsa_float_denorm_mode_32 3
		.amdhsa_float_denorm_mode_16_64 3
		.amdhsa_dx10_clamp 1
		.amdhsa_ieee_mode 1
		.amdhsa_fp16_overflow 0
		.amdhsa_tg_split 0
		.amdhsa_exception_fp_ieee_invalid_op 0
		.amdhsa_exception_fp_denorm_src 0
		.amdhsa_exception_fp_ieee_div_zero 0
		.amdhsa_exception_fp_ieee_overflow 0
		.amdhsa_exception_fp_ieee_underflow 0
		.amdhsa_exception_fp_ieee_inexact 0
		.amdhsa_exception_int_div_zero 0
	.end_amdhsa_kernel
	.section	.text._ZN7rocprim17ROCPRIM_400000_NS6detail17trampoline_kernelINS0_14default_configENS1_25transform_config_selectorIjLb0EEEZNS1_14transform_implILb0ES3_S5_NS0_18transform_iteratorINS0_17counting_iteratorImlEEZNS1_24adjacent_difference_implIS3_Lb1ELb0EPjSB_N6thrust23THRUST_200600_302600_NS5minusIjEEEE10hipError_tPvRmT2_T3_mT4_P12ihipStream_tbEUlmE_jEESB_NS0_8identityIvEEEESG_SJ_SK_mSL_SN_bEUlT_E_NS1_11comp_targetILNS1_3genE8ELNS1_11target_archE1030ELNS1_3gpuE2ELNS1_3repE0EEENS1_30default_config_static_selectorELNS0_4arch9wavefront6targetE1EEEvT1_,"axG",@progbits,_ZN7rocprim17ROCPRIM_400000_NS6detail17trampoline_kernelINS0_14default_configENS1_25transform_config_selectorIjLb0EEEZNS1_14transform_implILb0ES3_S5_NS0_18transform_iteratorINS0_17counting_iteratorImlEEZNS1_24adjacent_difference_implIS3_Lb1ELb0EPjSB_N6thrust23THRUST_200600_302600_NS5minusIjEEEE10hipError_tPvRmT2_T3_mT4_P12ihipStream_tbEUlmE_jEESB_NS0_8identityIvEEEESG_SJ_SK_mSL_SN_bEUlT_E_NS1_11comp_targetILNS1_3genE8ELNS1_11target_archE1030ELNS1_3gpuE2ELNS1_3repE0EEENS1_30default_config_static_selectorELNS0_4arch9wavefront6targetE1EEEvT1_,comdat
.Lfunc_end381:
	.size	_ZN7rocprim17ROCPRIM_400000_NS6detail17trampoline_kernelINS0_14default_configENS1_25transform_config_selectorIjLb0EEEZNS1_14transform_implILb0ES3_S5_NS0_18transform_iteratorINS0_17counting_iteratorImlEEZNS1_24adjacent_difference_implIS3_Lb1ELb0EPjSB_N6thrust23THRUST_200600_302600_NS5minusIjEEEE10hipError_tPvRmT2_T3_mT4_P12ihipStream_tbEUlmE_jEESB_NS0_8identityIvEEEESG_SJ_SK_mSL_SN_bEUlT_E_NS1_11comp_targetILNS1_3genE8ELNS1_11target_archE1030ELNS1_3gpuE2ELNS1_3repE0EEENS1_30default_config_static_selectorELNS0_4arch9wavefront6targetE1EEEvT1_, .Lfunc_end381-_ZN7rocprim17ROCPRIM_400000_NS6detail17trampoline_kernelINS0_14default_configENS1_25transform_config_selectorIjLb0EEEZNS1_14transform_implILb0ES3_S5_NS0_18transform_iteratorINS0_17counting_iteratorImlEEZNS1_24adjacent_difference_implIS3_Lb1ELb0EPjSB_N6thrust23THRUST_200600_302600_NS5minusIjEEEE10hipError_tPvRmT2_T3_mT4_P12ihipStream_tbEUlmE_jEESB_NS0_8identityIvEEEESG_SJ_SK_mSL_SN_bEUlT_E_NS1_11comp_targetILNS1_3genE8ELNS1_11target_archE1030ELNS1_3gpuE2ELNS1_3repE0EEENS1_30default_config_static_selectorELNS0_4arch9wavefront6targetE1EEEvT1_
                                        ; -- End function
	.section	.AMDGPU.csdata,"",@progbits
; Kernel info:
; codeLenInByte = 0
; NumSgprs: 6
; NumVgprs: 0
; NumAgprs: 0
; TotalNumVgprs: 0
; ScratchSize: 0
; MemoryBound: 0
; FloatMode: 240
; IeeeMode: 1
; LDSByteSize: 0 bytes/workgroup (compile time only)
; SGPRBlocks: 0
; VGPRBlocks: 0
; NumSGPRsForWavesPerEU: 6
; NumVGPRsForWavesPerEU: 1
; AccumOffset: 4
; Occupancy: 8
; WaveLimiterHint : 0
; COMPUTE_PGM_RSRC2:SCRATCH_EN: 0
; COMPUTE_PGM_RSRC2:USER_SGPR: 2
; COMPUTE_PGM_RSRC2:TRAP_HANDLER: 0
; COMPUTE_PGM_RSRC2:TGID_X_EN: 1
; COMPUTE_PGM_RSRC2:TGID_Y_EN: 0
; COMPUTE_PGM_RSRC2:TGID_Z_EN: 0
; COMPUTE_PGM_RSRC2:TIDIG_COMP_CNT: 0
; COMPUTE_PGM_RSRC3_GFX90A:ACCUM_OFFSET: 0
; COMPUTE_PGM_RSRC3_GFX90A:TG_SPLIT: 0
	.section	.text._ZN7rocprim17ROCPRIM_400000_NS6detail17trampoline_kernelINS0_14default_configENS1_35adjacent_difference_config_selectorILb1EjEEZNS1_24adjacent_difference_implIS3_Lb1ELb0EPjS7_N6thrust23THRUST_200600_302600_NS5minusIjEEEE10hipError_tPvRmT2_T3_mT4_P12ihipStream_tbEUlT_E_NS1_11comp_targetILNS1_3genE0ELNS1_11target_archE4294967295ELNS1_3gpuE0ELNS1_3repE0EEENS1_30default_config_static_selectorELNS0_4arch9wavefront6targetE1EEEvT1_,"axG",@progbits,_ZN7rocprim17ROCPRIM_400000_NS6detail17trampoline_kernelINS0_14default_configENS1_35adjacent_difference_config_selectorILb1EjEEZNS1_24adjacent_difference_implIS3_Lb1ELb0EPjS7_N6thrust23THRUST_200600_302600_NS5minusIjEEEE10hipError_tPvRmT2_T3_mT4_P12ihipStream_tbEUlT_E_NS1_11comp_targetILNS1_3genE0ELNS1_11target_archE4294967295ELNS1_3gpuE0ELNS1_3repE0EEENS1_30default_config_static_selectorELNS0_4arch9wavefront6targetE1EEEvT1_,comdat
	.protected	_ZN7rocprim17ROCPRIM_400000_NS6detail17trampoline_kernelINS0_14default_configENS1_35adjacent_difference_config_selectorILb1EjEEZNS1_24adjacent_difference_implIS3_Lb1ELb0EPjS7_N6thrust23THRUST_200600_302600_NS5minusIjEEEE10hipError_tPvRmT2_T3_mT4_P12ihipStream_tbEUlT_E_NS1_11comp_targetILNS1_3genE0ELNS1_11target_archE4294967295ELNS1_3gpuE0ELNS1_3repE0EEENS1_30default_config_static_selectorELNS0_4arch9wavefront6targetE1EEEvT1_ ; -- Begin function _ZN7rocprim17ROCPRIM_400000_NS6detail17trampoline_kernelINS0_14default_configENS1_35adjacent_difference_config_selectorILb1EjEEZNS1_24adjacent_difference_implIS3_Lb1ELb0EPjS7_N6thrust23THRUST_200600_302600_NS5minusIjEEEE10hipError_tPvRmT2_T3_mT4_P12ihipStream_tbEUlT_E_NS1_11comp_targetILNS1_3genE0ELNS1_11target_archE4294967295ELNS1_3gpuE0ELNS1_3repE0EEENS1_30default_config_static_selectorELNS0_4arch9wavefront6targetE1EEEvT1_
	.globl	_ZN7rocprim17ROCPRIM_400000_NS6detail17trampoline_kernelINS0_14default_configENS1_35adjacent_difference_config_selectorILb1EjEEZNS1_24adjacent_difference_implIS3_Lb1ELb0EPjS7_N6thrust23THRUST_200600_302600_NS5minusIjEEEE10hipError_tPvRmT2_T3_mT4_P12ihipStream_tbEUlT_E_NS1_11comp_targetILNS1_3genE0ELNS1_11target_archE4294967295ELNS1_3gpuE0ELNS1_3repE0EEENS1_30default_config_static_selectorELNS0_4arch9wavefront6targetE1EEEvT1_
	.p2align	8
	.type	_ZN7rocprim17ROCPRIM_400000_NS6detail17trampoline_kernelINS0_14default_configENS1_35adjacent_difference_config_selectorILb1EjEEZNS1_24adjacent_difference_implIS3_Lb1ELb0EPjS7_N6thrust23THRUST_200600_302600_NS5minusIjEEEE10hipError_tPvRmT2_T3_mT4_P12ihipStream_tbEUlT_E_NS1_11comp_targetILNS1_3genE0ELNS1_11target_archE4294967295ELNS1_3gpuE0ELNS1_3repE0EEENS1_30default_config_static_selectorELNS0_4arch9wavefront6targetE1EEEvT1_,@function
_ZN7rocprim17ROCPRIM_400000_NS6detail17trampoline_kernelINS0_14default_configENS1_35adjacent_difference_config_selectorILb1EjEEZNS1_24adjacent_difference_implIS3_Lb1ELb0EPjS7_N6thrust23THRUST_200600_302600_NS5minusIjEEEE10hipError_tPvRmT2_T3_mT4_P12ihipStream_tbEUlT_E_NS1_11comp_targetILNS1_3genE0ELNS1_11target_archE4294967295ELNS1_3gpuE0ELNS1_3repE0EEENS1_30default_config_static_selectorELNS0_4arch9wavefront6targetE1EEEvT1_: ; @_ZN7rocprim17ROCPRIM_400000_NS6detail17trampoline_kernelINS0_14default_configENS1_35adjacent_difference_config_selectorILb1EjEEZNS1_24adjacent_difference_implIS3_Lb1ELb0EPjS7_N6thrust23THRUST_200600_302600_NS5minusIjEEEE10hipError_tPvRmT2_T3_mT4_P12ihipStream_tbEUlT_E_NS1_11comp_targetILNS1_3genE0ELNS1_11target_archE4294967295ELNS1_3gpuE0ELNS1_3repE0EEENS1_30default_config_static_selectorELNS0_4arch9wavefront6targetE1EEEvT1_
; %bb.0:
	.section	.rodata,"a",@progbits
	.p2align	6, 0x0
	.amdhsa_kernel _ZN7rocprim17ROCPRIM_400000_NS6detail17trampoline_kernelINS0_14default_configENS1_35adjacent_difference_config_selectorILb1EjEEZNS1_24adjacent_difference_implIS3_Lb1ELb0EPjS7_N6thrust23THRUST_200600_302600_NS5minusIjEEEE10hipError_tPvRmT2_T3_mT4_P12ihipStream_tbEUlT_E_NS1_11comp_targetILNS1_3genE0ELNS1_11target_archE4294967295ELNS1_3gpuE0ELNS1_3repE0EEENS1_30default_config_static_selectorELNS0_4arch9wavefront6targetE1EEEvT1_
		.amdhsa_group_segment_fixed_size 0
		.amdhsa_private_segment_fixed_size 0
		.amdhsa_kernarg_size 56
		.amdhsa_user_sgpr_count 2
		.amdhsa_user_sgpr_dispatch_ptr 0
		.amdhsa_user_sgpr_queue_ptr 0
		.amdhsa_user_sgpr_kernarg_segment_ptr 1
		.amdhsa_user_sgpr_dispatch_id 0
		.amdhsa_user_sgpr_kernarg_preload_length 0
		.amdhsa_user_sgpr_kernarg_preload_offset 0
		.amdhsa_user_sgpr_private_segment_size 0
		.amdhsa_uses_dynamic_stack 0
		.amdhsa_enable_private_segment 0
		.amdhsa_system_sgpr_workgroup_id_x 1
		.amdhsa_system_sgpr_workgroup_id_y 0
		.amdhsa_system_sgpr_workgroup_id_z 0
		.amdhsa_system_sgpr_workgroup_info 0
		.amdhsa_system_vgpr_workitem_id 0
		.amdhsa_next_free_vgpr 1
		.amdhsa_next_free_sgpr 0
		.amdhsa_accum_offset 4
		.amdhsa_reserve_vcc 0
		.amdhsa_float_round_mode_32 0
		.amdhsa_float_round_mode_16_64 0
		.amdhsa_float_denorm_mode_32 3
		.amdhsa_float_denorm_mode_16_64 3
		.amdhsa_dx10_clamp 1
		.amdhsa_ieee_mode 1
		.amdhsa_fp16_overflow 0
		.amdhsa_tg_split 0
		.amdhsa_exception_fp_ieee_invalid_op 0
		.amdhsa_exception_fp_denorm_src 0
		.amdhsa_exception_fp_ieee_div_zero 0
		.amdhsa_exception_fp_ieee_overflow 0
		.amdhsa_exception_fp_ieee_underflow 0
		.amdhsa_exception_fp_ieee_inexact 0
		.amdhsa_exception_int_div_zero 0
	.end_amdhsa_kernel
	.section	.text._ZN7rocprim17ROCPRIM_400000_NS6detail17trampoline_kernelINS0_14default_configENS1_35adjacent_difference_config_selectorILb1EjEEZNS1_24adjacent_difference_implIS3_Lb1ELb0EPjS7_N6thrust23THRUST_200600_302600_NS5minusIjEEEE10hipError_tPvRmT2_T3_mT4_P12ihipStream_tbEUlT_E_NS1_11comp_targetILNS1_3genE0ELNS1_11target_archE4294967295ELNS1_3gpuE0ELNS1_3repE0EEENS1_30default_config_static_selectorELNS0_4arch9wavefront6targetE1EEEvT1_,"axG",@progbits,_ZN7rocprim17ROCPRIM_400000_NS6detail17trampoline_kernelINS0_14default_configENS1_35adjacent_difference_config_selectorILb1EjEEZNS1_24adjacent_difference_implIS3_Lb1ELb0EPjS7_N6thrust23THRUST_200600_302600_NS5minusIjEEEE10hipError_tPvRmT2_T3_mT4_P12ihipStream_tbEUlT_E_NS1_11comp_targetILNS1_3genE0ELNS1_11target_archE4294967295ELNS1_3gpuE0ELNS1_3repE0EEENS1_30default_config_static_selectorELNS0_4arch9wavefront6targetE1EEEvT1_,comdat
.Lfunc_end382:
	.size	_ZN7rocprim17ROCPRIM_400000_NS6detail17trampoline_kernelINS0_14default_configENS1_35adjacent_difference_config_selectorILb1EjEEZNS1_24adjacent_difference_implIS3_Lb1ELb0EPjS7_N6thrust23THRUST_200600_302600_NS5minusIjEEEE10hipError_tPvRmT2_T3_mT4_P12ihipStream_tbEUlT_E_NS1_11comp_targetILNS1_3genE0ELNS1_11target_archE4294967295ELNS1_3gpuE0ELNS1_3repE0EEENS1_30default_config_static_selectorELNS0_4arch9wavefront6targetE1EEEvT1_, .Lfunc_end382-_ZN7rocprim17ROCPRIM_400000_NS6detail17trampoline_kernelINS0_14default_configENS1_35adjacent_difference_config_selectorILb1EjEEZNS1_24adjacent_difference_implIS3_Lb1ELb0EPjS7_N6thrust23THRUST_200600_302600_NS5minusIjEEEE10hipError_tPvRmT2_T3_mT4_P12ihipStream_tbEUlT_E_NS1_11comp_targetILNS1_3genE0ELNS1_11target_archE4294967295ELNS1_3gpuE0ELNS1_3repE0EEENS1_30default_config_static_selectorELNS0_4arch9wavefront6targetE1EEEvT1_
                                        ; -- End function
	.section	.AMDGPU.csdata,"",@progbits
; Kernel info:
; codeLenInByte = 0
; NumSgprs: 6
; NumVgprs: 0
; NumAgprs: 0
; TotalNumVgprs: 0
; ScratchSize: 0
; MemoryBound: 0
; FloatMode: 240
; IeeeMode: 1
; LDSByteSize: 0 bytes/workgroup (compile time only)
; SGPRBlocks: 0
; VGPRBlocks: 0
; NumSGPRsForWavesPerEU: 6
; NumVGPRsForWavesPerEU: 1
; AccumOffset: 4
; Occupancy: 8
; WaveLimiterHint : 0
; COMPUTE_PGM_RSRC2:SCRATCH_EN: 0
; COMPUTE_PGM_RSRC2:USER_SGPR: 2
; COMPUTE_PGM_RSRC2:TRAP_HANDLER: 0
; COMPUTE_PGM_RSRC2:TGID_X_EN: 1
; COMPUTE_PGM_RSRC2:TGID_Y_EN: 0
; COMPUTE_PGM_RSRC2:TGID_Z_EN: 0
; COMPUTE_PGM_RSRC2:TIDIG_COMP_CNT: 0
; COMPUTE_PGM_RSRC3_GFX90A:ACCUM_OFFSET: 0
; COMPUTE_PGM_RSRC3_GFX90A:TG_SPLIT: 0
	.section	.text._ZN7rocprim17ROCPRIM_400000_NS6detail17trampoline_kernelINS0_14default_configENS1_35adjacent_difference_config_selectorILb1EjEEZNS1_24adjacent_difference_implIS3_Lb1ELb0EPjS7_N6thrust23THRUST_200600_302600_NS5minusIjEEEE10hipError_tPvRmT2_T3_mT4_P12ihipStream_tbEUlT_E_NS1_11comp_targetILNS1_3genE10ELNS1_11target_archE1201ELNS1_3gpuE5ELNS1_3repE0EEENS1_30default_config_static_selectorELNS0_4arch9wavefront6targetE1EEEvT1_,"axG",@progbits,_ZN7rocprim17ROCPRIM_400000_NS6detail17trampoline_kernelINS0_14default_configENS1_35adjacent_difference_config_selectorILb1EjEEZNS1_24adjacent_difference_implIS3_Lb1ELb0EPjS7_N6thrust23THRUST_200600_302600_NS5minusIjEEEE10hipError_tPvRmT2_T3_mT4_P12ihipStream_tbEUlT_E_NS1_11comp_targetILNS1_3genE10ELNS1_11target_archE1201ELNS1_3gpuE5ELNS1_3repE0EEENS1_30default_config_static_selectorELNS0_4arch9wavefront6targetE1EEEvT1_,comdat
	.protected	_ZN7rocprim17ROCPRIM_400000_NS6detail17trampoline_kernelINS0_14default_configENS1_35adjacent_difference_config_selectorILb1EjEEZNS1_24adjacent_difference_implIS3_Lb1ELb0EPjS7_N6thrust23THRUST_200600_302600_NS5minusIjEEEE10hipError_tPvRmT2_T3_mT4_P12ihipStream_tbEUlT_E_NS1_11comp_targetILNS1_3genE10ELNS1_11target_archE1201ELNS1_3gpuE5ELNS1_3repE0EEENS1_30default_config_static_selectorELNS0_4arch9wavefront6targetE1EEEvT1_ ; -- Begin function _ZN7rocprim17ROCPRIM_400000_NS6detail17trampoline_kernelINS0_14default_configENS1_35adjacent_difference_config_selectorILb1EjEEZNS1_24adjacent_difference_implIS3_Lb1ELb0EPjS7_N6thrust23THRUST_200600_302600_NS5minusIjEEEE10hipError_tPvRmT2_T3_mT4_P12ihipStream_tbEUlT_E_NS1_11comp_targetILNS1_3genE10ELNS1_11target_archE1201ELNS1_3gpuE5ELNS1_3repE0EEENS1_30default_config_static_selectorELNS0_4arch9wavefront6targetE1EEEvT1_
	.globl	_ZN7rocprim17ROCPRIM_400000_NS6detail17trampoline_kernelINS0_14default_configENS1_35adjacent_difference_config_selectorILb1EjEEZNS1_24adjacent_difference_implIS3_Lb1ELb0EPjS7_N6thrust23THRUST_200600_302600_NS5minusIjEEEE10hipError_tPvRmT2_T3_mT4_P12ihipStream_tbEUlT_E_NS1_11comp_targetILNS1_3genE10ELNS1_11target_archE1201ELNS1_3gpuE5ELNS1_3repE0EEENS1_30default_config_static_selectorELNS0_4arch9wavefront6targetE1EEEvT1_
	.p2align	8
	.type	_ZN7rocprim17ROCPRIM_400000_NS6detail17trampoline_kernelINS0_14default_configENS1_35adjacent_difference_config_selectorILb1EjEEZNS1_24adjacent_difference_implIS3_Lb1ELb0EPjS7_N6thrust23THRUST_200600_302600_NS5minusIjEEEE10hipError_tPvRmT2_T3_mT4_P12ihipStream_tbEUlT_E_NS1_11comp_targetILNS1_3genE10ELNS1_11target_archE1201ELNS1_3gpuE5ELNS1_3repE0EEENS1_30default_config_static_selectorELNS0_4arch9wavefront6targetE1EEEvT1_,@function
_ZN7rocprim17ROCPRIM_400000_NS6detail17trampoline_kernelINS0_14default_configENS1_35adjacent_difference_config_selectorILb1EjEEZNS1_24adjacent_difference_implIS3_Lb1ELb0EPjS7_N6thrust23THRUST_200600_302600_NS5minusIjEEEE10hipError_tPvRmT2_T3_mT4_P12ihipStream_tbEUlT_E_NS1_11comp_targetILNS1_3genE10ELNS1_11target_archE1201ELNS1_3gpuE5ELNS1_3repE0EEENS1_30default_config_static_selectorELNS0_4arch9wavefront6targetE1EEEvT1_: ; @_ZN7rocprim17ROCPRIM_400000_NS6detail17trampoline_kernelINS0_14default_configENS1_35adjacent_difference_config_selectorILb1EjEEZNS1_24adjacent_difference_implIS3_Lb1ELb0EPjS7_N6thrust23THRUST_200600_302600_NS5minusIjEEEE10hipError_tPvRmT2_T3_mT4_P12ihipStream_tbEUlT_E_NS1_11comp_targetILNS1_3genE10ELNS1_11target_archE1201ELNS1_3gpuE5ELNS1_3repE0EEENS1_30default_config_static_selectorELNS0_4arch9wavefront6targetE1EEEvT1_
; %bb.0:
	.section	.rodata,"a",@progbits
	.p2align	6, 0x0
	.amdhsa_kernel _ZN7rocprim17ROCPRIM_400000_NS6detail17trampoline_kernelINS0_14default_configENS1_35adjacent_difference_config_selectorILb1EjEEZNS1_24adjacent_difference_implIS3_Lb1ELb0EPjS7_N6thrust23THRUST_200600_302600_NS5minusIjEEEE10hipError_tPvRmT2_T3_mT4_P12ihipStream_tbEUlT_E_NS1_11comp_targetILNS1_3genE10ELNS1_11target_archE1201ELNS1_3gpuE5ELNS1_3repE0EEENS1_30default_config_static_selectorELNS0_4arch9wavefront6targetE1EEEvT1_
		.amdhsa_group_segment_fixed_size 0
		.amdhsa_private_segment_fixed_size 0
		.amdhsa_kernarg_size 56
		.amdhsa_user_sgpr_count 2
		.amdhsa_user_sgpr_dispatch_ptr 0
		.amdhsa_user_sgpr_queue_ptr 0
		.amdhsa_user_sgpr_kernarg_segment_ptr 1
		.amdhsa_user_sgpr_dispatch_id 0
		.amdhsa_user_sgpr_kernarg_preload_length 0
		.amdhsa_user_sgpr_kernarg_preload_offset 0
		.amdhsa_user_sgpr_private_segment_size 0
		.amdhsa_uses_dynamic_stack 0
		.amdhsa_enable_private_segment 0
		.amdhsa_system_sgpr_workgroup_id_x 1
		.amdhsa_system_sgpr_workgroup_id_y 0
		.amdhsa_system_sgpr_workgroup_id_z 0
		.amdhsa_system_sgpr_workgroup_info 0
		.amdhsa_system_vgpr_workitem_id 0
		.amdhsa_next_free_vgpr 1
		.amdhsa_next_free_sgpr 0
		.amdhsa_accum_offset 4
		.amdhsa_reserve_vcc 0
		.amdhsa_float_round_mode_32 0
		.amdhsa_float_round_mode_16_64 0
		.amdhsa_float_denorm_mode_32 3
		.amdhsa_float_denorm_mode_16_64 3
		.amdhsa_dx10_clamp 1
		.amdhsa_ieee_mode 1
		.amdhsa_fp16_overflow 0
		.amdhsa_tg_split 0
		.amdhsa_exception_fp_ieee_invalid_op 0
		.amdhsa_exception_fp_denorm_src 0
		.amdhsa_exception_fp_ieee_div_zero 0
		.amdhsa_exception_fp_ieee_overflow 0
		.amdhsa_exception_fp_ieee_underflow 0
		.amdhsa_exception_fp_ieee_inexact 0
		.amdhsa_exception_int_div_zero 0
	.end_amdhsa_kernel
	.section	.text._ZN7rocprim17ROCPRIM_400000_NS6detail17trampoline_kernelINS0_14default_configENS1_35adjacent_difference_config_selectorILb1EjEEZNS1_24adjacent_difference_implIS3_Lb1ELb0EPjS7_N6thrust23THRUST_200600_302600_NS5minusIjEEEE10hipError_tPvRmT2_T3_mT4_P12ihipStream_tbEUlT_E_NS1_11comp_targetILNS1_3genE10ELNS1_11target_archE1201ELNS1_3gpuE5ELNS1_3repE0EEENS1_30default_config_static_selectorELNS0_4arch9wavefront6targetE1EEEvT1_,"axG",@progbits,_ZN7rocprim17ROCPRIM_400000_NS6detail17trampoline_kernelINS0_14default_configENS1_35adjacent_difference_config_selectorILb1EjEEZNS1_24adjacent_difference_implIS3_Lb1ELb0EPjS7_N6thrust23THRUST_200600_302600_NS5minusIjEEEE10hipError_tPvRmT2_T3_mT4_P12ihipStream_tbEUlT_E_NS1_11comp_targetILNS1_3genE10ELNS1_11target_archE1201ELNS1_3gpuE5ELNS1_3repE0EEENS1_30default_config_static_selectorELNS0_4arch9wavefront6targetE1EEEvT1_,comdat
.Lfunc_end383:
	.size	_ZN7rocprim17ROCPRIM_400000_NS6detail17trampoline_kernelINS0_14default_configENS1_35adjacent_difference_config_selectorILb1EjEEZNS1_24adjacent_difference_implIS3_Lb1ELb0EPjS7_N6thrust23THRUST_200600_302600_NS5minusIjEEEE10hipError_tPvRmT2_T3_mT4_P12ihipStream_tbEUlT_E_NS1_11comp_targetILNS1_3genE10ELNS1_11target_archE1201ELNS1_3gpuE5ELNS1_3repE0EEENS1_30default_config_static_selectorELNS0_4arch9wavefront6targetE1EEEvT1_, .Lfunc_end383-_ZN7rocprim17ROCPRIM_400000_NS6detail17trampoline_kernelINS0_14default_configENS1_35adjacent_difference_config_selectorILb1EjEEZNS1_24adjacent_difference_implIS3_Lb1ELb0EPjS7_N6thrust23THRUST_200600_302600_NS5minusIjEEEE10hipError_tPvRmT2_T3_mT4_P12ihipStream_tbEUlT_E_NS1_11comp_targetILNS1_3genE10ELNS1_11target_archE1201ELNS1_3gpuE5ELNS1_3repE0EEENS1_30default_config_static_selectorELNS0_4arch9wavefront6targetE1EEEvT1_
                                        ; -- End function
	.section	.AMDGPU.csdata,"",@progbits
; Kernel info:
; codeLenInByte = 0
; NumSgprs: 6
; NumVgprs: 0
; NumAgprs: 0
; TotalNumVgprs: 0
; ScratchSize: 0
; MemoryBound: 0
; FloatMode: 240
; IeeeMode: 1
; LDSByteSize: 0 bytes/workgroup (compile time only)
; SGPRBlocks: 0
; VGPRBlocks: 0
; NumSGPRsForWavesPerEU: 6
; NumVGPRsForWavesPerEU: 1
; AccumOffset: 4
; Occupancy: 8
; WaveLimiterHint : 0
; COMPUTE_PGM_RSRC2:SCRATCH_EN: 0
; COMPUTE_PGM_RSRC2:USER_SGPR: 2
; COMPUTE_PGM_RSRC2:TRAP_HANDLER: 0
; COMPUTE_PGM_RSRC2:TGID_X_EN: 1
; COMPUTE_PGM_RSRC2:TGID_Y_EN: 0
; COMPUTE_PGM_RSRC2:TGID_Z_EN: 0
; COMPUTE_PGM_RSRC2:TIDIG_COMP_CNT: 0
; COMPUTE_PGM_RSRC3_GFX90A:ACCUM_OFFSET: 0
; COMPUTE_PGM_RSRC3_GFX90A:TG_SPLIT: 0
	.section	.text._ZN7rocprim17ROCPRIM_400000_NS6detail17trampoline_kernelINS0_14default_configENS1_35adjacent_difference_config_selectorILb1EjEEZNS1_24adjacent_difference_implIS3_Lb1ELb0EPjS7_N6thrust23THRUST_200600_302600_NS5minusIjEEEE10hipError_tPvRmT2_T3_mT4_P12ihipStream_tbEUlT_E_NS1_11comp_targetILNS1_3genE5ELNS1_11target_archE942ELNS1_3gpuE9ELNS1_3repE0EEENS1_30default_config_static_selectorELNS0_4arch9wavefront6targetE1EEEvT1_,"axG",@progbits,_ZN7rocprim17ROCPRIM_400000_NS6detail17trampoline_kernelINS0_14default_configENS1_35adjacent_difference_config_selectorILb1EjEEZNS1_24adjacent_difference_implIS3_Lb1ELb0EPjS7_N6thrust23THRUST_200600_302600_NS5minusIjEEEE10hipError_tPvRmT2_T3_mT4_P12ihipStream_tbEUlT_E_NS1_11comp_targetILNS1_3genE5ELNS1_11target_archE942ELNS1_3gpuE9ELNS1_3repE0EEENS1_30default_config_static_selectorELNS0_4arch9wavefront6targetE1EEEvT1_,comdat
	.protected	_ZN7rocprim17ROCPRIM_400000_NS6detail17trampoline_kernelINS0_14default_configENS1_35adjacent_difference_config_selectorILb1EjEEZNS1_24adjacent_difference_implIS3_Lb1ELb0EPjS7_N6thrust23THRUST_200600_302600_NS5minusIjEEEE10hipError_tPvRmT2_T3_mT4_P12ihipStream_tbEUlT_E_NS1_11comp_targetILNS1_3genE5ELNS1_11target_archE942ELNS1_3gpuE9ELNS1_3repE0EEENS1_30default_config_static_selectorELNS0_4arch9wavefront6targetE1EEEvT1_ ; -- Begin function _ZN7rocprim17ROCPRIM_400000_NS6detail17trampoline_kernelINS0_14default_configENS1_35adjacent_difference_config_selectorILb1EjEEZNS1_24adjacent_difference_implIS3_Lb1ELb0EPjS7_N6thrust23THRUST_200600_302600_NS5minusIjEEEE10hipError_tPvRmT2_T3_mT4_P12ihipStream_tbEUlT_E_NS1_11comp_targetILNS1_3genE5ELNS1_11target_archE942ELNS1_3gpuE9ELNS1_3repE0EEENS1_30default_config_static_selectorELNS0_4arch9wavefront6targetE1EEEvT1_
	.globl	_ZN7rocprim17ROCPRIM_400000_NS6detail17trampoline_kernelINS0_14default_configENS1_35adjacent_difference_config_selectorILb1EjEEZNS1_24adjacent_difference_implIS3_Lb1ELb0EPjS7_N6thrust23THRUST_200600_302600_NS5minusIjEEEE10hipError_tPvRmT2_T3_mT4_P12ihipStream_tbEUlT_E_NS1_11comp_targetILNS1_3genE5ELNS1_11target_archE942ELNS1_3gpuE9ELNS1_3repE0EEENS1_30default_config_static_selectorELNS0_4arch9wavefront6targetE1EEEvT1_
	.p2align	8
	.type	_ZN7rocprim17ROCPRIM_400000_NS6detail17trampoline_kernelINS0_14default_configENS1_35adjacent_difference_config_selectorILb1EjEEZNS1_24adjacent_difference_implIS3_Lb1ELb0EPjS7_N6thrust23THRUST_200600_302600_NS5minusIjEEEE10hipError_tPvRmT2_T3_mT4_P12ihipStream_tbEUlT_E_NS1_11comp_targetILNS1_3genE5ELNS1_11target_archE942ELNS1_3gpuE9ELNS1_3repE0EEENS1_30default_config_static_selectorELNS0_4arch9wavefront6targetE1EEEvT1_,@function
_ZN7rocprim17ROCPRIM_400000_NS6detail17trampoline_kernelINS0_14default_configENS1_35adjacent_difference_config_selectorILb1EjEEZNS1_24adjacent_difference_implIS3_Lb1ELb0EPjS7_N6thrust23THRUST_200600_302600_NS5minusIjEEEE10hipError_tPvRmT2_T3_mT4_P12ihipStream_tbEUlT_E_NS1_11comp_targetILNS1_3genE5ELNS1_11target_archE942ELNS1_3gpuE9ELNS1_3repE0EEENS1_30default_config_static_selectorELNS0_4arch9wavefront6targetE1EEEvT1_: ; @_ZN7rocprim17ROCPRIM_400000_NS6detail17trampoline_kernelINS0_14default_configENS1_35adjacent_difference_config_selectorILb1EjEEZNS1_24adjacent_difference_implIS3_Lb1ELb0EPjS7_N6thrust23THRUST_200600_302600_NS5minusIjEEEE10hipError_tPvRmT2_T3_mT4_P12ihipStream_tbEUlT_E_NS1_11comp_targetILNS1_3genE5ELNS1_11target_archE942ELNS1_3gpuE9ELNS1_3repE0EEENS1_30default_config_static_selectorELNS0_4arch9wavefront6targetE1EEEvT1_
; %bb.0:
	s_load_dwordx8 s[4:11], s[0:1], 0x0
	s_load_dwordx4 s[12:15], s[0:1], 0x28
	s_mov_b32 s0, 0x59999780
	s_movk_i32 s16, 0xa00
	s_mov_b32 s3, 0
	s_waitcnt lgkmcnt(0)
	s_lshl_b64 s[6:7], s[6:7], 2
	s_add_u32 s26, s4, s6
	s_addc_u32 s27, s5, s7
	s_add_u32 s0, 0xe0, s0
	s_addc_u32 s5, 0, 0
	v_add_co_u32_e64 v1, s[0:1], s0, 2.0
	s_cmp_lg_u64 s[0:1], 0
	s_addc_u32 s0, s5, 0x199999
	v_readfirstlane_b32 s5, v1
	s_mul_hi_u32 s17, s5, 0xfffff600
	s_mul_i32 s1, s0, 0xfffff600
	s_sub_i32 s17, s17, s5
	s_add_i32 s17, s17, s1
	s_mul_i32 s19, s5, 0xfffff600
	s_mul_hi_u32 s1, s5, s17
	s_mul_i32 s18, s5, s17
	s_mul_hi_u32 s5, s5, s19
	s_add_u32 s5, s5, s18
	s_addc_u32 s1, 0, s1
	s_mul_hi_u32 s20, s0, s19
	s_mul_i32 s19, s0, s19
	s_add_u32 s5, s5, s19
	s_mul_hi_u32 s18, s0, s17
	s_addc_u32 s1, s1, s20
	s_addc_u32 s5, s18, 0
	s_mul_i32 s17, s0, s17
	s_add_u32 s1, s1, s17
	s_addc_u32 s5, 0, s5
	v_add_co_u32_e32 v1, vcc, s1, v1
	s_cmp_lg_u64 vcc, 0
	s_addc_u32 s0, s0, s5
	v_readfirstlane_b32 s17, v1
	s_mul_i32 s5, s10, s0
	s_mul_hi_u32 s18, s10, s17
	s_mul_hi_u32 s1, s10, s0
	s_add_u32 s5, s18, s5
	s_addc_u32 s1, 0, s1
	s_mul_hi_u32 s19, s11, s17
	s_mul_i32 s17, s11, s17
	s_add_u32 s5, s5, s17
	s_mul_hi_u32 s18, s11, s0
	s_addc_u32 s1, s1, s19
	s_addc_u32 s5, s18, 0
	s_mul_i32 s0, s11, s0
	s_add_u32 s0, s1, s0
	s_addc_u32 s1, 0, s5
	s_add_u32 s5, s0, 1
	s_addc_u32 s17, s1, 0
	s_add_u32 s18, s0, 2
	s_mul_i32 s20, s1, 0xa00
	s_mul_hi_u32 s21, s0, 0xa00
	s_addc_u32 s19, s1, 0
	s_add_i32 s21, s21, s20
	s_mul_i32 s20, s0, 0xa00
	v_mov_b32_e32 v1, s20
	v_sub_co_u32_e32 v1, vcc, s10, v1
	s_cmp_lg_u64 vcc, 0
	s_subb_u32 s20, s11, s21
	v_subrev_co_u32_e32 v2, vcc, s16, v1
	s_cmp_lg_u64 vcc, 0
	s_subb_u32 s16, s20, 0
	v_readfirstlane_b32 s21, v2
	s_cmpk_gt_u32 s21, 0x9ff
	s_cselect_b32 s21, -1, 0
	s_cmp_eq_u32 s16, 0
	s_cselect_b32 s16, s21, -1
	s_cmp_lg_u32 s16, 0
	s_cselect_b32 s16, s19, s17
	v_readfirstlane_b32 s17, v1
	s_cselect_b32 s5, s18, s5
	s_cmpk_gt_u32 s17, 0x9ff
	s_cselect_b32 s17, -1, 0
	s_cmp_eq_u32 s20, 0
	s_cselect_b32 s17, s17, -1
	s_cmp_lg_u32 s17, 0
	s_cselect_b32 s17, s16, s1
	s_cselect_b32 s5, s5, s0
	s_mul_i32 s0, s17, 0xa00
	s_mul_hi_u32 s1, s5, 0xa00
	s_add_i32 s1, s1, s0
	s_mul_i32 s0, s5, 0xa00
	s_sub_u32 s0, s10, s0
	s_subb_u32 s1, s11, s1
	s_cmp_lg_u64 s[0:1], 0
	s_cselect_b64 s[0:1], -1, 0
	v_cndmask_b32_e64 v1, 0, 1, s[0:1]
	s_mul_i32 s4, s2, 0xa00
	v_readfirstlane_b32 s0, v1
	s_add_u32 s16, s5, s0
	s_addc_u32 s17, s17, 0
	s_add_u32 s18, s14, s2
	s_addc_u32 s19, s15, 0
	s_add_u32 s20, s16, -1
	s_addc_u32 s21, s17, -1
	v_mov_b64_e32 v[2:3], s[20:21]
	v_cmp_ge_u64_e64 s[0:1], s[18:19], v[2:3]
	s_mov_b64 s[22:23], -1
	s_and_b64 vcc, exec, s[0:1]
	s_mul_i32 s11, s20, 0xfffff600
	s_cbranch_vccz .LBB384_12
; %bb.1:
	s_mov_b32 s5, s3
	s_add_i32 s28, s11, s10
	s_lshl_b64 s[22:23], s[4:5], 2
	s_add_u32 s22, s26, s22
	s_addc_u32 s23, s27, s23
	v_cmp_gt_u32_e32 vcc, s28, v0
                                        ; implicit-def: $vgpr2_vgpr3_vgpr4_vgpr5_vgpr6
	s_and_saveexec_b64 s[24:25], vcc
	s_cbranch_execz .LBB384_3
; %bb.2:
	v_lshlrev_b32_e32 v1, 2, v0
	global_load_dword v2, v1, s[22:23]
.LBB384_3:
	s_or_b64 exec, exec, s[24:25]
	v_or_b32_e32 v1, 0x200, v0
	v_cmp_gt_u32_e32 vcc, s28, v1
	s_and_saveexec_b64 s[24:25], vcc
	s_cbranch_execz .LBB384_5
; %bb.4:
	v_lshlrev_b32_e32 v1, 2, v0
	global_load_dword v3, v1, s[22:23] offset:2048
.LBB384_5:
	s_or_b64 exec, exec, s[24:25]
	v_or_b32_e32 v1, 0x400, v0
	v_cmp_gt_u32_e32 vcc, s28, v1
	s_and_saveexec_b64 s[24:25], vcc
	s_cbranch_execz .LBB384_7
; %bb.6:
	v_lshlrev_b32_e32 v1, 2, v1
	global_load_dword v4, v1, s[22:23]
.LBB384_7:
	s_or_b64 exec, exec, s[24:25]
	v_or_b32_e32 v1, 0x600, v0
	v_cmp_gt_u32_e32 vcc, s28, v1
	s_and_saveexec_b64 s[24:25], vcc
	s_cbranch_execz .LBB384_9
; %bb.8:
	v_lshlrev_b32_e32 v1, 2, v1
	global_load_dword v5, v1, s[22:23]
.LBB384_9:
	;; [unrolled: 9-line block ×3, first 2 shown]
	s_or_b64 exec, exec, s[24:25]
	v_lshlrev_b32_e32 v1, 2, v0
	s_mov_b64 s[22:23], 0
	s_waitcnt vmcnt(0)
	ds_write2st64_b32 v1, v2, v3 offset1:8
	ds_write2st64_b32 v1, v4, v5 offset0:16 offset1:24
	ds_write_b32 v1, v6 offset:8192
	s_waitcnt lgkmcnt(0)
	s_barrier
.LBB384_12:
	s_and_b64 vcc, exec, s[22:23]
	v_lshlrev_b32_e32 v20, 2, v0
	s_cbranch_vccz .LBB384_14
; %bb.13:
	s_mov_b32 s5, 0
	s_lshl_b64 s[22:23], s[4:5], 2
	s_add_u32 s22, s26, s22
	s_addc_u32 s23, s27, s23
	v_mov_b32_e32 v21, 0
	v_lshl_add_u64 v[2:3], s[22:23], 0, v[20:21]
	v_add_co_u32_e32 v4, vcc, 0x1000, v2
	global_load_dword v1, v20, s[22:23]
	global_load_dword v6, v20, s[22:23] offset:2048
	v_addc_co_u32_e32 v5, vcc, 0, v3, vcc
	global_load_dword v7, v[4:5], off
	global_load_dword v8, v[4:5], off offset:2048
	v_add_co_u32_e32 v2, vcc, 0x2000, v2
	s_nop 1
	v_addc_co_u32_e32 v3, vcc, 0, v3, vcc
	global_load_dword v2, v[2:3], off
	s_waitcnt vmcnt(3)
	ds_write2st64_b32 v20, v1, v6 offset1:8
	s_waitcnt vmcnt(1)
	ds_write2st64_b32 v20, v7, v8 offset0:16 offset1:24
	s_waitcnt vmcnt(0)
	ds_write_b32 v20, v2 offset:8192
	s_waitcnt lgkmcnt(0)
	s_barrier
.LBB384_14:
	v_mul_u32_u24_e32 v1, 5, v0
	v_lshlrev_b32_e32 v1, 2, v1
	ds_read_b32 v2, v1
	ds_read2_b32 v[22:23], v1 offset0:1 offset1:2
	ds_read2_b32 v[24:25], v1 offset0:3 offset1:4
	s_cmp_eq_u64 s[18:19], 0
	s_waitcnt lgkmcnt(0)
	s_barrier
	s_cbranch_scc1 .LBB384_19
; %bb.15:
	s_lshl_b64 s[14:15], s[14:15], 2
	s_add_u32 s5, s12, s14
	s_addc_u32 s12, s13, s15
	s_lshl_b64 s[2:3], s[2:3], 2
	s_add_u32 s2, s5, s2
	s_addc_u32 s3, s12, s3
	s_add_u32 s2, s2, -4
	s_addc_u32 s3, s3, -1
	s_load_dword s5, s[2:3], 0x0
	s_cmp_eq_u64 s[18:19], s[20:21]
	s_cbranch_scc1 .LBB384_20
; %bb.16:
	v_cmp_ne_u32_e32 vcc, 0, v0
	s_waitcnt lgkmcnt(0)
	v_mov_b32_e32 v1, s5
	ds_write_b32 v20, v25
	s_waitcnt lgkmcnt(0)
	s_barrier
	s_and_saveexec_b64 s[2:3], vcc
	s_cbranch_execz .LBB384_18
; %bb.17:
	v_add_u32_e32 v1, -4, v20
	ds_read_b32 v1, v1
.LBB384_18:
	s_or_b64 exec, exec, s[2:3]
	v_sub_u32_e32 v8, v25, v24
	v_sub_u32_e32 v9, v24, v23
	;; [unrolled: 1-line block ×4, first 2 shown]
	s_cbranch_execz .LBB384_21
	s_branch .LBB384_24
.LBB384_19:
                                        ; implicit-def: $vgpr14_vgpr15_vgpr16_vgpr17_vgpr18
                                        ; implicit-def: $vgpr10_vgpr11_vgpr12_vgpr13_vgpr14
	s_mov_b64 s[12:13], 0
                                        ; implicit-def: $vgpr6_vgpr7_vgpr8_vgpr9_vgpr10
                                        ; implicit-def: $vgpr1
                                        ; implicit-def: $vgpr4_vgpr5_vgpr6_vgpr7_vgpr8
	s_branch .LBB384_25
.LBB384_20:
                                        ; implicit-def: $vgpr14_vgpr15_vgpr16_vgpr17_vgpr18
                                        ; implicit-def: $vgpr10_vgpr11_vgpr12_vgpr13_vgpr14
                                        ; implicit-def: $vgpr1
                                        ; implicit-def: $vgpr6_vgpr7_vgpr8_vgpr9_vgpr10
                                        ; implicit-def: $vgpr4_vgpr5_vgpr6_vgpr7_vgpr8
.LBB384_21:
	s_waitcnt lgkmcnt(0)
	v_mul_u32_u24_e32 v1, 5, v0
	v_cmp_ne_u32_e32 vcc, 0, v0
	v_mov_b32_e32 v3, s5
	ds_write_b32 v20, v25
	s_waitcnt lgkmcnt(0)
	s_barrier
	s_and_saveexec_b64 s[2:3], vcc
	s_cbranch_execz .LBB384_23
; %bb.22:
	v_add_u32_e32 v3, -4, v20
	ds_read_b32 v3, v3
.LBB384_23:
	s_or_b64 exec, exec, s[2:3]
	s_mul_i32 s2, s18, 0xfffff600
	s_add_i32 s2, s2, s10
	v_add_u32_e32 v4, 4, v1
	v_sub_u32_e32 v5, v25, v24
	v_cmp_gt_u32_e32 vcc, s2, v4
	v_add_u32_e32 v4, 3, v1
	s_nop 0
	v_cndmask_b32_e32 v8, v25, v5, vcc
	v_sub_u32_e32 v5, v24, v23
	v_cmp_gt_u32_e32 vcc, s2, v4
	v_add_u32_e32 v4, 2, v1
	s_nop 0
	v_cndmask_b32_e32 v9, v24, v5, vcc
	;; [unrolled: 5-line block ×3, first 2 shown]
	v_sub_u32_e32 v5, v22, v2
	v_cmp_gt_u32_e32 vcc, s2, v4
	s_nop 1
	v_cndmask_b32_e32 v15, v22, v5, vcc
	v_cmp_gt_u32_e32 vcc, s2, v1
	s_waitcnt lgkmcnt(0)
	s_nop 0
	v_cndmask_b32_e32 v1, 0, v3, vcc
.LBB384_24:
	s_mov_b64 s[12:13], -1
	s_cbranch_execnz .LBB384_33
.LBB384_25:
	s_cmp_lg_u64 s[16:17], 1
	v_sub_u32_e32 v9, v24, v23
	v_sub_u32_e32 v8, v25, v24
	;; [unrolled: 1-line block ×4, first 2 shown]
	v_cmp_ne_u32_e32 vcc, 0, v0
	s_cbranch_scc0 .LBB384_29
; %bb.26:
	ds_write_b32 v20, v25
	s_waitcnt lgkmcnt(0)
	s_barrier
	s_waitcnt lgkmcnt(0)
                                        ; implicit-def: $vgpr1
	s_and_saveexec_b64 s[2:3], vcc
	s_cbranch_execz .LBB384_28
; %bb.27:
	v_add_u32_e32 v1, -4, v20
	ds_read_b32 v1, v1
	s_or_b64 s[12:13], s[12:13], exec
.LBB384_28:
	s_or_b64 exec, exec, s[2:3]
	s_branch .LBB384_33
.LBB384_29:
                                        ; implicit-def: $vgpr1
	s_cbranch_execz .LBB384_33
; %bb.30:
	v_mad_u32_u24 v3, v0, 5, 4
	v_cmp_gt_u32_e32 vcc, s10, v3
	v_mad_u32_u24 v3, v0, 5, 3
	s_waitcnt lgkmcnt(0)
	v_mul_u32_u24_e32 v1, 5, v0
	v_cndmask_b32_e32 v8, v25, v8, vcc
	v_cmp_gt_u32_e32 vcc, s10, v3
	v_mad_u32_u24 v3, v0, 5, 2
	v_cmp_gt_u32_e64 s[2:3], s10, v1
	v_cndmask_b32_e32 v9, v24, v9, vcc
	v_cmp_gt_u32_e32 vcc, s10, v3
	v_mad_u32_u24 v3, v0, 5, 1
	ds_write_b32 v20, v25
	v_cndmask_b32_e32 v12, v23, v12, vcc
	v_cmp_gt_u32_e32 vcc, s10, v3
	s_waitcnt lgkmcnt(0)
	s_barrier
	v_cndmask_b32_e32 v15, v22, v15, vcc
	v_cmp_ne_u32_e32 vcc, 0, v0
	s_and_b64 s[14:15], vcc, s[2:3]
	s_waitcnt lgkmcnt(0)
                                        ; implicit-def: $vgpr1
	s_and_saveexec_b64 s[2:3], s[14:15]
	s_cbranch_execz .LBB384_32
; %bb.31:
	v_add_u32_e32 v1, -4, v20
	ds_read_b32 v1, v1
	s_or_b64 s[12:13], s[12:13], exec
.LBB384_32:
	s_or_b64 exec, exec, s[2:3]
.LBB384_33:
	s_and_saveexec_b64 s[2:3], s[12:13]
	s_cbranch_execz .LBB384_35
; %bb.34:
	s_waitcnt lgkmcnt(0)
	v_sub_u32_e32 v2, v2, v1
.LBB384_35:
	s_or_b64 exec, exec, s[2:3]
	s_add_u32 s6, s8, s6
	s_addc_u32 s7, s9, s7
	s_and_b64 vcc, exec, s[0:1]
	s_waitcnt lgkmcnt(0)
	v_mul_u32_u24_e32 v1, 20, v0
	v_lshlrev_b32_e32 v3, 4, v0
	s_barrier
	s_cbranch_vccz .LBB384_45
; %bb.36:
	v_sub_u32_e32 v4, v1, v3
	s_mov_b32 s5, 0
	ds_write2_b32 v1, v2, v15 offset1:1
	ds_write2_b32 v1, v12, v9 offset0:2 offset1:3
	ds_write_b32 v1, v8 offset:16
	s_waitcnt lgkmcnt(0)
	s_barrier
	ds_read2st64_b32 v[10:11], v4 offset0:8 offset1:16
	ds_read2st64_b32 v[4:5], v4 offset0:24 offset1:32
	s_add_i32 s11, s11, s10
	s_lshl_b64 s[0:1], s[4:5], 2
	s_add_u32 s0, s6, s0
	s_addc_u32 s1, s7, s1
	v_mov_b32_e32 v21, 0
	v_lshl_add_u64 v[6:7], s[0:1], 0, v[20:21]
	v_cmp_gt_u32_e32 vcc, s11, v0
	s_and_saveexec_b64 s[0:1], vcc
	s_cbranch_execz .LBB384_38
; %bb.37:
	v_sub_u32_e32 v13, 0, v3
	v_add_u32_e32 v13, v1, v13
	ds_read_b32 v13, v13
	s_waitcnt lgkmcnt(0)
	global_store_dword v[6:7], v13, off
.LBB384_38:
	s_or_b64 exec, exec, s[0:1]
	v_or_b32_e32 v13, 0x200, v0
	v_cmp_gt_u32_e32 vcc, s11, v13
	s_and_saveexec_b64 s[0:1], vcc
	s_cbranch_execz .LBB384_40
; %bb.39:
	s_waitcnt lgkmcnt(1)
	global_store_dword v[6:7], v10, off offset:2048
.LBB384_40:
	s_or_b64 exec, exec, s[0:1]
	s_waitcnt lgkmcnt(1)
	v_or_b32_e32 v10, 0x400, v0
	v_cmp_gt_u32_e32 vcc, s11, v10
	s_and_saveexec_b64 s[0:1], vcc
	s_cbranch_execz .LBB384_42
; %bb.41:
	v_add_co_u32_e32 v16, vcc, 0x1000, v6
	s_nop 1
	v_addc_co_u32_e32 v17, vcc, 0, v7, vcc
	global_store_dword v[16:17], v11, off
.LBB384_42:
	s_or_b64 exec, exec, s[0:1]
	v_or_b32_e32 v10, 0x600, v0
	v_cmp_gt_u32_e32 vcc, s11, v10
	s_and_saveexec_b64 s[0:1], vcc
	s_cbranch_execz .LBB384_44
; %bb.43:
	v_add_co_u32_e32 v10, vcc, 0x1000, v6
	s_nop 1
	v_addc_co_u32_e32 v11, vcc, 0, v7, vcc
	s_waitcnt lgkmcnt(0)
	global_store_dword v[10:11], v4, off offset:2048
.LBB384_44:
	s_or_b64 exec, exec, s[0:1]
	v_or_b32_e32 v0, 0x800, v0
	v_cmp_gt_u32_e64 s[0:1], s11, v0
	s_branch .LBB384_47
.LBB384_45:
	s_mov_b64 s[0:1], 0
                                        ; implicit-def: $vgpr5
                                        ; implicit-def: $vgpr6_vgpr7
	s_cbranch_execz .LBB384_47
; %bb.46:
	s_mov_b32 s5, 0
	s_lshl_b64 s[2:3], s[4:5], 2
	s_waitcnt lgkmcnt(0)
	v_sub_u32_e32 v4, v1, v3
	s_add_u32 s2, s6, s2
	ds_write2_b32 v1, v2, v15 offset1:1
	ds_write2_b32 v1, v12, v9 offset0:2 offset1:3
	ds_write_b32 v1, v8 offset:16
	s_waitcnt lgkmcnt(0)
	s_barrier
	ds_read2st64_b32 v[0:1], v4 offset1:8
	ds_read2st64_b32 v[2:3], v4 offset0:16 offset1:24
	ds_read_b32 v5, v4 offset:8192
	s_addc_u32 s3, s7, s3
	v_mov_b32_e32 v21, 0
	v_lshl_add_u64 v[6:7], s[2:3], 0, v[20:21]
	s_waitcnt lgkmcnt(2)
	global_store_dword v20, v0, s[2:3]
	global_store_dword v20, v1, s[2:3] offset:2048
	v_add_co_u32_e32 v0, vcc, 0x1000, v6
	s_or_b64 s[0:1], s[0:1], exec
	s_nop 0
	v_addc_co_u32_e32 v1, vcc, 0, v7, vcc
	s_waitcnt lgkmcnt(1)
	global_store_dword v[0:1], v2, off
	global_store_dword v[0:1], v3, off offset:2048
.LBB384_47:
	s_and_saveexec_b64 s[2:3], s[0:1]
	s_cbranch_execnz .LBB384_49
; %bb.48:
	s_endpgm
.LBB384_49:
	v_add_co_u32_e32 v0, vcc, 0x2000, v6
	s_nop 1
	v_addc_co_u32_e32 v1, vcc, 0, v7, vcc
	s_waitcnt lgkmcnt(0)
	global_store_dword v[0:1], v5, off
	s_endpgm
	.section	.rodata,"a",@progbits
	.p2align	6, 0x0
	.amdhsa_kernel _ZN7rocprim17ROCPRIM_400000_NS6detail17trampoline_kernelINS0_14default_configENS1_35adjacent_difference_config_selectorILb1EjEEZNS1_24adjacent_difference_implIS3_Lb1ELb0EPjS7_N6thrust23THRUST_200600_302600_NS5minusIjEEEE10hipError_tPvRmT2_T3_mT4_P12ihipStream_tbEUlT_E_NS1_11comp_targetILNS1_3genE5ELNS1_11target_archE942ELNS1_3gpuE9ELNS1_3repE0EEENS1_30default_config_static_selectorELNS0_4arch9wavefront6targetE1EEEvT1_
		.amdhsa_group_segment_fixed_size 10240
		.amdhsa_private_segment_fixed_size 0
		.amdhsa_kernarg_size 56
		.amdhsa_user_sgpr_count 2
		.amdhsa_user_sgpr_dispatch_ptr 0
		.amdhsa_user_sgpr_queue_ptr 0
		.amdhsa_user_sgpr_kernarg_segment_ptr 1
		.amdhsa_user_sgpr_dispatch_id 0
		.amdhsa_user_sgpr_kernarg_preload_length 0
		.amdhsa_user_sgpr_kernarg_preload_offset 0
		.amdhsa_user_sgpr_private_segment_size 0
		.amdhsa_uses_dynamic_stack 0
		.amdhsa_enable_private_segment 0
		.amdhsa_system_sgpr_workgroup_id_x 1
		.amdhsa_system_sgpr_workgroup_id_y 0
		.amdhsa_system_sgpr_workgroup_id_z 0
		.amdhsa_system_sgpr_workgroup_info 0
		.amdhsa_system_vgpr_workitem_id 0
		.amdhsa_next_free_vgpr 26
		.amdhsa_next_free_sgpr 29
		.amdhsa_accum_offset 28
		.amdhsa_reserve_vcc 1
		.amdhsa_float_round_mode_32 0
		.amdhsa_float_round_mode_16_64 0
		.amdhsa_float_denorm_mode_32 3
		.amdhsa_float_denorm_mode_16_64 3
		.amdhsa_dx10_clamp 1
		.amdhsa_ieee_mode 1
		.amdhsa_fp16_overflow 0
		.amdhsa_tg_split 0
		.amdhsa_exception_fp_ieee_invalid_op 0
		.amdhsa_exception_fp_denorm_src 0
		.amdhsa_exception_fp_ieee_div_zero 0
		.amdhsa_exception_fp_ieee_overflow 0
		.amdhsa_exception_fp_ieee_underflow 0
		.amdhsa_exception_fp_ieee_inexact 0
		.amdhsa_exception_int_div_zero 0
	.end_amdhsa_kernel
	.section	.text._ZN7rocprim17ROCPRIM_400000_NS6detail17trampoline_kernelINS0_14default_configENS1_35adjacent_difference_config_selectorILb1EjEEZNS1_24adjacent_difference_implIS3_Lb1ELb0EPjS7_N6thrust23THRUST_200600_302600_NS5minusIjEEEE10hipError_tPvRmT2_T3_mT4_P12ihipStream_tbEUlT_E_NS1_11comp_targetILNS1_3genE5ELNS1_11target_archE942ELNS1_3gpuE9ELNS1_3repE0EEENS1_30default_config_static_selectorELNS0_4arch9wavefront6targetE1EEEvT1_,"axG",@progbits,_ZN7rocprim17ROCPRIM_400000_NS6detail17trampoline_kernelINS0_14default_configENS1_35adjacent_difference_config_selectorILb1EjEEZNS1_24adjacent_difference_implIS3_Lb1ELb0EPjS7_N6thrust23THRUST_200600_302600_NS5minusIjEEEE10hipError_tPvRmT2_T3_mT4_P12ihipStream_tbEUlT_E_NS1_11comp_targetILNS1_3genE5ELNS1_11target_archE942ELNS1_3gpuE9ELNS1_3repE0EEENS1_30default_config_static_selectorELNS0_4arch9wavefront6targetE1EEEvT1_,comdat
.Lfunc_end384:
	.size	_ZN7rocprim17ROCPRIM_400000_NS6detail17trampoline_kernelINS0_14default_configENS1_35adjacent_difference_config_selectorILb1EjEEZNS1_24adjacent_difference_implIS3_Lb1ELb0EPjS7_N6thrust23THRUST_200600_302600_NS5minusIjEEEE10hipError_tPvRmT2_T3_mT4_P12ihipStream_tbEUlT_E_NS1_11comp_targetILNS1_3genE5ELNS1_11target_archE942ELNS1_3gpuE9ELNS1_3repE0EEENS1_30default_config_static_selectorELNS0_4arch9wavefront6targetE1EEEvT1_, .Lfunc_end384-_ZN7rocprim17ROCPRIM_400000_NS6detail17trampoline_kernelINS0_14default_configENS1_35adjacent_difference_config_selectorILb1EjEEZNS1_24adjacent_difference_implIS3_Lb1ELb0EPjS7_N6thrust23THRUST_200600_302600_NS5minusIjEEEE10hipError_tPvRmT2_T3_mT4_P12ihipStream_tbEUlT_E_NS1_11comp_targetILNS1_3genE5ELNS1_11target_archE942ELNS1_3gpuE9ELNS1_3repE0EEENS1_30default_config_static_selectorELNS0_4arch9wavefront6targetE1EEEvT1_
                                        ; -- End function
	.section	.AMDGPU.csdata,"",@progbits
; Kernel info:
; codeLenInByte = 2004
; NumSgprs: 35
; NumVgprs: 26
; NumAgprs: 0
; TotalNumVgprs: 26
; ScratchSize: 0
; MemoryBound: 0
; FloatMode: 240
; IeeeMode: 1
; LDSByteSize: 10240 bytes/workgroup (compile time only)
; SGPRBlocks: 4
; VGPRBlocks: 3
; NumSGPRsForWavesPerEU: 35
; NumVGPRsForWavesPerEU: 26
; AccumOffset: 28
; Occupancy: 8
; WaveLimiterHint : 1
; COMPUTE_PGM_RSRC2:SCRATCH_EN: 0
; COMPUTE_PGM_RSRC2:USER_SGPR: 2
; COMPUTE_PGM_RSRC2:TRAP_HANDLER: 0
; COMPUTE_PGM_RSRC2:TGID_X_EN: 1
; COMPUTE_PGM_RSRC2:TGID_Y_EN: 0
; COMPUTE_PGM_RSRC2:TGID_Z_EN: 0
; COMPUTE_PGM_RSRC2:TIDIG_COMP_CNT: 0
; COMPUTE_PGM_RSRC3_GFX90A:ACCUM_OFFSET: 6
; COMPUTE_PGM_RSRC3_GFX90A:TG_SPLIT: 0
	.section	.text._ZN7rocprim17ROCPRIM_400000_NS6detail17trampoline_kernelINS0_14default_configENS1_35adjacent_difference_config_selectorILb1EjEEZNS1_24adjacent_difference_implIS3_Lb1ELb0EPjS7_N6thrust23THRUST_200600_302600_NS5minusIjEEEE10hipError_tPvRmT2_T3_mT4_P12ihipStream_tbEUlT_E_NS1_11comp_targetILNS1_3genE4ELNS1_11target_archE910ELNS1_3gpuE8ELNS1_3repE0EEENS1_30default_config_static_selectorELNS0_4arch9wavefront6targetE1EEEvT1_,"axG",@progbits,_ZN7rocprim17ROCPRIM_400000_NS6detail17trampoline_kernelINS0_14default_configENS1_35adjacent_difference_config_selectorILb1EjEEZNS1_24adjacent_difference_implIS3_Lb1ELb0EPjS7_N6thrust23THRUST_200600_302600_NS5minusIjEEEE10hipError_tPvRmT2_T3_mT4_P12ihipStream_tbEUlT_E_NS1_11comp_targetILNS1_3genE4ELNS1_11target_archE910ELNS1_3gpuE8ELNS1_3repE0EEENS1_30default_config_static_selectorELNS0_4arch9wavefront6targetE1EEEvT1_,comdat
	.protected	_ZN7rocprim17ROCPRIM_400000_NS6detail17trampoline_kernelINS0_14default_configENS1_35adjacent_difference_config_selectorILb1EjEEZNS1_24adjacent_difference_implIS3_Lb1ELb0EPjS7_N6thrust23THRUST_200600_302600_NS5minusIjEEEE10hipError_tPvRmT2_T3_mT4_P12ihipStream_tbEUlT_E_NS1_11comp_targetILNS1_3genE4ELNS1_11target_archE910ELNS1_3gpuE8ELNS1_3repE0EEENS1_30default_config_static_selectorELNS0_4arch9wavefront6targetE1EEEvT1_ ; -- Begin function _ZN7rocprim17ROCPRIM_400000_NS6detail17trampoline_kernelINS0_14default_configENS1_35adjacent_difference_config_selectorILb1EjEEZNS1_24adjacent_difference_implIS3_Lb1ELb0EPjS7_N6thrust23THRUST_200600_302600_NS5minusIjEEEE10hipError_tPvRmT2_T3_mT4_P12ihipStream_tbEUlT_E_NS1_11comp_targetILNS1_3genE4ELNS1_11target_archE910ELNS1_3gpuE8ELNS1_3repE0EEENS1_30default_config_static_selectorELNS0_4arch9wavefront6targetE1EEEvT1_
	.globl	_ZN7rocprim17ROCPRIM_400000_NS6detail17trampoline_kernelINS0_14default_configENS1_35adjacent_difference_config_selectorILb1EjEEZNS1_24adjacent_difference_implIS3_Lb1ELb0EPjS7_N6thrust23THRUST_200600_302600_NS5minusIjEEEE10hipError_tPvRmT2_T3_mT4_P12ihipStream_tbEUlT_E_NS1_11comp_targetILNS1_3genE4ELNS1_11target_archE910ELNS1_3gpuE8ELNS1_3repE0EEENS1_30default_config_static_selectorELNS0_4arch9wavefront6targetE1EEEvT1_
	.p2align	8
	.type	_ZN7rocprim17ROCPRIM_400000_NS6detail17trampoline_kernelINS0_14default_configENS1_35adjacent_difference_config_selectorILb1EjEEZNS1_24adjacent_difference_implIS3_Lb1ELb0EPjS7_N6thrust23THRUST_200600_302600_NS5minusIjEEEE10hipError_tPvRmT2_T3_mT4_P12ihipStream_tbEUlT_E_NS1_11comp_targetILNS1_3genE4ELNS1_11target_archE910ELNS1_3gpuE8ELNS1_3repE0EEENS1_30default_config_static_selectorELNS0_4arch9wavefront6targetE1EEEvT1_,@function
_ZN7rocprim17ROCPRIM_400000_NS6detail17trampoline_kernelINS0_14default_configENS1_35adjacent_difference_config_selectorILb1EjEEZNS1_24adjacent_difference_implIS3_Lb1ELb0EPjS7_N6thrust23THRUST_200600_302600_NS5minusIjEEEE10hipError_tPvRmT2_T3_mT4_P12ihipStream_tbEUlT_E_NS1_11comp_targetILNS1_3genE4ELNS1_11target_archE910ELNS1_3gpuE8ELNS1_3repE0EEENS1_30default_config_static_selectorELNS0_4arch9wavefront6targetE1EEEvT1_: ; @_ZN7rocprim17ROCPRIM_400000_NS6detail17trampoline_kernelINS0_14default_configENS1_35adjacent_difference_config_selectorILb1EjEEZNS1_24adjacent_difference_implIS3_Lb1ELb0EPjS7_N6thrust23THRUST_200600_302600_NS5minusIjEEEE10hipError_tPvRmT2_T3_mT4_P12ihipStream_tbEUlT_E_NS1_11comp_targetILNS1_3genE4ELNS1_11target_archE910ELNS1_3gpuE8ELNS1_3repE0EEENS1_30default_config_static_selectorELNS0_4arch9wavefront6targetE1EEEvT1_
; %bb.0:
	.section	.rodata,"a",@progbits
	.p2align	6, 0x0
	.amdhsa_kernel _ZN7rocprim17ROCPRIM_400000_NS6detail17trampoline_kernelINS0_14default_configENS1_35adjacent_difference_config_selectorILb1EjEEZNS1_24adjacent_difference_implIS3_Lb1ELb0EPjS7_N6thrust23THRUST_200600_302600_NS5minusIjEEEE10hipError_tPvRmT2_T3_mT4_P12ihipStream_tbEUlT_E_NS1_11comp_targetILNS1_3genE4ELNS1_11target_archE910ELNS1_3gpuE8ELNS1_3repE0EEENS1_30default_config_static_selectorELNS0_4arch9wavefront6targetE1EEEvT1_
		.amdhsa_group_segment_fixed_size 0
		.amdhsa_private_segment_fixed_size 0
		.amdhsa_kernarg_size 56
		.amdhsa_user_sgpr_count 2
		.amdhsa_user_sgpr_dispatch_ptr 0
		.amdhsa_user_sgpr_queue_ptr 0
		.amdhsa_user_sgpr_kernarg_segment_ptr 1
		.amdhsa_user_sgpr_dispatch_id 0
		.amdhsa_user_sgpr_kernarg_preload_length 0
		.amdhsa_user_sgpr_kernarg_preload_offset 0
		.amdhsa_user_sgpr_private_segment_size 0
		.amdhsa_uses_dynamic_stack 0
		.amdhsa_enable_private_segment 0
		.amdhsa_system_sgpr_workgroup_id_x 1
		.amdhsa_system_sgpr_workgroup_id_y 0
		.amdhsa_system_sgpr_workgroup_id_z 0
		.amdhsa_system_sgpr_workgroup_info 0
		.amdhsa_system_vgpr_workitem_id 0
		.amdhsa_next_free_vgpr 1
		.amdhsa_next_free_sgpr 0
		.amdhsa_accum_offset 4
		.amdhsa_reserve_vcc 0
		.amdhsa_float_round_mode_32 0
		.amdhsa_float_round_mode_16_64 0
		.amdhsa_float_denorm_mode_32 3
		.amdhsa_float_denorm_mode_16_64 3
		.amdhsa_dx10_clamp 1
		.amdhsa_ieee_mode 1
		.amdhsa_fp16_overflow 0
		.amdhsa_tg_split 0
		.amdhsa_exception_fp_ieee_invalid_op 0
		.amdhsa_exception_fp_denorm_src 0
		.amdhsa_exception_fp_ieee_div_zero 0
		.amdhsa_exception_fp_ieee_overflow 0
		.amdhsa_exception_fp_ieee_underflow 0
		.amdhsa_exception_fp_ieee_inexact 0
		.amdhsa_exception_int_div_zero 0
	.end_amdhsa_kernel
	.section	.text._ZN7rocprim17ROCPRIM_400000_NS6detail17trampoline_kernelINS0_14default_configENS1_35adjacent_difference_config_selectorILb1EjEEZNS1_24adjacent_difference_implIS3_Lb1ELb0EPjS7_N6thrust23THRUST_200600_302600_NS5minusIjEEEE10hipError_tPvRmT2_T3_mT4_P12ihipStream_tbEUlT_E_NS1_11comp_targetILNS1_3genE4ELNS1_11target_archE910ELNS1_3gpuE8ELNS1_3repE0EEENS1_30default_config_static_selectorELNS0_4arch9wavefront6targetE1EEEvT1_,"axG",@progbits,_ZN7rocprim17ROCPRIM_400000_NS6detail17trampoline_kernelINS0_14default_configENS1_35adjacent_difference_config_selectorILb1EjEEZNS1_24adjacent_difference_implIS3_Lb1ELb0EPjS7_N6thrust23THRUST_200600_302600_NS5minusIjEEEE10hipError_tPvRmT2_T3_mT4_P12ihipStream_tbEUlT_E_NS1_11comp_targetILNS1_3genE4ELNS1_11target_archE910ELNS1_3gpuE8ELNS1_3repE0EEENS1_30default_config_static_selectorELNS0_4arch9wavefront6targetE1EEEvT1_,comdat
.Lfunc_end385:
	.size	_ZN7rocprim17ROCPRIM_400000_NS6detail17trampoline_kernelINS0_14default_configENS1_35adjacent_difference_config_selectorILb1EjEEZNS1_24adjacent_difference_implIS3_Lb1ELb0EPjS7_N6thrust23THRUST_200600_302600_NS5minusIjEEEE10hipError_tPvRmT2_T3_mT4_P12ihipStream_tbEUlT_E_NS1_11comp_targetILNS1_3genE4ELNS1_11target_archE910ELNS1_3gpuE8ELNS1_3repE0EEENS1_30default_config_static_selectorELNS0_4arch9wavefront6targetE1EEEvT1_, .Lfunc_end385-_ZN7rocprim17ROCPRIM_400000_NS6detail17trampoline_kernelINS0_14default_configENS1_35adjacent_difference_config_selectorILb1EjEEZNS1_24adjacent_difference_implIS3_Lb1ELb0EPjS7_N6thrust23THRUST_200600_302600_NS5minusIjEEEE10hipError_tPvRmT2_T3_mT4_P12ihipStream_tbEUlT_E_NS1_11comp_targetILNS1_3genE4ELNS1_11target_archE910ELNS1_3gpuE8ELNS1_3repE0EEENS1_30default_config_static_selectorELNS0_4arch9wavefront6targetE1EEEvT1_
                                        ; -- End function
	.section	.AMDGPU.csdata,"",@progbits
; Kernel info:
; codeLenInByte = 0
; NumSgprs: 6
; NumVgprs: 0
; NumAgprs: 0
; TotalNumVgprs: 0
; ScratchSize: 0
; MemoryBound: 0
; FloatMode: 240
; IeeeMode: 1
; LDSByteSize: 0 bytes/workgroup (compile time only)
; SGPRBlocks: 0
; VGPRBlocks: 0
; NumSGPRsForWavesPerEU: 6
; NumVGPRsForWavesPerEU: 1
; AccumOffset: 4
; Occupancy: 8
; WaveLimiterHint : 0
; COMPUTE_PGM_RSRC2:SCRATCH_EN: 0
; COMPUTE_PGM_RSRC2:USER_SGPR: 2
; COMPUTE_PGM_RSRC2:TRAP_HANDLER: 0
; COMPUTE_PGM_RSRC2:TGID_X_EN: 1
; COMPUTE_PGM_RSRC2:TGID_Y_EN: 0
; COMPUTE_PGM_RSRC2:TGID_Z_EN: 0
; COMPUTE_PGM_RSRC2:TIDIG_COMP_CNT: 0
; COMPUTE_PGM_RSRC3_GFX90A:ACCUM_OFFSET: 0
; COMPUTE_PGM_RSRC3_GFX90A:TG_SPLIT: 0
	.section	.text._ZN7rocprim17ROCPRIM_400000_NS6detail17trampoline_kernelINS0_14default_configENS1_35adjacent_difference_config_selectorILb1EjEEZNS1_24adjacent_difference_implIS3_Lb1ELb0EPjS7_N6thrust23THRUST_200600_302600_NS5minusIjEEEE10hipError_tPvRmT2_T3_mT4_P12ihipStream_tbEUlT_E_NS1_11comp_targetILNS1_3genE3ELNS1_11target_archE908ELNS1_3gpuE7ELNS1_3repE0EEENS1_30default_config_static_selectorELNS0_4arch9wavefront6targetE1EEEvT1_,"axG",@progbits,_ZN7rocprim17ROCPRIM_400000_NS6detail17trampoline_kernelINS0_14default_configENS1_35adjacent_difference_config_selectorILb1EjEEZNS1_24adjacent_difference_implIS3_Lb1ELb0EPjS7_N6thrust23THRUST_200600_302600_NS5minusIjEEEE10hipError_tPvRmT2_T3_mT4_P12ihipStream_tbEUlT_E_NS1_11comp_targetILNS1_3genE3ELNS1_11target_archE908ELNS1_3gpuE7ELNS1_3repE0EEENS1_30default_config_static_selectorELNS0_4arch9wavefront6targetE1EEEvT1_,comdat
	.protected	_ZN7rocprim17ROCPRIM_400000_NS6detail17trampoline_kernelINS0_14default_configENS1_35adjacent_difference_config_selectorILb1EjEEZNS1_24adjacent_difference_implIS3_Lb1ELb0EPjS7_N6thrust23THRUST_200600_302600_NS5minusIjEEEE10hipError_tPvRmT2_T3_mT4_P12ihipStream_tbEUlT_E_NS1_11comp_targetILNS1_3genE3ELNS1_11target_archE908ELNS1_3gpuE7ELNS1_3repE0EEENS1_30default_config_static_selectorELNS0_4arch9wavefront6targetE1EEEvT1_ ; -- Begin function _ZN7rocprim17ROCPRIM_400000_NS6detail17trampoline_kernelINS0_14default_configENS1_35adjacent_difference_config_selectorILb1EjEEZNS1_24adjacent_difference_implIS3_Lb1ELb0EPjS7_N6thrust23THRUST_200600_302600_NS5minusIjEEEE10hipError_tPvRmT2_T3_mT4_P12ihipStream_tbEUlT_E_NS1_11comp_targetILNS1_3genE3ELNS1_11target_archE908ELNS1_3gpuE7ELNS1_3repE0EEENS1_30default_config_static_selectorELNS0_4arch9wavefront6targetE1EEEvT1_
	.globl	_ZN7rocprim17ROCPRIM_400000_NS6detail17trampoline_kernelINS0_14default_configENS1_35adjacent_difference_config_selectorILb1EjEEZNS1_24adjacent_difference_implIS3_Lb1ELb0EPjS7_N6thrust23THRUST_200600_302600_NS5minusIjEEEE10hipError_tPvRmT2_T3_mT4_P12ihipStream_tbEUlT_E_NS1_11comp_targetILNS1_3genE3ELNS1_11target_archE908ELNS1_3gpuE7ELNS1_3repE0EEENS1_30default_config_static_selectorELNS0_4arch9wavefront6targetE1EEEvT1_
	.p2align	8
	.type	_ZN7rocprim17ROCPRIM_400000_NS6detail17trampoline_kernelINS0_14default_configENS1_35adjacent_difference_config_selectorILb1EjEEZNS1_24adjacent_difference_implIS3_Lb1ELb0EPjS7_N6thrust23THRUST_200600_302600_NS5minusIjEEEE10hipError_tPvRmT2_T3_mT4_P12ihipStream_tbEUlT_E_NS1_11comp_targetILNS1_3genE3ELNS1_11target_archE908ELNS1_3gpuE7ELNS1_3repE0EEENS1_30default_config_static_selectorELNS0_4arch9wavefront6targetE1EEEvT1_,@function
_ZN7rocprim17ROCPRIM_400000_NS6detail17trampoline_kernelINS0_14default_configENS1_35adjacent_difference_config_selectorILb1EjEEZNS1_24adjacent_difference_implIS3_Lb1ELb0EPjS7_N6thrust23THRUST_200600_302600_NS5minusIjEEEE10hipError_tPvRmT2_T3_mT4_P12ihipStream_tbEUlT_E_NS1_11comp_targetILNS1_3genE3ELNS1_11target_archE908ELNS1_3gpuE7ELNS1_3repE0EEENS1_30default_config_static_selectorELNS0_4arch9wavefront6targetE1EEEvT1_: ; @_ZN7rocprim17ROCPRIM_400000_NS6detail17trampoline_kernelINS0_14default_configENS1_35adjacent_difference_config_selectorILb1EjEEZNS1_24adjacent_difference_implIS3_Lb1ELb0EPjS7_N6thrust23THRUST_200600_302600_NS5minusIjEEEE10hipError_tPvRmT2_T3_mT4_P12ihipStream_tbEUlT_E_NS1_11comp_targetILNS1_3genE3ELNS1_11target_archE908ELNS1_3gpuE7ELNS1_3repE0EEENS1_30default_config_static_selectorELNS0_4arch9wavefront6targetE1EEEvT1_
; %bb.0:
	.section	.rodata,"a",@progbits
	.p2align	6, 0x0
	.amdhsa_kernel _ZN7rocprim17ROCPRIM_400000_NS6detail17trampoline_kernelINS0_14default_configENS1_35adjacent_difference_config_selectorILb1EjEEZNS1_24adjacent_difference_implIS3_Lb1ELb0EPjS7_N6thrust23THRUST_200600_302600_NS5minusIjEEEE10hipError_tPvRmT2_T3_mT4_P12ihipStream_tbEUlT_E_NS1_11comp_targetILNS1_3genE3ELNS1_11target_archE908ELNS1_3gpuE7ELNS1_3repE0EEENS1_30default_config_static_selectorELNS0_4arch9wavefront6targetE1EEEvT1_
		.amdhsa_group_segment_fixed_size 0
		.amdhsa_private_segment_fixed_size 0
		.amdhsa_kernarg_size 56
		.amdhsa_user_sgpr_count 2
		.amdhsa_user_sgpr_dispatch_ptr 0
		.amdhsa_user_sgpr_queue_ptr 0
		.amdhsa_user_sgpr_kernarg_segment_ptr 1
		.amdhsa_user_sgpr_dispatch_id 0
		.amdhsa_user_sgpr_kernarg_preload_length 0
		.amdhsa_user_sgpr_kernarg_preload_offset 0
		.amdhsa_user_sgpr_private_segment_size 0
		.amdhsa_uses_dynamic_stack 0
		.amdhsa_enable_private_segment 0
		.amdhsa_system_sgpr_workgroup_id_x 1
		.amdhsa_system_sgpr_workgroup_id_y 0
		.amdhsa_system_sgpr_workgroup_id_z 0
		.amdhsa_system_sgpr_workgroup_info 0
		.amdhsa_system_vgpr_workitem_id 0
		.amdhsa_next_free_vgpr 1
		.amdhsa_next_free_sgpr 0
		.amdhsa_accum_offset 4
		.amdhsa_reserve_vcc 0
		.amdhsa_float_round_mode_32 0
		.amdhsa_float_round_mode_16_64 0
		.amdhsa_float_denorm_mode_32 3
		.amdhsa_float_denorm_mode_16_64 3
		.amdhsa_dx10_clamp 1
		.amdhsa_ieee_mode 1
		.amdhsa_fp16_overflow 0
		.amdhsa_tg_split 0
		.amdhsa_exception_fp_ieee_invalid_op 0
		.amdhsa_exception_fp_denorm_src 0
		.amdhsa_exception_fp_ieee_div_zero 0
		.amdhsa_exception_fp_ieee_overflow 0
		.amdhsa_exception_fp_ieee_underflow 0
		.amdhsa_exception_fp_ieee_inexact 0
		.amdhsa_exception_int_div_zero 0
	.end_amdhsa_kernel
	.section	.text._ZN7rocprim17ROCPRIM_400000_NS6detail17trampoline_kernelINS0_14default_configENS1_35adjacent_difference_config_selectorILb1EjEEZNS1_24adjacent_difference_implIS3_Lb1ELb0EPjS7_N6thrust23THRUST_200600_302600_NS5minusIjEEEE10hipError_tPvRmT2_T3_mT4_P12ihipStream_tbEUlT_E_NS1_11comp_targetILNS1_3genE3ELNS1_11target_archE908ELNS1_3gpuE7ELNS1_3repE0EEENS1_30default_config_static_selectorELNS0_4arch9wavefront6targetE1EEEvT1_,"axG",@progbits,_ZN7rocprim17ROCPRIM_400000_NS6detail17trampoline_kernelINS0_14default_configENS1_35adjacent_difference_config_selectorILb1EjEEZNS1_24adjacent_difference_implIS3_Lb1ELb0EPjS7_N6thrust23THRUST_200600_302600_NS5minusIjEEEE10hipError_tPvRmT2_T3_mT4_P12ihipStream_tbEUlT_E_NS1_11comp_targetILNS1_3genE3ELNS1_11target_archE908ELNS1_3gpuE7ELNS1_3repE0EEENS1_30default_config_static_selectorELNS0_4arch9wavefront6targetE1EEEvT1_,comdat
.Lfunc_end386:
	.size	_ZN7rocprim17ROCPRIM_400000_NS6detail17trampoline_kernelINS0_14default_configENS1_35adjacent_difference_config_selectorILb1EjEEZNS1_24adjacent_difference_implIS3_Lb1ELb0EPjS7_N6thrust23THRUST_200600_302600_NS5minusIjEEEE10hipError_tPvRmT2_T3_mT4_P12ihipStream_tbEUlT_E_NS1_11comp_targetILNS1_3genE3ELNS1_11target_archE908ELNS1_3gpuE7ELNS1_3repE0EEENS1_30default_config_static_selectorELNS0_4arch9wavefront6targetE1EEEvT1_, .Lfunc_end386-_ZN7rocprim17ROCPRIM_400000_NS6detail17trampoline_kernelINS0_14default_configENS1_35adjacent_difference_config_selectorILb1EjEEZNS1_24adjacent_difference_implIS3_Lb1ELb0EPjS7_N6thrust23THRUST_200600_302600_NS5minusIjEEEE10hipError_tPvRmT2_T3_mT4_P12ihipStream_tbEUlT_E_NS1_11comp_targetILNS1_3genE3ELNS1_11target_archE908ELNS1_3gpuE7ELNS1_3repE0EEENS1_30default_config_static_selectorELNS0_4arch9wavefront6targetE1EEEvT1_
                                        ; -- End function
	.section	.AMDGPU.csdata,"",@progbits
; Kernel info:
; codeLenInByte = 0
; NumSgprs: 6
; NumVgprs: 0
; NumAgprs: 0
; TotalNumVgprs: 0
; ScratchSize: 0
; MemoryBound: 0
; FloatMode: 240
; IeeeMode: 1
; LDSByteSize: 0 bytes/workgroup (compile time only)
; SGPRBlocks: 0
; VGPRBlocks: 0
; NumSGPRsForWavesPerEU: 6
; NumVGPRsForWavesPerEU: 1
; AccumOffset: 4
; Occupancy: 8
; WaveLimiterHint : 0
; COMPUTE_PGM_RSRC2:SCRATCH_EN: 0
; COMPUTE_PGM_RSRC2:USER_SGPR: 2
; COMPUTE_PGM_RSRC2:TRAP_HANDLER: 0
; COMPUTE_PGM_RSRC2:TGID_X_EN: 1
; COMPUTE_PGM_RSRC2:TGID_Y_EN: 0
; COMPUTE_PGM_RSRC2:TGID_Z_EN: 0
; COMPUTE_PGM_RSRC2:TIDIG_COMP_CNT: 0
; COMPUTE_PGM_RSRC3_GFX90A:ACCUM_OFFSET: 0
; COMPUTE_PGM_RSRC3_GFX90A:TG_SPLIT: 0
	.section	.text._ZN7rocprim17ROCPRIM_400000_NS6detail17trampoline_kernelINS0_14default_configENS1_35adjacent_difference_config_selectorILb1EjEEZNS1_24adjacent_difference_implIS3_Lb1ELb0EPjS7_N6thrust23THRUST_200600_302600_NS5minusIjEEEE10hipError_tPvRmT2_T3_mT4_P12ihipStream_tbEUlT_E_NS1_11comp_targetILNS1_3genE2ELNS1_11target_archE906ELNS1_3gpuE6ELNS1_3repE0EEENS1_30default_config_static_selectorELNS0_4arch9wavefront6targetE1EEEvT1_,"axG",@progbits,_ZN7rocprim17ROCPRIM_400000_NS6detail17trampoline_kernelINS0_14default_configENS1_35adjacent_difference_config_selectorILb1EjEEZNS1_24adjacent_difference_implIS3_Lb1ELb0EPjS7_N6thrust23THRUST_200600_302600_NS5minusIjEEEE10hipError_tPvRmT2_T3_mT4_P12ihipStream_tbEUlT_E_NS1_11comp_targetILNS1_3genE2ELNS1_11target_archE906ELNS1_3gpuE6ELNS1_3repE0EEENS1_30default_config_static_selectorELNS0_4arch9wavefront6targetE1EEEvT1_,comdat
	.protected	_ZN7rocprim17ROCPRIM_400000_NS6detail17trampoline_kernelINS0_14default_configENS1_35adjacent_difference_config_selectorILb1EjEEZNS1_24adjacent_difference_implIS3_Lb1ELb0EPjS7_N6thrust23THRUST_200600_302600_NS5minusIjEEEE10hipError_tPvRmT2_T3_mT4_P12ihipStream_tbEUlT_E_NS1_11comp_targetILNS1_3genE2ELNS1_11target_archE906ELNS1_3gpuE6ELNS1_3repE0EEENS1_30default_config_static_selectorELNS0_4arch9wavefront6targetE1EEEvT1_ ; -- Begin function _ZN7rocprim17ROCPRIM_400000_NS6detail17trampoline_kernelINS0_14default_configENS1_35adjacent_difference_config_selectorILb1EjEEZNS1_24adjacent_difference_implIS3_Lb1ELb0EPjS7_N6thrust23THRUST_200600_302600_NS5minusIjEEEE10hipError_tPvRmT2_T3_mT4_P12ihipStream_tbEUlT_E_NS1_11comp_targetILNS1_3genE2ELNS1_11target_archE906ELNS1_3gpuE6ELNS1_3repE0EEENS1_30default_config_static_selectorELNS0_4arch9wavefront6targetE1EEEvT1_
	.globl	_ZN7rocprim17ROCPRIM_400000_NS6detail17trampoline_kernelINS0_14default_configENS1_35adjacent_difference_config_selectorILb1EjEEZNS1_24adjacent_difference_implIS3_Lb1ELb0EPjS7_N6thrust23THRUST_200600_302600_NS5minusIjEEEE10hipError_tPvRmT2_T3_mT4_P12ihipStream_tbEUlT_E_NS1_11comp_targetILNS1_3genE2ELNS1_11target_archE906ELNS1_3gpuE6ELNS1_3repE0EEENS1_30default_config_static_selectorELNS0_4arch9wavefront6targetE1EEEvT1_
	.p2align	8
	.type	_ZN7rocprim17ROCPRIM_400000_NS6detail17trampoline_kernelINS0_14default_configENS1_35adjacent_difference_config_selectorILb1EjEEZNS1_24adjacent_difference_implIS3_Lb1ELb0EPjS7_N6thrust23THRUST_200600_302600_NS5minusIjEEEE10hipError_tPvRmT2_T3_mT4_P12ihipStream_tbEUlT_E_NS1_11comp_targetILNS1_3genE2ELNS1_11target_archE906ELNS1_3gpuE6ELNS1_3repE0EEENS1_30default_config_static_selectorELNS0_4arch9wavefront6targetE1EEEvT1_,@function
_ZN7rocprim17ROCPRIM_400000_NS6detail17trampoline_kernelINS0_14default_configENS1_35adjacent_difference_config_selectorILb1EjEEZNS1_24adjacent_difference_implIS3_Lb1ELb0EPjS7_N6thrust23THRUST_200600_302600_NS5minusIjEEEE10hipError_tPvRmT2_T3_mT4_P12ihipStream_tbEUlT_E_NS1_11comp_targetILNS1_3genE2ELNS1_11target_archE906ELNS1_3gpuE6ELNS1_3repE0EEENS1_30default_config_static_selectorELNS0_4arch9wavefront6targetE1EEEvT1_: ; @_ZN7rocprim17ROCPRIM_400000_NS6detail17trampoline_kernelINS0_14default_configENS1_35adjacent_difference_config_selectorILb1EjEEZNS1_24adjacent_difference_implIS3_Lb1ELb0EPjS7_N6thrust23THRUST_200600_302600_NS5minusIjEEEE10hipError_tPvRmT2_T3_mT4_P12ihipStream_tbEUlT_E_NS1_11comp_targetILNS1_3genE2ELNS1_11target_archE906ELNS1_3gpuE6ELNS1_3repE0EEENS1_30default_config_static_selectorELNS0_4arch9wavefront6targetE1EEEvT1_
; %bb.0:
	.section	.rodata,"a",@progbits
	.p2align	6, 0x0
	.amdhsa_kernel _ZN7rocprim17ROCPRIM_400000_NS6detail17trampoline_kernelINS0_14default_configENS1_35adjacent_difference_config_selectorILb1EjEEZNS1_24adjacent_difference_implIS3_Lb1ELb0EPjS7_N6thrust23THRUST_200600_302600_NS5minusIjEEEE10hipError_tPvRmT2_T3_mT4_P12ihipStream_tbEUlT_E_NS1_11comp_targetILNS1_3genE2ELNS1_11target_archE906ELNS1_3gpuE6ELNS1_3repE0EEENS1_30default_config_static_selectorELNS0_4arch9wavefront6targetE1EEEvT1_
		.amdhsa_group_segment_fixed_size 0
		.amdhsa_private_segment_fixed_size 0
		.amdhsa_kernarg_size 56
		.amdhsa_user_sgpr_count 2
		.amdhsa_user_sgpr_dispatch_ptr 0
		.amdhsa_user_sgpr_queue_ptr 0
		.amdhsa_user_sgpr_kernarg_segment_ptr 1
		.amdhsa_user_sgpr_dispatch_id 0
		.amdhsa_user_sgpr_kernarg_preload_length 0
		.amdhsa_user_sgpr_kernarg_preload_offset 0
		.amdhsa_user_sgpr_private_segment_size 0
		.amdhsa_uses_dynamic_stack 0
		.amdhsa_enable_private_segment 0
		.amdhsa_system_sgpr_workgroup_id_x 1
		.amdhsa_system_sgpr_workgroup_id_y 0
		.amdhsa_system_sgpr_workgroup_id_z 0
		.amdhsa_system_sgpr_workgroup_info 0
		.amdhsa_system_vgpr_workitem_id 0
		.amdhsa_next_free_vgpr 1
		.amdhsa_next_free_sgpr 0
		.amdhsa_accum_offset 4
		.amdhsa_reserve_vcc 0
		.amdhsa_float_round_mode_32 0
		.amdhsa_float_round_mode_16_64 0
		.amdhsa_float_denorm_mode_32 3
		.amdhsa_float_denorm_mode_16_64 3
		.amdhsa_dx10_clamp 1
		.amdhsa_ieee_mode 1
		.amdhsa_fp16_overflow 0
		.amdhsa_tg_split 0
		.amdhsa_exception_fp_ieee_invalid_op 0
		.amdhsa_exception_fp_denorm_src 0
		.amdhsa_exception_fp_ieee_div_zero 0
		.amdhsa_exception_fp_ieee_overflow 0
		.amdhsa_exception_fp_ieee_underflow 0
		.amdhsa_exception_fp_ieee_inexact 0
		.amdhsa_exception_int_div_zero 0
	.end_amdhsa_kernel
	.section	.text._ZN7rocprim17ROCPRIM_400000_NS6detail17trampoline_kernelINS0_14default_configENS1_35adjacent_difference_config_selectorILb1EjEEZNS1_24adjacent_difference_implIS3_Lb1ELb0EPjS7_N6thrust23THRUST_200600_302600_NS5minusIjEEEE10hipError_tPvRmT2_T3_mT4_P12ihipStream_tbEUlT_E_NS1_11comp_targetILNS1_3genE2ELNS1_11target_archE906ELNS1_3gpuE6ELNS1_3repE0EEENS1_30default_config_static_selectorELNS0_4arch9wavefront6targetE1EEEvT1_,"axG",@progbits,_ZN7rocprim17ROCPRIM_400000_NS6detail17trampoline_kernelINS0_14default_configENS1_35adjacent_difference_config_selectorILb1EjEEZNS1_24adjacent_difference_implIS3_Lb1ELb0EPjS7_N6thrust23THRUST_200600_302600_NS5minusIjEEEE10hipError_tPvRmT2_T3_mT4_P12ihipStream_tbEUlT_E_NS1_11comp_targetILNS1_3genE2ELNS1_11target_archE906ELNS1_3gpuE6ELNS1_3repE0EEENS1_30default_config_static_selectorELNS0_4arch9wavefront6targetE1EEEvT1_,comdat
.Lfunc_end387:
	.size	_ZN7rocprim17ROCPRIM_400000_NS6detail17trampoline_kernelINS0_14default_configENS1_35adjacent_difference_config_selectorILb1EjEEZNS1_24adjacent_difference_implIS3_Lb1ELb0EPjS7_N6thrust23THRUST_200600_302600_NS5minusIjEEEE10hipError_tPvRmT2_T3_mT4_P12ihipStream_tbEUlT_E_NS1_11comp_targetILNS1_3genE2ELNS1_11target_archE906ELNS1_3gpuE6ELNS1_3repE0EEENS1_30default_config_static_selectorELNS0_4arch9wavefront6targetE1EEEvT1_, .Lfunc_end387-_ZN7rocprim17ROCPRIM_400000_NS6detail17trampoline_kernelINS0_14default_configENS1_35adjacent_difference_config_selectorILb1EjEEZNS1_24adjacent_difference_implIS3_Lb1ELb0EPjS7_N6thrust23THRUST_200600_302600_NS5minusIjEEEE10hipError_tPvRmT2_T3_mT4_P12ihipStream_tbEUlT_E_NS1_11comp_targetILNS1_3genE2ELNS1_11target_archE906ELNS1_3gpuE6ELNS1_3repE0EEENS1_30default_config_static_selectorELNS0_4arch9wavefront6targetE1EEEvT1_
                                        ; -- End function
	.section	.AMDGPU.csdata,"",@progbits
; Kernel info:
; codeLenInByte = 0
; NumSgprs: 6
; NumVgprs: 0
; NumAgprs: 0
; TotalNumVgprs: 0
; ScratchSize: 0
; MemoryBound: 0
; FloatMode: 240
; IeeeMode: 1
; LDSByteSize: 0 bytes/workgroup (compile time only)
; SGPRBlocks: 0
; VGPRBlocks: 0
; NumSGPRsForWavesPerEU: 6
; NumVGPRsForWavesPerEU: 1
; AccumOffset: 4
; Occupancy: 8
; WaveLimiterHint : 0
; COMPUTE_PGM_RSRC2:SCRATCH_EN: 0
; COMPUTE_PGM_RSRC2:USER_SGPR: 2
; COMPUTE_PGM_RSRC2:TRAP_HANDLER: 0
; COMPUTE_PGM_RSRC2:TGID_X_EN: 1
; COMPUTE_PGM_RSRC2:TGID_Y_EN: 0
; COMPUTE_PGM_RSRC2:TGID_Z_EN: 0
; COMPUTE_PGM_RSRC2:TIDIG_COMP_CNT: 0
; COMPUTE_PGM_RSRC3_GFX90A:ACCUM_OFFSET: 0
; COMPUTE_PGM_RSRC3_GFX90A:TG_SPLIT: 0
	.section	.text._ZN7rocprim17ROCPRIM_400000_NS6detail17trampoline_kernelINS0_14default_configENS1_35adjacent_difference_config_selectorILb1EjEEZNS1_24adjacent_difference_implIS3_Lb1ELb0EPjS7_N6thrust23THRUST_200600_302600_NS5minusIjEEEE10hipError_tPvRmT2_T3_mT4_P12ihipStream_tbEUlT_E_NS1_11comp_targetILNS1_3genE9ELNS1_11target_archE1100ELNS1_3gpuE3ELNS1_3repE0EEENS1_30default_config_static_selectorELNS0_4arch9wavefront6targetE1EEEvT1_,"axG",@progbits,_ZN7rocprim17ROCPRIM_400000_NS6detail17trampoline_kernelINS0_14default_configENS1_35adjacent_difference_config_selectorILb1EjEEZNS1_24adjacent_difference_implIS3_Lb1ELb0EPjS7_N6thrust23THRUST_200600_302600_NS5minusIjEEEE10hipError_tPvRmT2_T3_mT4_P12ihipStream_tbEUlT_E_NS1_11comp_targetILNS1_3genE9ELNS1_11target_archE1100ELNS1_3gpuE3ELNS1_3repE0EEENS1_30default_config_static_selectorELNS0_4arch9wavefront6targetE1EEEvT1_,comdat
	.protected	_ZN7rocprim17ROCPRIM_400000_NS6detail17trampoline_kernelINS0_14default_configENS1_35adjacent_difference_config_selectorILb1EjEEZNS1_24adjacent_difference_implIS3_Lb1ELb0EPjS7_N6thrust23THRUST_200600_302600_NS5minusIjEEEE10hipError_tPvRmT2_T3_mT4_P12ihipStream_tbEUlT_E_NS1_11comp_targetILNS1_3genE9ELNS1_11target_archE1100ELNS1_3gpuE3ELNS1_3repE0EEENS1_30default_config_static_selectorELNS0_4arch9wavefront6targetE1EEEvT1_ ; -- Begin function _ZN7rocprim17ROCPRIM_400000_NS6detail17trampoline_kernelINS0_14default_configENS1_35adjacent_difference_config_selectorILb1EjEEZNS1_24adjacent_difference_implIS3_Lb1ELb0EPjS7_N6thrust23THRUST_200600_302600_NS5minusIjEEEE10hipError_tPvRmT2_T3_mT4_P12ihipStream_tbEUlT_E_NS1_11comp_targetILNS1_3genE9ELNS1_11target_archE1100ELNS1_3gpuE3ELNS1_3repE0EEENS1_30default_config_static_selectorELNS0_4arch9wavefront6targetE1EEEvT1_
	.globl	_ZN7rocprim17ROCPRIM_400000_NS6detail17trampoline_kernelINS0_14default_configENS1_35adjacent_difference_config_selectorILb1EjEEZNS1_24adjacent_difference_implIS3_Lb1ELb0EPjS7_N6thrust23THRUST_200600_302600_NS5minusIjEEEE10hipError_tPvRmT2_T3_mT4_P12ihipStream_tbEUlT_E_NS1_11comp_targetILNS1_3genE9ELNS1_11target_archE1100ELNS1_3gpuE3ELNS1_3repE0EEENS1_30default_config_static_selectorELNS0_4arch9wavefront6targetE1EEEvT1_
	.p2align	8
	.type	_ZN7rocprim17ROCPRIM_400000_NS6detail17trampoline_kernelINS0_14default_configENS1_35adjacent_difference_config_selectorILb1EjEEZNS1_24adjacent_difference_implIS3_Lb1ELb0EPjS7_N6thrust23THRUST_200600_302600_NS5minusIjEEEE10hipError_tPvRmT2_T3_mT4_P12ihipStream_tbEUlT_E_NS1_11comp_targetILNS1_3genE9ELNS1_11target_archE1100ELNS1_3gpuE3ELNS1_3repE0EEENS1_30default_config_static_selectorELNS0_4arch9wavefront6targetE1EEEvT1_,@function
_ZN7rocprim17ROCPRIM_400000_NS6detail17trampoline_kernelINS0_14default_configENS1_35adjacent_difference_config_selectorILb1EjEEZNS1_24adjacent_difference_implIS3_Lb1ELb0EPjS7_N6thrust23THRUST_200600_302600_NS5minusIjEEEE10hipError_tPvRmT2_T3_mT4_P12ihipStream_tbEUlT_E_NS1_11comp_targetILNS1_3genE9ELNS1_11target_archE1100ELNS1_3gpuE3ELNS1_3repE0EEENS1_30default_config_static_selectorELNS0_4arch9wavefront6targetE1EEEvT1_: ; @_ZN7rocprim17ROCPRIM_400000_NS6detail17trampoline_kernelINS0_14default_configENS1_35adjacent_difference_config_selectorILb1EjEEZNS1_24adjacent_difference_implIS3_Lb1ELb0EPjS7_N6thrust23THRUST_200600_302600_NS5minusIjEEEE10hipError_tPvRmT2_T3_mT4_P12ihipStream_tbEUlT_E_NS1_11comp_targetILNS1_3genE9ELNS1_11target_archE1100ELNS1_3gpuE3ELNS1_3repE0EEENS1_30default_config_static_selectorELNS0_4arch9wavefront6targetE1EEEvT1_
; %bb.0:
	.section	.rodata,"a",@progbits
	.p2align	6, 0x0
	.amdhsa_kernel _ZN7rocprim17ROCPRIM_400000_NS6detail17trampoline_kernelINS0_14default_configENS1_35adjacent_difference_config_selectorILb1EjEEZNS1_24adjacent_difference_implIS3_Lb1ELb0EPjS7_N6thrust23THRUST_200600_302600_NS5minusIjEEEE10hipError_tPvRmT2_T3_mT4_P12ihipStream_tbEUlT_E_NS1_11comp_targetILNS1_3genE9ELNS1_11target_archE1100ELNS1_3gpuE3ELNS1_3repE0EEENS1_30default_config_static_selectorELNS0_4arch9wavefront6targetE1EEEvT1_
		.amdhsa_group_segment_fixed_size 0
		.amdhsa_private_segment_fixed_size 0
		.amdhsa_kernarg_size 56
		.amdhsa_user_sgpr_count 2
		.amdhsa_user_sgpr_dispatch_ptr 0
		.amdhsa_user_sgpr_queue_ptr 0
		.amdhsa_user_sgpr_kernarg_segment_ptr 1
		.amdhsa_user_sgpr_dispatch_id 0
		.amdhsa_user_sgpr_kernarg_preload_length 0
		.amdhsa_user_sgpr_kernarg_preload_offset 0
		.amdhsa_user_sgpr_private_segment_size 0
		.amdhsa_uses_dynamic_stack 0
		.amdhsa_enable_private_segment 0
		.amdhsa_system_sgpr_workgroup_id_x 1
		.amdhsa_system_sgpr_workgroup_id_y 0
		.amdhsa_system_sgpr_workgroup_id_z 0
		.amdhsa_system_sgpr_workgroup_info 0
		.amdhsa_system_vgpr_workitem_id 0
		.amdhsa_next_free_vgpr 1
		.amdhsa_next_free_sgpr 0
		.amdhsa_accum_offset 4
		.amdhsa_reserve_vcc 0
		.amdhsa_float_round_mode_32 0
		.amdhsa_float_round_mode_16_64 0
		.amdhsa_float_denorm_mode_32 3
		.amdhsa_float_denorm_mode_16_64 3
		.amdhsa_dx10_clamp 1
		.amdhsa_ieee_mode 1
		.amdhsa_fp16_overflow 0
		.amdhsa_tg_split 0
		.amdhsa_exception_fp_ieee_invalid_op 0
		.amdhsa_exception_fp_denorm_src 0
		.amdhsa_exception_fp_ieee_div_zero 0
		.amdhsa_exception_fp_ieee_overflow 0
		.amdhsa_exception_fp_ieee_underflow 0
		.amdhsa_exception_fp_ieee_inexact 0
		.amdhsa_exception_int_div_zero 0
	.end_amdhsa_kernel
	.section	.text._ZN7rocprim17ROCPRIM_400000_NS6detail17trampoline_kernelINS0_14default_configENS1_35adjacent_difference_config_selectorILb1EjEEZNS1_24adjacent_difference_implIS3_Lb1ELb0EPjS7_N6thrust23THRUST_200600_302600_NS5minusIjEEEE10hipError_tPvRmT2_T3_mT4_P12ihipStream_tbEUlT_E_NS1_11comp_targetILNS1_3genE9ELNS1_11target_archE1100ELNS1_3gpuE3ELNS1_3repE0EEENS1_30default_config_static_selectorELNS0_4arch9wavefront6targetE1EEEvT1_,"axG",@progbits,_ZN7rocprim17ROCPRIM_400000_NS6detail17trampoline_kernelINS0_14default_configENS1_35adjacent_difference_config_selectorILb1EjEEZNS1_24adjacent_difference_implIS3_Lb1ELb0EPjS7_N6thrust23THRUST_200600_302600_NS5minusIjEEEE10hipError_tPvRmT2_T3_mT4_P12ihipStream_tbEUlT_E_NS1_11comp_targetILNS1_3genE9ELNS1_11target_archE1100ELNS1_3gpuE3ELNS1_3repE0EEENS1_30default_config_static_selectorELNS0_4arch9wavefront6targetE1EEEvT1_,comdat
.Lfunc_end388:
	.size	_ZN7rocprim17ROCPRIM_400000_NS6detail17trampoline_kernelINS0_14default_configENS1_35adjacent_difference_config_selectorILb1EjEEZNS1_24adjacent_difference_implIS3_Lb1ELb0EPjS7_N6thrust23THRUST_200600_302600_NS5minusIjEEEE10hipError_tPvRmT2_T3_mT4_P12ihipStream_tbEUlT_E_NS1_11comp_targetILNS1_3genE9ELNS1_11target_archE1100ELNS1_3gpuE3ELNS1_3repE0EEENS1_30default_config_static_selectorELNS0_4arch9wavefront6targetE1EEEvT1_, .Lfunc_end388-_ZN7rocprim17ROCPRIM_400000_NS6detail17trampoline_kernelINS0_14default_configENS1_35adjacent_difference_config_selectorILb1EjEEZNS1_24adjacent_difference_implIS3_Lb1ELb0EPjS7_N6thrust23THRUST_200600_302600_NS5minusIjEEEE10hipError_tPvRmT2_T3_mT4_P12ihipStream_tbEUlT_E_NS1_11comp_targetILNS1_3genE9ELNS1_11target_archE1100ELNS1_3gpuE3ELNS1_3repE0EEENS1_30default_config_static_selectorELNS0_4arch9wavefront6targetE1EEEvT1_
                                        ; -- End function
	.section	.AMDGPU.csdata,"",@progbits
; Kernel info:
; codeLenInByte = 0
; NumSgprs: 6
; NumVgprs: 0
; NumAgprs: 0
; TotalNumVgprs: 0
; ScratchSize: 0
; MemoryBound: 0
; FloatMode: 240
; IeeeMode: 1
; LDSByteSize: 0 bytes/workgroup (compile time only)
; SGPRBlocks: 0
; VGPRBlocks: 0
; NumSGPRsForWavesPerEU: 6
; NumVGPRsForWavesPerEU: 1
; AccumOffset: 4
; Occupancy: 8
; WaveLimiterHint : 0
; COMPUTE_PGM_RSRC2:SCRATCH_EN: 0
; COMPUTE_PGM_RSRC2:USER_SGPR: 2
; COMPUTE_PGM_RSRC2:TRAP_HANDLER: 0
; COMPUTE_PGM_RSRC2:TGID_X_EN: 1
; COMPUTE_PGM_RSRC2:TGID_Y_EN: 0
; COMPUTE_PGM_RSRC2:TGID_Z_EN: 0
; COMPUTE_PGM_RSRC2:TIDIG_COMP_CNT: 0
; COMPUTE_PGM_RSRC3_GFX90A:ACCUM_OFFSET: 0
; COMPUTE_PGM_RSRC3_GFX90A:TG_SPLIT: 0
	.section	.text._ZN7rocprim17ROCPRIM_400000_NS6detail17trampoline_kernelINS0_14default_configENS1_35adjacent_difference_config_selectorILb1EjEEZNS1_24adjacent_difference_implIS3_Lb1ELb0EPjS7_N6thrust23THRUST_200600_302600_NS5minusIjEEEE10hipError_tPvRmT2_T3_mT4_P12ihipStream_tbEUlT_E_NS1_11comp_targetILNS1_3genE8ELNS1_11target_archE1030ELNS1_3gpuE2ELNS1_3repE0EEENS1_30default_config_static_selectorELNS0_4arch9wavefront6targetE1EEEvT1_,"axG",@progbits,_ZN7rocprim17ROCPRIM_400000_NS6detail17trampoline_kernelINS0_14default_configENS1_35adjacent_difference_config_selectorILb1EjEEZNS1_24adjacent_difference_implIS3_Lb1ELb0EPjS7_N6thrust23THRUST_200600_302600_NS5minusIjEEEE10hipError_tPvRmT2_T3_mT4_P12ihipStream_tbEUlT_E_NS1_11comp_targetILNS1_3genE8ELNS1_11target_archE1030ELNS1_3gpuE2ELNS1_3repE0EEENS1_30default_config_static_selectorELNS0_4arch9wavefront6targetE1EEEvT1_,comdat
	.protected	_ZN7rocprim17ROCPRIM_400000_NS6detail17trampoline_kernelINS0_14default_configENS1_35adjacent_difference_config_selectorILb1EjEEZNS1_24adjacent_difference_implIS3_Lb1ELb0EPjS7_N6thrust23THRUST_200600_302600_NS5minusIjEEEE10hipError_tPvRmT2_T3_mT4_P12ihipStream_tbEUlT_E_NS1_11comp_targetILNS1_3genE8ELNS1_11target_archE1030ELNS1_3gpuE2ELNS1_3repE0EEENS1_30default_config_static_selectorELNS0_4arch9wavefront6targetE1EEEvT1_ ; -- Begin function _ZN7rocprim17ROCPRIM_400000_NS6detail17trampoline_kernelINS0_14default_configENS1_35adjacent_difference_config_selectorILb1EjEEZNS1_24adjacent_difference_implIS3_Lb1ELb0EPjS7_N6thrust23THRUST_200600_302600_NS5minusIjEEEE10hipError_tPvRmT2_T3_mT4_P12ihipStream_tbEUlT_E_NS1_11comp_targetILNS1_3genE8ELNS1_11target_archE1030ELNS1_3gpuE2ELNS1_3repE0EEENS1_30default_config_static_selectorELNS0_4arch9wavefront6targetE1EEEvT1_
	.globl	_ZN7rocprim17ROCPRIM_400000_NS6detail17trampoline_kernelINS0_14default_configENS1_35adjacent_difference_config_selectorILb1EjEEZNS1_24adjacent_difference_implIS3_Lb1ELb0EPjS7_N6thrust23THRUST_200600_302600_NS5minusIjEEEE10hipError_tPvRmT2_T3_mT4_P12ihipStream_tbEUlT_E_NS1_11comp_targetILNS1_3genE8ELNS1_11target_archE1030ELNS1_3gpuE2ELNS1_3repE0EEENS1_30default_config_static_selectorELNS0_4arch9wavefront6targetE1EEEvT1_
	.p2align	8
	.type	_ZN7rocprim17ROCPRIM_400000_NS6detail17trampoline_kernelINS0_14default_configENS1_35adjacent_difference_config_selectorILb1EjEEZNS1_24adjacent_difference_implIS3_Lb1ELb0EPjS7_N6thrust23THRUST_200600_302600_NS5minusIjEEEE10hipError_tPvRmT2_T3_mT4_P12ihipStream_tbEUlT_E_NS1_11comp_targetILNS1_3genE8ELNS1_11target_archE1030ELNS1_3gpuE2ELNS1_3repE0EEENS1_30default_config_static_selectorELNS0_4arch9wavefront6targetE1EEEvT1_,@function
_ZN7rocprim17ROCPRIM_400000_NS6detail17trampoline_kernelINS0_14default_configENS1_35adjacent_difference_config_selectorILb1EjEEZNS1_24adjacent_difference_implIS3_Lb1ELb0EPjS7_N6thrust23THRUST_200600_302600_NS5minusIjEEEE10hipError_tPvRmT2_T3_mT4_P12ihipStream_tbEUlT_E_NS1_11comp_targetILNS1_3genE8ELNS1_11target_archE1030ELNS1_3gpuE2ELNS1_3repE0EEENS1_30default_config_static_selectorELNS0_4arch9wavefront6targetE1EEEvT1_: ; @_ZN7rocprim17ROCPRIM_400000_NS6detail17trampoline_kernelINS0_14default_configENS1_35adjacent_difference_config_selectorILb1EjEEZNS1_24adjacent_difference_implIS3_Lb1ELb0EPjS7_N6thrust23THRUST_200600_302600_NS5minusIjEEEE10hipError_tPvRmT2_T3_mT4_P12ihipStream_tbEUlT_E_NS1_11comp_targetILNS1_3genE8ELNS1_11target_archE1030ELNS1_3gpuE2ELNS1_3repE0EEENS1_30default_config_static_selectorELNS0_4arch9wavefront6targetE1EEEvT1_
; %bb.0:
	.section	.rodata,"a",@progbits
	.p2align	6, 0x0
	.amdhsa_kernel _ZN7rocprim17ROCPRIM_400000_NS6detail17trampoline_kernelINS0_14default_configENS1_35adjacent_difference_config_selectorILb1EjEEZNS1_24adjacent_difference_implIS3_Lb1ELb0EPjS7_N6thrust23THRUST_200600_302600_NS5minusIjEEEE10hipError_tPvRmT2_T3_mT4_P12ihipStream_tbEUlT_E_NS1_11comp_targetILNS1_3genE8ELNS1_11target_archE1030ELNS1_3gpuE2ELNS1_3repE0EEENS1_30default_config_static_selectorELNS0_4arch9wavefront6targetE1EEEvT1_
		.amdhsa_group_segment_fixed_size 0
		.amdhsa_private_segment_fixed_size 0
		.amdhsa_kernarg_size 56
		.amdhsa_user_sgpr_count 2
		.amdhsa_user_sgpr_dispatch_ptr 0
		.amdhsa_user_sgpr_queue_ptr 0
		.amdhsa_user_sgpr_kernarg_segment_ptr 1
		.amdhsa_user_sgpr_dispatch_id 0
		.amdhsa_user_sgpr_kernarg_preload_length 0
		.amdhsa_user_sgpr_kernarg_preload_offset 0
		.amdhsa_user_sgpr_private_segment_size 0
		.amdhsa_uses_dynamic_stack 0
		.amdhsa_enable_private_segment 0
		.amdhsa_system_sgpr_workgroup_id_x 1
		.amdhsa_system_sgpr_workgroup_id_y 0
		.amdhsa_system_sgpr_workgroup_id_z 0
		.amdhsa_system_sgpr_workgroup_info 0
		.amdhsa_system_vgpr_workitem_id 0
		.amdhsa_next_free_vgpr 1
		.amdhsa_next_free_sgpr 0
		.amdhsa_accum_offset 4
		.amdhsa_reserve_vcc 0
		.amdhsa_float_round_mode_32 0
		.amdhsa_float_round_mode_16_64 0
		.amdhsa_float_denorm_mode_32 3
		.amdhsa_float_denorm_mode_16_64 3
		.amdhsa_dx10_clamp 1
		.amdhsa_ieee_mode 1
		.amdhsa_fp16_overflow 0
		.amdhsa_tg_split 0
		.amdhsa_exception_fp_ieee_invalid_op 0
		.amdhsa_exception_fp_denorm_src 0
		.amdhsa_exception_fp_ieee_div_zero 0
		.amdhsa_exception_fp_ieee_overflow 0
		.amdhsa_exception_fp_ieee_underflow 0
		.amdhsa_exception_fp_ieee_inexact 0
		.amdhsa_exception_int_div_zero 0
	.end_amdhsa_kernel
	.section	.text._ZN7rocprim17ROCPRIM_400000_NS6detail17trampoline_kernelINS0_14default_configENS1_35adjacent_difference_config_selectorILb1EjEEZNS1_24adjacent_difference_implIS3_Lb1ELb0EPjS7_N6thrust23THRUST_200600_302600_NS5minusIjEEEE10hipError_tPvRmT2_T3_mT4_P12ihipStream_tbEUlT_E_NS1_11comp_targetILNS1_3genE8ELNS1_11target_archE1030ELNS1_3gpuE2ELNS1_3repE0EEENS1_30default_config_static_selectorELNS0_4arch9wavefront6targetE1EEEvT1_,"axG",@progbits,_ZN7rocprim17ROCPRIM_400000_NS6detail17trampoline_kernelINS0_14default_configENS1_35adjacent_difference_config_selectorILb1EjEEZNS1_24adjacent_difference_implIS3_Lb1ELb0EPjS7_N6thrust23THRUST_200600_302600_NS5minusIjEEEE10hipError_tPvRmT2_T3_mT4_P12ihipStream_tbEUlT_E_NS1_11comp_targetILNS1_3genE8ELNS1_11target_archE1030ELNS1_3gpuE2ELNS1_3repE0EEENS1_30default_config_static_selectorELNS0_4arch9wavefront6targetE1EEEvT1_,comdat
.Lfunc_end389:
	.size	_ZN7rocprim17ROCPRIM_400000_NS6detail17trampoline_kernelINS0_14default_configENS1_35adjacent_difference_config_selectorILb1EjEEZNS1_24adjacent_difference_implIS3_Lb1ELb0EPjS7_N6thrust23THRUST_200600_302600_NS5minusIjEEEE10hipError_tPvRmT2_T3_mT4_P12ihipStream_tbEUlT_E_NS1_11comp_targetILNS1_3genE8ELNS1_11target_archE1030ELNS1_3gpuE2ELNS1_3repE0EEENS1_30default_config_static_selectorELNS0_4arch9wavefront6targetE1EEEvT1_, .Lfunc_end389-_ZN7rocprim17ROCPRIM_400000_NS6detail17trampoline_kernelINS0_14default_configENS1_35adjacent_difference_config_selectorILb1EjEEZNS1_24adjacent_difference_implIS3_Lb1ELb0EPjS7_N6thrust23THRUST_200600_302600_NS5minusIjEEEE10hipError_tPvRmT2_T3_mT4_P12ihipStream_tbEUlT_E_NS1_11comp_targetILNS1_3genE8ELNS1_11target_archE1030ELNS1_3gpuE2ELNS1_3repE0EEENS1_30default_config_static_selectorELNS0_4arch9wavefront6targetE1EEEvT1_
                                        ; -- End function
	.section	.AMDGPU.csdata,"",@progbits
; Kernel info:
; codeLenInByte = 0
; NumSgprs: 6
; NumVgprs: 0
; NumAgprs: 0
; TotalNumVgprs: 0
; ScratchSize: 0
; MemoryBound: 0
; FloatMode: 240
; IeeeMode: 1
; LDSByteSize: 0 bytes/workgroup (compile time only)
; SGPRBlocks: 0
; VGPRBlocks: 0
; NumSGPRsForWavesPerEU: 6
; NumVGPRsForWavesPerEU: 1
; AccumOffset: 4
; Occupancy: 8
; WaveLimiterHint : 0
; COMPUTE_PGM_RSRC2:SCRATCH_EN: 0
; COMPUTE_PGM_RSRC2:USER_SGPR: 2
; COMPUTE_PGM_RSRC2:TRAP_HANDLER: 0
; COMPUTE_PGM_RSRC2:TGID_X_EN: 1
; COMPUTE_PGM_RSRC2:TGID_Y_EN: 0
; COMPUTE_PGM_RSRC2:TGID_Z_EN: 0
; COMPUTE_PGM_RSRC2:TIDIG_COMP_CNT: 0
; COMPUTE_PGM_RSRC3_GFX90A:ACCUM_OFFSET: 0
; COMPUTE_PGM_RSRC3_GFX90A:TG_SPLIT: 0
	.section	.text._ZN7rocprim17ROCPRIM_400000_NS6detail17trampoline_kernelINS0_14default_configENS1_35adjacent_difference_config_selectorILb0EjEEZNS1_24adjacent_difference_implIS3_Lb0ELb0EPjS7_N6thrust23THRUST_200600_302600_NS4plusIjEEEE10hipError_tPvRmT2_T3_mT4_P12ihipStream_tbEUlT_E_NS1_11comp_targetILNS1_3genE0ELNS1_11target_archE4294967295ELNS1_3gpuE0ELNS1_3repE0EEENS1_30default_config_static_selectorELNS0_4arch9wavefront6targetE1EEEvT1_,"axG",@progbits,_ZN7rocprim17ROCPRIM_400000_NS6detail17trampoline_kernelINS0_14default_configENS1_35adjacent_difference_config_selectorILb0EjEEZNS1_24adjacent_difference_implIS3_Lb0ELb0EPjS7_N6thrust23THRUST_200600_302600_NS4plusIjEEEE10hipError_tPvRmT2_T3_mT4_P12ihipStream_tbEUlT_E_NS1_11comp_targetILNS1_3genE0ELNS1_11target_archE4294967295ELNS1_3gpuE0ELNS1_3repE0EEENS1_30default_config_static_selectorELNS0_4arch9wavefront6targetE1EEEvT1_,comdat
	.protected	_ZN7rocprim17ROCPRIM_400000_NS6detail17trampoline_kernelINS0_14default_configENS1_35adjacent_difference_config_selectorILb0EjEEZNS1_24adjacent_difference_implIS3_Lb0ELb0EPjS7_N6thrust23THRUST_200600_302600_NS4plusIjEEEE10hipError_tPvRmT2_T3_mT4_P12ihipStream_tbEUlT_E_NS1_11comp_targetILNS1_3genE0ELNS1_11target_archE4294967295ELNS1_3gpuE0ELNS1_3repE0EEENS1_30default_config_static_selectorELNS0_4arch9wavefront6targetE1EEEvT1_ ; -- Begin function _ZN7rocprim17ROCPRIM_400000_NS6detail17trampoline_kernelINS0_14default_configENS1_35adjacent_difference_config_selectorILb0EjEEZNS1_24adjacent_difference_implIS3_Lb0ELb0EPjS7_N6thrust23THRUST_200600_302600_NS4plusIjEEEE10hipError_tPvRmT2_T3_mT4_P12ihipStream_tbEUlT_E_NS1_11comp_targetILNS1_3genE0ELNS1_11target_archE4294967295ELNS1_3gpuE0ELNS1_3repE0EEENS1_30default_config_static_selectorELNS0_4arch9wavefront6targetE1EEEvT1_
	.globl	_ZN7rocprim17ROCPRIM_400000_NS6detail17trampoline_kernelINS0_14default_configENS1_35adjacent_difference_config_selectorILb0EjEEZNS1_24adjacent_difference_implIS3_Lb0ELb0EPjS7_N6thrust23THRUST_200600_302600_NS4plusIjEEEE10hipError_tPvRmT2_T3_mT4_P12ihipStream_tbEUlT_E_NS1_11comp_targetILNS1_3genE0ELNS1_11target_archE4294967295ELNS1_3gpuE0ELNS1_3repE0EEENS1_30default_config_static_selectorELNS0_4arch9wavefront6targetE1EEEvT1_
	.p2align	8
	.type	_ZN7rocprim17ROCPRIM_400000_NS6detail17trampoline_kernelINS0_14default_configENS1_35adjacent_difference_config_selectorILb0EjEEZNS1_24adjacent_difference_implIS3_Lb0ELb0EPjS7_N6thrust23THRUST_200600_302600_NS4plusIjEEEE10hipError_tPvRmT2_T3_mT4_P12ihipStream_tbEUlT_E_NS1_11comp_targetILNS1_3genE0ELNS1_11target_archE4294967295ELNS1_3gpuE0ELNS1_3repE0EEENS1_30default_config_static_selectorELNS0_4arch9wavefront6targetE1EEEvT1_,@function
_ZN7rocprim17ROCPRIM_400000_NS6detail17trampoline_kernelINS0_14default_configENS1_35adjacent_difference_config_selectorILb0EjEEZNS1_24adjacent_difference_implIS3_Lb0ELb0EPjS7_N6thrust23THRUST_200600_302600_NS4plusIjEEEE10hipError_tPvRmT2_T3_mT4_P12ihipStream_tbEUlT_E_NS1_11comp_targetILNS1_3genE0ELNS1_11target_archE4294967295ELNS1_3gpuE0ELNS1_3repE0EEENS1_30default_config_static_selectorELNS0_4arch9wavefront6targetE1EEEvT1_: ; @_ZN7rocprim17ROCPRIM_400000_NS6detail17trampoline_kernelINS0_14default_configENS1_35adjacent_difference_config_selectorILb0EjEEZNS1_24adjacent_difference_implIS3_Lb0ELb0EPjS7_N6thrust23THRUST_200600_302600_NS4plusIjEEEE10hipError_tPvRmT2_T3_mT4_P12ihipStream_tbEUlT_E_NS1_11comp_targetILNS1_3genE0ELNS1_11target_archE4294967295ELNS1_3gpuE0ELNS1_3repE0EEENS1_30default_config_static_selectorELNS0_4arch9wavefront6targetE1EEEvT1_
; %bb.0:
	.section	.rodata,"a",@progbits
	.p2align	6, 0x0
	.amdhsa_kernel _ZN7rocprim17ROCPRIM_400000_NS6detail17trampoline_kernelINS0_14default_configENS1_35adjacent_difference_config_selectorILb0EjEEZNS1_24adjacent_difference_implIS3_Lb0ELb0EPjS7_N6thrust23THRUST_200600_302600_NS4plusIjEEEE10hipError_tPvRmT2_T3_mT4_P12ihipStream_tbEUlT_E_NS1_11comp_targetILNS1_3genE0ELNS1_11target_archE4294967295ELNS1_3gpuE0ELNS1_3repE0EEENS1_30default_config_static_selectorELNS0_4arch9wavefront6targetE1EEEvT1_
		.amdhsa_group_segment_fixed_size 0
		.amdhsa_private_segment_fixed_size 0
		.amdhsa_kernarg_size 56
		.amdhsa_user_sgpr_count 2
		.amdhsa_user_sgpr_dispatch_ptr 0
		.amdhsa_user_sgpr_queue_ptr 0
		.amdhsa_user_sgpr_kernarg_segment_ptr 1
		.amdhsa_user_sgpr_dispatch_id 0
		.amdhsa_user_sgpr_kernarg_preload_length 0
		.amdhsa_user_sgpr_kernarg_preload_offset 0
		.amdhsa_user_sgpr_private_segment_size 0
		.amdhsa_uses_dynamic_stack 0
		.amdhsa_enable_private_segment 0
		.amdhsa_system_sgpr_workgroup_id_x 1
		.amdhsa_system_sgpr_workgroup_id_y 0
		.amdhsa_system_sgpr_workgroup_id_z 0
		.amdhsa_system_sgpr_workgroup_info 0
		.amdhsa_system_vgpr_workitem_id 0
		.amdhsa_next_free_vgpr 1
		.amdhsa_next_free_sgpr 0
		.amdhsa_accum_offset 4
		.amdhsa_reserve_vcc 0
		.amdhsa_float_round_mode_32 0
		.amdhsa_float_round_mode_16_64 0
		.amdhsa_float_denorm_mode_32 3
		.amdhsa_float_denorm_mode_16_64 3
		.amdhsa_dx10_clamp 1
		.amdhsa_ieee_mode 1
		.amdhsa_fp16_overflow 0
		.amdhsa_tg_split 0
		.amdhsa_exception_fp_ieee_invalid_op 0
		.amdhsa_exception_fp_denorm_src 0
		.amdhsa_exception_fp_ieee_div_zero 0
		.amdhsa_exception_fp_ieee_overflow 0
		.amdhsa_exception_fp_ieee_underflow 0
		.amdhsa_exception_fp_ieee_inexact 0
		.amdhsa_exception_int_div_zero 0
	.end_amdhsa_kernel
	.section	.text._ZN7rocprim17ROCPRIM_400000_NS6detail17trampoline_kernelINS0_14default_configENS1_35adjacent_difference_config_selectorILb0EjEEZNS1_24adjacent_difference_implIS3_Lb0ELb0EPjS7_N6thrust23THRUST_200600_302600_NS4plusIjEEEE10hipError_tPvRmT2_T3_mT4_P12ihipStream_tbEUlT_E_NS1_11comp_targetILNS1_3genE0ELNS1_11target_archE4294967295ELNS1_3gpuE0ELNS1_3repE0EEENS1_30default_config_static_selectorELNS0_4arch9wavefront6targetE1EEEvT1_,"axG",@progbits,_ZN7rocprim17ROCPRIM_400000_NS6detail17trampoline_kernelINS0_14default_configENS1_35adjacent_difference_config_selectorILb0EjEEZNS1_24adjacent_difference_implIS3_Lb0ELb0EPjS7_N6thrust23THRUST_200600_302600_NS4plusIjEEEE10hipError_tPvRmT2_T3_mT4_P12ihipStream_tbEUlT_E_NS1_11comp_targetILNS1_3genE0ELNS1_11target_archE4294967295ELNS1_3gpuE0ELNS1_3repE0EEENS1_30default_config_static_selectorELNS0_4arch9wavefront6targetE1EEEvT1_,comdat
.Lfunc_end390:
	.size	_ZN7rocprim17ROCPRIM_400000_NS6detail17trampoline_kernelINS0_14default_configENS1_35adjacent_difference_config_selectorILb0EjEEZNS1_24adjacent_difference_implIS3_Lb0ELb0EPjS7_N6thrust23THRUST_200600_302600_NS4plusIjEEEE10hipError_tPvRmT2_T3_mT4_P12ihipStream_tbEUlT_E_NS1_11comp_targetILNS1_3genE0ELNS1_11target_archE4294967295ELNS1_3gpuE0ELNS1_3repE0EEENS1_30default_config_static_selectorELNS0_4arch9wavefront6targetE1EEEvT1_, .Lfunc_end390-_ZN7rocprim17ROCPRIM_400000_NS6detail17trampoline_kernelINS0_14default_configENS1_35adjacent_difference_config_selectorILb0EjEEZNS1_24adjacent_difference_implIS3_Lb0ELb0EPjS7_N6thrust23THRUST_200600_302600_NS4plusIjEEEE10hipError_tPvRmT2_T3_mT4_P12ihipStream_tbEUlT_E_NS1_11comp_targetILNS1_3genE0ELNS1_11target_archE4294967295ELNS1_3gpuE0ELNS1_3repE0EEENS1_30default_config_static_selectorELNS0_4arch9wavefront6targetE1EEEvT1_
                                        ; -- End function
	.section	.AMDGPU.csdata,"",@progbits
; Kernel info:
; codeLenInByte = 0
; NumSgprs: 6
; NumVgprs: 0
; NumAgprs: 0
; TotalNumVgprs: 0
; ScratchSize: 0
; MemoryBound: 0
; FloatMode: 240
; IeeeMode: 1
; LDSByteSize: 0 bytes/workgroup (compile time only)
; SGPRBlocks: 0
; VGPRBlocks: 0
; NumSGPRsForWavesPerEU: 6
; NumVGPRsForWavesPerEU: 1
; AccumOffset: 4
; Occupancy: 8
; WaveLimiterHint : 0
; COMPUTE_PGM_RSRC2:SCRATCH_EN: 0
; COMPUTE_PGM_RSRC2:USER_SGPR: 2
; COMPUTE_PGM_RSRC2:TRAP_HANDLER: 0
; COMPUTE_PGM_RSRC2:TGID_X_EN: 1
; COMPUTE_PGM_RSRC2:TGID_Y_EN: 0
; COMPUTE_PGM_RSRC2:TGID_Z_EN: 0
; COMPUTE_PGM_RSRC2:TIDIG_COMP_CNT: 0
; COMPUTE_PGM_RSRC3_GFX90A:ACCUM_OFFSET: 0
; COMPUTE_PGM_RSRC3_GFX90A:TG_SPLIT: 0
	.section	.text._ZN7rocprim17ROCPRIM_400000_NS6detail17trampoline_kernelINS0_14default_configENS1_35adjacent_difference_config_selectorILb0EjEEZNS1_24adjacent_difference_implIS3_Lb0ELb0EPjS7_N6thrust23THRUST_200600_302600_NS4plusIjEEEE10hipError_tPvRmT2_T3_mT4_P12ihipStream_tbEUlT_E_NS1_11comp_targetILNS1_3genE10ELNS1_11target_archE1201ELNS1_3gpuE5ELNS1_3repE0EEENS1_30default_config_static_selectorELNS0_4arch9wavefront6targetE1EEEvT1_,"axG",@progbits,_ZN7rocprim17ROCPRIM_400000_NS6detail17trampoline_kernelINS0_14default_configENS1_35adjacent_difference_config_selectorILb0EjEEZNS1_24adjacent_difference_implIS3_Lb0ELb0EPjS7_N6thrust23THRUST_200600_302600_NS4plusIjEEEE10hipError_tPvRmT2_T3_mT4_P12ihipStream_tbEUlT_E_NS1_11comp_targetILNS1_3genE10ELNS1_11target_archE1201ELNS1_3gpuE5ELNS1_3repE0EEENS1_30default_config_static_selectorELNS0_4arch9wavefront6targetE1EEEvT1_,comdat
	.protected	_ZN7rocprim17ROCPRIM_400000_NS6detail17trampoline_kernelINS0_14default_configENS1_35adjacent_difference_config_selectorILb0EjEEZNS1_24adjacent_difference_implIS3_Lb0ELb0EPjS7_N6thrust23THRUST_200600_302600_NS4plusIjEEEE10hipError_tPvRmT2_T3_mT4_P12ihipStream_tbEUlT_E_NS1_11comp_targetILNS1_3genE10ELNS1_11target_archE1201ELNS1_3gpuE5ELNS1_3repE0EEENS1_30default_config_static_selectorELNS0_4arch9wavefront6targetE1EEEvT1_ ; -- Begin function _ZN7rocprim17ROCPRIM_400000_NS6detail17trampoline_kernelINS0_14default_configENS1_35adjacent_difference_config_selectorILb0EjEEZNS1_24adjacent_difference_implIS3_Lb0ELb0EPjS7_N6thrust23THRUST_200600_302600_NS4plusIjEEEE10hipError_tPvRmT2_T3_mT4_P12ihipStream_tbEUlT_E_NS1_11comp_targetILNS1_3genE10ELNS1_11target_archE1201ELNS1_3gpuE5ELNS1_3repE0EEENS1_30default_config_static_selectorELNS0_4arch9wavefront6targetE1EEEvT1_
	.globl	_ZN7rocprim17ROCPRIM_400000_NS6detail17trampoline_kernelINS0_14default_configENS1_35adjacent_difference_config_selectorILb0EjEEZNS1_24adjacent_difference_implIS3_Lb0ELb0EPjS7_N6thrust23THRUST_200600_302600_NS4plusIjEEEE10hipError_tPvRmT2_T3_mT4_P12ihipStream_tbEUlT_E_NS1_11comp_targetILNS1_3genE10ELNS1_11target_archE1201ELNS1_3gpuE5ELNS1_3repE0EEENS1_30default_config_static_selectorELNS0_4arch9wavefront6targetE1EEEvT1_
	.p2align	8
	.type	_ZN7rocprim17ROCPRIM_400000_NS6detail17trampoline_kernelINS0_14default_configENS1_35adjacent_difference_config_selectorILb0EjEEZNS1_24adjacent_difference_implIS3_Lb0ELb0EPjS7_N6thrust23THRUST_200600_302600_NS4plusIjEEEE10hipError_tPvRmT2_T3_mT4_P12ihipStream_tbEUlT_E_NS1_11comp_targetILNS1_3genE10ELNS1_11target_archE1201ELNS1_3gpuE5ELNS1_3repE0EEENS1_30default_config_static_selectorELNS0_4arch9wavefront6targetE1EEEvT1_,@function
_ZN7rocprim17ROCPRIM_400000_NS6detail17trampoline_kernelINS0_14default_configENS1_35adjacent_difference_config_selectorILb0EjEEZNS1_24adjacent_difference_implIS3_Lb0ELb0EPjS7_N6thrust23THRUST_200600_302600_NS4plusIjEEEE10hipError_tPvRmT2_T3_mT4_P12ihipStream_tbEUlT_E_NS1_11comp_targetILNS1_3genE10ELNS1_11target_archE1201ELNS1_3gpuE5ELNS1_3repE0EEENS1_30default_config_static_selectorELNS0_4arch9wavefront6targetE1EEEvT1_: ; @_ZN7rocprim17ROCPRIM_400000_NS6detail17trampoline_kernelINS0_14default_configENS1_35adjacent_difference_config_selectorILb0EjEEZNS1_24adjacent_difference_implIS3_Lb0ELb0EPjS7_N6thrust23THRUST_200600_302600_NS4plusIjEEEE10hipError_tPvRmT2_T3_mT4_P12ihipStream_tbEUlT_E_NS1_11comp_targetILNS1_3genE10ELNS1_11target_archE1201ELNS1_3gpuE5ELNS1_3repE0EEENS1_30default_config_static_selectorELNS0_4arch9wavefront6targetE1EEEvT1_
; %bb.0:
	.section	.rodata,"a",@progbits
	.p2align	6, 0x0
	.amdhsa_kernel _ZN7rocprim17ROCPRIM_400000_NS6detail17trampoline_kernelINS0_14default_configENS1_35adjacent_difference_config_selectorILb0EjEEZNS1_24adjacent_difference_implIS3_Lb0ELb0EPjS7_N6thrust23THRUST_200600_302600_NS4plusIjEEEE10hipError_tPvRmT2_T3_mT4_P12ihipStream_tbEUlT_E_NS1_11comp_targetILNS1_3genE10ELNS1_11target_archE1201ELNS1_3gpuE5ELNS1_3repE0EEENS1_30default_config_static_selectorELNS0_4arch9wavefront6targetE1EEEvT1_
		.amdhsa_group_segment_fixed_size 0
		.amdhsa_private_segment_fixed_size 0
		.amdhsa_kernarg_size 56
		.amdhsa_user_sgpr_count 2
		.amdhsa_user_sgpr_dispatch_ptr 0
		.amdhsa_user_sgpr_queue_ptr 0
		.amdhsa_user_sgpr_kernarg_segment_ptr 1
		.amdhsa_user_sgpr_dispatch_id 0
		.amdhsa_user_sgpr_kernarg_preload_length 0
		.amdhsa_user_sgpr_kernarg_preload_offset 0
		.amdhsa_user_sgpr_private_segment_size 0
		.amdhsa_uses_dynamic_stack 0
		.amdhsa_enable_private_segment 0
		.amdhsa_system_sgpr_workgroup_id_x 1
		.amdhsa_system_sgpr_workgroup_id_y 0
		.amdhsa_system_sgpr_workgroup_id_z 0
		.amdhsa_system_sgpr_workgroup_info 0
		.amdhsa_system_vgpr_workitem_id 0
		.amdhsa_next_free_vgpr 1
		.amdhsa_next_free_sgpr 0
		.amdhsa_accum_offset 4
		.amdhsa_reserve_vcc 0
		.amdhsa_float_round_mode_32 0
		.amdhsa_float_round_mode_16_64 0
		.amdhsa_float_denorm_mode_32 3
		.amdhsa_float_denorm_mode_16_64 3
		.amdhsa_dx10_clamp 1
		.amdhsa_ieee_mode 1
		.amdhsa_fp16_overflow 0
		.amdhsa_tg_split 0
		.amdhsa_exception_fp_ieee_invalid_op 0
		.amdhsa_exception_fp_denorm_src 0
		.amdhsa_exception_fp_ieee_div_zero 0
		.amdhsa_exception_fp_ieee_overflow 0
		.amdhsa_exception_fp_ieee_underflow 0
		.amdhsa_exception_fp_ieee_inexact 0
		.amdhsa_exception_int_div_zero 0
	.end_amdhsa_kernel
	.section	.text._ZN7rocprim17ROCPRIM_400000_NS6detail17trampoline_kernelINS0_14default_configENS1_35adjacent_difference_config_selectorILb0EjEEZNS1_24adjacent_difference_implIS3_Lb0ELb0EPjS7_N6thrust23THRUST_200600_302600_NS4plusIjEEEE10hipError_tPvRmT2_T3_mT4_P12ihipStream_tbEUlT_E_NS1_11comp_targetILNS1_3genE10ELNS1_11target_archE1201ELNS1_3gpuE5ELNS1_3repE0EEENS1_30default_config_static_selectorELNS0_4arch9wavefront6targetE1EEEvT1_,"axG",@progbits,_ZN7rocprim17ROCPRIM_400000_NS6detail17trampoline_kernelINS0_14default_configENS1_35adjacent_difference_config_selectorILb0EjEEZNS1_24adjacent_difference_implIS3_Lb0ELb0EPjS7_N6thrust23THRUST_200600_302600_NS4plusIjEEEE10hipError_tPvRmT2_T3_mT4_P12ihipStream_tbEUlT_E_NS1_11comp_targetILNS1_3genE10ELNS1_11target_archE1201ELNS1_3gpuE5ELNS1_3repE0EEENS1_30default_config_static_selectorELNS0_4arch9wavefront6targetE1EEEvT1_,comdat
.Lfunc_end391:
	.size	_ZN7rocprim17ROCPRIM_400000_NS6detail17trampoline_kernelINS0_14default_configENS1_35adjacent_difference_config_selectorILb0EjEEZNS1_24adjacent_difference_implIS3_Lb0ELb0EPjS7_N6thrust23THRUST_200600_302600_NS4plusIjEEEE10hipError_tPvRmT2_T3_mT4_P12ihipStream_tbEUlT_E_NS1_11comp_targetILNS1_3genE10ELNS1_11target_archE1201ELNS1_3gpuE5ELNS1_3repE0EEENS1_30default_config_static_selectorELNS0_4arch9wavefront6targetE1EEEvT1_, .Lfunc_end391-_ZN7rocprim17ROCPRIM_400000_NS6detail17trampoline_kernelINS0_14default_configENS1_35adjacent_difference_config_selectorILb0EjEEZNS1_24adjacent_difference_implIS3_Lb0ELb0EPjS7_N6thrust23THRUST_200600_302600_NS4plusIjEEEE10hipError_tPvRmT2_T3_mT4_P12ihipStream_tbEUlT_E_NS1_11comp_targetILNS1_3genE10ELNS1_11target_archE1201ELNS1_3gpuE5ELNS1_3repE0EEENS1_30default_config_static_selectorELNS0_4arch9wavefront6targetE1EEEvT1_
                                        ; -- End function
	.section	.AMDGPU.csdata,"",@progbits
; Kernel info:
; codeLenInByte = 0
; NumSgprs: 6
; NumVgprs: 0
; NumAgprs: 0
; TotalNumVgprs: 0
; ScratchSize: 0
; MemoryBound: 0
; FloatMode: 240
; IeeeMode: 1
; LDSByteSize: 0 bytes/workgroup (compile time only)
; SGPRBlocks: 0
; VGPRBlocks: 0
; NumSGPRsForWavesPerEU: 6
; NumVGPRsForWavesPerEU: 1
; AccumOffset: 4
; Occupancy: 8
; WaveLimiterHint : 0
; COMPUTE_PGM_RSRC2:SCRATCH_EN: 0
; COMPUTE_PGM_RSRC2:USER_SGPR: 2
; COMPUTE_PGM_RSRC2:TRAP_HANDLER: 0
; COMPUTE_PGM_RSRC2:TGID_X_EN: 1
; COMPUTE_PGM_RSRC2:TGID_Y_EN: 0
; COMPUTE_PGM_RSRC2:TGID_Z_EN: 0
; COMPUTE_PGM_RSRC2:TIDIG_COMP_CNT: 0
; COMPUTE_PGM_RSRC3_GFX90A:ACCUM_OFFSET: 0
; COMPUTE_PGM_RSRC3_GFX90A:TG_SPLIT: 0
	.section	.text._ZN7rocprim17ROCPRIM_400000_NS6detail17trampoline_kernelINS0_14default_configENS1_35adjacent_difference_config_selectorILb0EjEEZNS1_24adjacent_difference_implIS3_Lb0ELb0EPjS7_N6thrust23THRUST_200600_302600_NS4plusIjEEEE10hipError_tPvRmT2_T3_mT4_P12ihipStream_tbEUlT_E_NS1_11comp_targetILNS1_3genE5ELNS1_11target_archE942ELNS1_3gpuE9ELNS1_3repE0EEENS1_30default_config_static_selectorELNS0_4arch9wavefront6targetE1EEEvT1_,"axG",@progbits,_ZN7rocprim17ROCPRIM_400000_NS6detail17trampoline_kernelINS0_14default_configENS1_35adjacent_difference_config_selectorILb0EjEEZNS1_24adjacent_difference_implIS3_Lb0ELb0EPjS7_N6thrust23THRUST_200600_302600_NS4plusIjEEEE10hipError_tPvRmT2_T3_mT4_P12ihipStream_tbEUlT_E_NS1_11comp_targetILNS1_3genE5ELNS1_11target_archE942ELNS1_3gpuE9ELNS1_3repE0EEENS1_30default_config_static_selectorELNS0_4arch9wavefront6targetE1EEEvT1_,comdat
	.protected	_ZN7rocprim17ROCPRIM_400000_NS6detail17trampoline_kernelINS0_14default_configENS1_35adjacent_difference_config_selectorILb0EjEEZNS1_24adjacent_difference_implIS3_Lb0ELb0EPjS7_N6thrust23THRUST_200600_302600_NS4plusIjEEEE10hipError_tPvRmT2_T3_mT4_P12ihipStream_tbEUlT_E_NS1_11comp_targetILNS1_3genE5ELNS1_11target_archE942ELNS1_3gpuE9ELNS1_3repE0EEENS1_30default_config_static_selectorELNS0_4arch9wavefront6targetE1EEEvT1_ ; -- Begin function _ZN7rocprim17ROCPRIM_400000_NS6detail17trampoline_kernelINS0_14default_configENS1_35adjacent_difference_config_selectorILb0EjEEZNS1_24adjacent_difference_implIS3_Lb0ELb0EPjS7_N6thrust23THRUST_200600_302600_NS4plusIjEEEE10hipError_tPvRmT2_T3_mT4_P12ihipStream_tbEUlT_E_NS1_11comp_targetILNS1_3genE5ELNS1_11target_archE942ELNS1_3gpuE9ELNS1_3repE0EEENS1_30default_config_static_selectorELNS0_4arch9wavefront6targetE1EEEvT1_
	.globl	_ZN7rocprim17ROCPRIM_400000_NS6detail17trampoline_kernelINS0_14default_configENS1_35adjacent_difference_config_selectorILb0EjEEZNS1_24adjacent_difference_implIS3_Lb0ELb0EPjS7_N6thrust23THRUST_200600_302600_NS4plusIjEEEE10hipError_tPvRmT2_T3_mT4_P12ihipStream_tbEUlT_E_NS1_11comp_targetILNS1_3genE5ELNS1_11target_archE942ELNS1_3gpuE9ELNS1_3repE0EEENS1_30default_config_static_selectorELNS0_4arch9wavefront6targetE1EEEvT1_
	.p2align	8
	.type	_ZN7rocprim17ROCPRIM_400000_NS6detail17trampoline_kernelINS0_14default_configENS1_35adjacent_difference_config_selectorILb0EjEEZNS1_24adjacent_difference_implIS3_Lb0ELb0EPjS7_N6thrust23THRUST_200600_302600_NS4plusIjEEEE10hipError_tPvRmT2_T3_mT4_P12ihipStream_tbEUlT_E_NS1_11comp_targetILNS1_3genE5ELNS1_11target_archE942ELNS1_3gpuE9ELNS1_3repE0EEENS1_30default_config_static_selectorELNS0_4arch9wavefront6targetE1EEEvT1_,@function
_ZN7rocprim17ROCPRIM_400000_NS6detail17trampoline_kernelINS0_14default_configENS1_35adjacent_difference_config_selectorILb0EjEEZNS1_24adjacent_difference_implIS3_Lb0ELb0EPjS7_N6thrust23THRUST_200600_302600_NS4plusIjEEEE10hipError_tPvRmT2_T3_mT4_P12ihipStream_tbEUlT_E_NS1_11comp_targetILNS1_3genE5ELNS1_11target_archE942ELNS1_3gpuE9ELNS1_3repE0EEENS1_30default_config_static_selectorELNS0_4arch9wavefront6targetE1EEEvT1_: ; @_ZN7rocprim17ROCPRIM_400000_NS6detail17trampoline_kernelINS0_14default_configENS1_35adjacent_difference_config_selectorILb0EjEEZNS1_24adjacent_difference_implIS3_Lb0ELb0EPjS7_N6thrust23THRUST_200600_302600_NS4plusIjEEEE10hipError_tPvRmT2_T3_mT4_P12ihipStream_tbEUlT_E_NS1_11comp_targetILNS1_3genE5ELNS1_11target_archE942ELNS1_3gpuE9ELNS1_3repE0EEENS1_30default_config_static_selectorELNS0_4arch9wavefront6targetE1EEEvT1_
; %bb.0:
	s_load_dwordx8 s[4:11], s[0:1], 0x0
	s_mov_b32 s12, 0x8234f460
	s_movk_i32 s3, 0x740
	s_load_dwordx2 s[0:1], s[0:1], 0x30
	s_waitcnt lgkmcnt(0)
	s_lshl_b64 s[6:7], s[6:7], 2
	s_add_u32 s20, s4, s6
	s_addc_u32 s21, s5, s7
	s_add_u32 s12, 0xec, s12
	s_addc_u32 s14, 0, 0
	v_add_co_u32_e64 v1, s[12:13], s12, 2.0
	s_cmp_lg_u64 s[12:13], 0
	s_addc_u32 s12, s14, 0x234f72
	v_readfirstlane_b32 s14, v1
	s_mul_hi_u32 s15, s14, 0xfffff8c0
	s_mul_i32 s13, s12, 0xfffff8c0
	s_sub_i32 s15, s15, s14
	s_add_i32 s15, s15, s13
	s_mul_i32 s17, s14, 0xfffff8c0
	s_mul_hi_u32 s13, s14, s15
	s_mul_i32 s16, s14, s15
	s_mul_hi_u32 s14, s14, s17
	s_add_u32 s14, s14, s16
	s_addc_u32 s13, 0, s13
	s_mul_hi_u32 s18, s12, s17
	s_mul_i32 s17, s12, s17
	s_add_u32 s14, s14, s17
	s_mul_hi_u32 s16, s12, s15
	s_addc_u32 s13, s13, s18
	s_addc_u32 s14, s16, 0
	s_mul_i32 s15, s12, s15
	s_add_u32 s13, s13, s15
	s_addc_u32 s14, 0, s14
	v_add_co_u32_e32 v1, vcc, s13, v1
	s_cmp_lg_u64 vcc, 0
	s_addc_u32 s12, s12, s14
	v_readfirstlane_b32 s15, v1
	s_mul_i32 s14, s10, s12
	s_mul_hi_u32 s16, s10, s15
	s_mul_hi_u32 s13, s10, s12
	s_add_u32 s14, s16, s14
	s_addc_u32 s13, 0, s13
	s_mul_hi_u32 s17, s11, s15
	s_mul_i32 s15, s11, s15
	s_add_u32 s14, s14, s15
	s_mul_hi_u32 s16, s11, s12
	s_addc_u32 s13, s13, s17
	s_addc_u32 s14, s16, 0
	s_mul_i32 s12, s11, s12
	s_add_u32 s12, s13, s12
	s_addc_u32 s13, 0, s14
	s_add_u32 s14, s12, 1
	s_addc_u32 s15, s13, 0
	s_add_u32 s16, s12, 2
	s_mul_i32 s18, s13, 0x740
	s_mul_hi_u32 s19, s12, 0x740
	s_addc_u32 s17, s13, 0
	s_add_i32 s19, s19, s18
	s_mul_i32 s18, s12, 0x740
	v_mov_b32_e32 v1, s18
	v_sub_co_u32_e32 v1, vcc, s10, v1
	s_cmp_lg_u64 vcc, 0
	s_subb_u32 s18, s11, s19
	v_subrev_co_u32_e32 v2, vcc, s3, v1
	s_cmp_lg_u64 vcc, 0
	s_subb_u32 s3, s18, 0
	v_readfirstlane_b32 s19, v2
	s_cmpk_gt_u32 s19, 0x73f
	s_cselect_b32 s19, -1, 0
	s_cmp_eq_u32 s3, 0
	s_cselect_b32 s3, s19, -1
	s_cmp_lg_u32 s3, 0
	s_cselect_b32 s3, s16, s14
	s_cselect_b32 s14, s17, s15
	v_readfirstlane_b32 s15, v1
	s_cmpk_gt_u32 s15, 0x73f
	s_cselect_b32 s15, -1, 0
	s_cmp_eq_u32 s18, 0
	s_cselect_b32 s15, s15, -1
	s_cmp_lg_u32 s15, 0
	s_cselect_b32 s14, s14, s13
	s_cselect_b32 s3, s3, s12
	s_mul_i32 s12, s14, 0x740
	s_mul_hi_u32 s13, s3, 0x740
	s_add_i32 s13, s13, s12
	s_mul_i32 s12, s3, 0x740
	s_sub_u32 s12, s10, s12
	s_subb_u32 s13, s11, s13
	s_cmp_lg_u64 s[12:13], 0
	s_cselect_b64 s[12:13], -1, 0
	v_cndmask_b32_e64 v1, 0, 1, s[12:13]
	s_mul_i32 s4, s2, 0x740
	v_readfirstlane_b32 s11, v1
	s_add_u32 s12, s3, s11
	s_addc_u32 s13, s14, 0
	s_add_u32 s2, s0, s2
	s_addc_u32 s3, s1, 0
	s_add_u32 s14, s12, -1
	s_addc_u32 s15, s13, -1
	v_mov_b64_e32 v[2:3], s[14:15]
	v_cmp_ge_u64_e64 s[0:1], s[2:3], v[2:3]
	s_mov_b32 s5, 0
	s_mov_b64 s[16:17], -1
	s_and_b64 vcc, exec, s[0:1]
	s_mul_i32 s11, s14, 0xfffff8c0
	s_cbranch_vccz .LBB392_60
; %bb.1:
	s_add_i32 s22, s11, s10
	s_lshl_b64 s[16:17], s[4:5], 2
	s_add_u32 s16, s20, s16
	s_addc_u32 s17, s21, s17
	v_cmp_gt_u32_e32 vcc, s22, v0
                                        ; implicit-def: $vgpr1
	s_and_saveexec_b64 s[18:19], vcc
	s_cbranch_execz .LBB392_3
; %bb.2:
	v_lshlrev_b32_e32 v1, 2, v0
	global_load_dword v1, v1, s[16:17]
.LBB392_3:
	s_or_b64 exec, exec, s[18:19]
	v_or_b32_e32 v2, 64, v0
	v_cmp_gt_u32_e32 vcc, s22, v2
                                        ; implicit-def: $vgpr2
	s_and_saveexec_b64 s[18:19], vcc
	s_cbranch_execz .LBB392_5
; %bb.4:
	v_lshlrev_b32_e32 v2, 2, v0
	global_load_dword v2, v2, s[16:17] offset:256
.LBB392_5:
	s_or_b64 exec, exec, s[18:19]
	v_or_b32_e32 v3, 0x80, v0
	v_cmp_gt_u32_e32 vcc, s22, v3
                                        ; implicit-def: $vgpr3
	s_and_saveexec_b64 s[18:19], vcc
	s_cbranch_execz .LBB392_7
; %bb.6:
	v_lshlrev_b32_e32 v3, 2, v0
	global_load_dword v3, v3, s[16:17] offset:512
.LBB392_7:
	s_or_b64 exec, exec, s[18:19]
	v_or_b32_e32 v4, 0xc0, v0
	v_cmp_gt_u32_e32 vcc, s22, v4
                                        ; implicit-def: $vgpr4
	s_and_saveexec_b64 s[18:19], vcc
	s_cbranch_execz .LBB392_9
; %bb.8:
	v_lshlrev_b32_e32 v4, 2, v0
	global_load_dword v4, v4, s[16:17] offset:768
.LBB392_9:
	s_or_b64 exec, exec, s[18:19]
	v_or_b32_e32 v5, 0x100, v0
	v_cmp_gt_u32_e32 vcc, s22, v5
                                        ; implicit-def: $vgpr5
	s_and_saveexec_b64 s[18:19], vcc
	s_cbranch_execz .LBB392_11
; %bb.10:
	v_lshlrev_b32_e32 v5, 2, v0
	global_load_dword v5, v5, s[16:17] offset:1024
.LBB392_11:
	s_or_b64 exec, exec, s[18:19]
	v_or_b32_e32 v6, 0x140, v0
	v_cmp_gt_u32_e32 vcc, s22, v6
                                        ; implicit-def: $vgpr6
	s_and_saveexec_b64 s[18:19], vcc
	s_cbranch_execz .LBB392_13
; %bb.12:
	v_lshlrev_b32_e32 v6, 2, v0
	global_load_dword v6, v6, s[16:17] offset:1280
.LBB392_13:
	s_or_b64 exec, exec, s[18:19]
	v_or_b32_e32 v7, 0x180, v0
	v_cmp_gt_u32_e32 vcc, s22, v7
                                        ; implicit-def: $vgpr7
	s_and_saveexec_b64 s[18:19], vcc
	s_cbranch_execz .LBB392_15
; %bb.14:
	v_lshlrev_b32_e32 v7, 2, v0
	global_load_dword v7, v7, s[16:17] offset:1536
.LBB392_15:
	s_or_b64 exec, exec, s[18:19]
	v_or_b32_e32 v8, 0x1c0, v0
	v_cmp_gt_u32_e32 vcc, s22, v8
                                        ; implicit-def: $vgpr8
	s_and_saveexec_b64 s[18:19], vcc
	s_cbranch_execz .LBB392_17
; %bb.16:
	v_lshlrev_b32_e32 v8, 2, v0
	global_load_dword v8, v8, s[16:17] offset:1792
.LBB392_17:
	s_or_b64 exec, exec, s[18:19]
	v_or_b32_e32 v9, 0x200, v0
	v_cmp_gt_u32_e32 vcc, s22, v9
                                        ; implicit-def: $vgpr9
	s_and_saveexec_b64 s[18:19], vcc
	s_cbranch_execz .LBB392_19
; %bb.18:
	v_lshlrev_b32_e32 v9, 2, v0
	global_load_dword v9, v9, s[16:17] offset:2048
.LBB392_19:
	s_or_b64 exec, exec, s[18:19]
	v_or_b32_e32 v10, 0x240, v0
	v_cmp_gt_u32_e32 vcc, s22, v10
                                        ; implicit-def: $vgpr10
	s_and_saveexec_b64 s[18:19], vcc
	s_cbranch_execz .LBB392_21
; %bb.20:
	v_lshlrev_b32_e32 v10, 2, v0
	global_load_dword v10, v10, s[16:17] offset:2304
.LBB392_21:
	s_or_b64 exec, exec, s[18:19]
	v_or_b32_e32 v11, 0x280, v0
	v_cmp_gt_u32_e32 vcc, s22, v11
                                        ; implicit-def: $vgpr11
	s_and_saveexec_b64 s[18:19], vcc
	s_cbranch_execz .LBB392_23
; %bb.22:
	v_lshlrev_b32_e32 v11, 2, v0
	global_load_dword v11, v11, s[16:17] offset:2560
.LBB392_23:
	s_or_b64 exec, exec, s[18:19]
	v_or_b32_e32 v12, 0x2c0, v0
	v_cmp_gt_u32_e32 vcc, s22, v12
                                        ; implicit-def: $vgpr12
	s_and_saveexec_b64 s[18:19], vcc
	s_cbranch_execz .LBB392_25
; %bb.24:
	v_lshlrev_b32_e32 v12, 2, v0
	global_load_dword v12, v12, s[16:17] offset:2816
.LBB392_25:
	s_or_b64 exec, exec, s[18:19]
	v_or_b32_e32 v13, 0x300, v0
	v_cmp_gt_u32_e32 vcc, s22, v13
                                        ; implicit-def: $vgpr13
	s_and_saveexec_b64 s[18:19], vcc
	s_cbranch_execz .LBB392_27
; %bb.26:
	v_lshlrev_b32_e32 v13, 2, v0
	global_load_dword v13, v13, s[16:17] offset:3072
.LBB392_27:
	s_or_b64 exec, exec, s[18:19]
	v_or_b32_e32 v14, 0x340, v0
	v_cmp_gt_u32_e32 vcc, s22, v14
                                        ; implicit-def: $vgpr14
	s_and_saveexec_b64 s[18:19], vcc
	s_cbranch_execz .LBB392_29
; %bb.28:
	v_lshlrev_b32_e32 v14, 2, v0
	global_load_dword v14, v14, s[16:17] offset:3328
.LBB392_29:
	s_or_b64 exec, exec, s[18:19]
	v_or_b32_e32 v15, 0x380, v0
	v_cmp_gt_u32_e32 vcc, s22, v15
                                        ; implicit-def: $vgpr15
	s_and_saveexec_b64 s[18:19], vcc
	s_cbranch_execz .LBB392_31
; %bb.30:
	v_lshlrev_b32_e32 v15, 2, v0
	global_load_dword v15, v15, s[16:17] offset:3584
.LBB392_31:
	s_or_b64 exec, exec, s[18:19]
	v_or_b32_e32 v16, 0x3c0, v0
	v_cmp_gt_u32_e32 vcc, s22, v16
                                        ; implicit-def: $vgpr16
	s_and_saveexec_b64 s[18:19], vcc
	s_cbranch_execz .LBB392_33
; %bb.32:
	v_lshlrev_b32_e32 v16, 2, v0
	global_load_dword v16, v16, s[16:17] offset:3840
.LBB392_33:
	s_or_b64 exec, exec, s[18:19]
	v_or_b32_e32 v18, 0x400, v0
	v_cmp_gt_u32_e32 vcc, s22, v18
                                        ; implicit-def: $vgpr17
	s_and_saveexec_b64 s[18:19], vcc
	s_cbranch_execz .LBB392_35
; %bb.34:
	v_lshlrev_b32_e32 v17, 2, v18
	global_load_dword v17, v17, s[16:17]
.LBB392_35:
	s_or_b64 exec, exec, s[18:19]
	v_or_b32_e32 v19, 0x440, v0
	v_cmp_gt_u32_e32 vcc, s22, v19
                                        ; implicit-def: $vgpr18
	s_and_saveexec_b64 s[18:19], vcc
	s_cbranch_execz .LBB392_37
; %bb.36:
	v_lshlrev_b32_e32 v18, 2, v19
	global_load_dword v18, v18, s[16:17]
.LBB392_37:
	s_or_b64 exec, exec, s[18:19]
	v_or_b32_e32 v20, 0x480, v0
	v_cmp_gt_u32_e32 vcc, s22, v20
                                        ; implicit-def: $vgpr19
	s_and_saveexec_b64 s[18:19], vcc
	s_cbranch_execz .LBB392_39
; %bb.38:
	v_lshlrev_b32_e32 v19, 2, v20
	global_load_dword v19, v19, s[16:17]
.LBB392_39:
	s_or_b64 exec, exec, s[18:19]
	v_or_b32_e32 v21, 0x4c0, v0
	v_cmp_gt_u32_e32 vcc, s22, v21
                                        ; implicit-def: $vgpr20
	s_and_saveexec_b64 s[18:19], vcc
	s_cbranch_execz .LBB392_41
; %bb.40:
	v_lshlrev_b32_e32 v20, 2, v21
	global_load_dword v20, v20, s[16:17]
.LBB392_41:
	s_or_b64 exec, exec, s[18:19]
	v_or_b32_e32 v22, 0x500, v0
	v_cmp_gt_u32_e32 vcc, s22, v22
                                        ; implicit-def: $vgpr21
	s_and_saveexec_b64 s[18:19], vcc
	s_cbranch_execz .LBB392_43
; %bb.42:
	v_lshlrev_b32_e32 v21, 2, v22
	global_load_dword v21, v21, s[16:17]
.LBB392_43:
	s_or_b64 exec, exec, s[18:19]
	v_or_b32_e32 v23, 0x540, v0
	v_cmp_gt_u32_e32 vcc, s22, v23
                                        ; implicit-def: $vgpr22
	s_and_saveexec_b64 s[18:19], vcc
	s_cbranch_execz .LBB392_45
; %bb.44:
	v_lshlrev_b32_e32 v22, 2, v23
	global_load_dword v22, v22, s[16:17]
.LBB392_45:
	s_or_b64 exec, exec, s[18:19]
	v_or_b32_e32 v24, 0x580, v0
	v_cmp_gt_u32_e32 vcc, s22, v24
                                        ; implicit-def: $vgpr23
	s_and_saveexec_b64 s[18:19], vcc
	s_cbranch_execz .LBB392_47
; %bb.46:
	v_lshlrev_b32_e32 v23, 2, v24
	global_load_dword v23, v23, s[16:17]
.LBB392_47:
	s_or_b64 exec, exec, s[18:19]
	v_or_b32_e32 v25, 0x5c0, v0
	v_cmp_gt_u32_e32 vcc, s22, v25
                                        ; implicit-def: $vgpr24
	s_and_saveexec_b64 s[18:19], vcc
	s_cbranch_execz .LBB392_49
; %bb.48:
	v_lshlrev_b32_e32 v24, 2, v25
	global_load_dword v24, v24, s[16:17]
.LBB392_49:
	s_or_b64 exec, exec, s[18:19]
	v_or_b32_e32 v26, 0x600, v0
	v_cmp_gt_u32_e32 vcc, s22, v26
                                        ; implicit-def: $vgpr25
	s_and_saveexec_b64 s[18:19], vcc
	s_cbranch_execz .LBB392_51
; %bb.50:
	v_lshlrev_b32_e32 v25, 2, v26
	global_load_dword v25, v25, s[16:17]
.LBB392_51:
	s_or_b64 exec, exec, s[18:19]
	v_or_b32_e32 v27, 0x640, v0
	v_cmp_gt_u32_e32 vcc, s22, v27
                                        ; implicit-def: $vgpr26
	s_and_saveexec_b64 s[18:19], vcc
	s_cbranch_execz .LBB392_53
; %bb.52:
	v_lshlrev_b32_e32 v26, 2, v27
	global_load_dword v26, v26, s[16:17]
.LBB392_53:
	s_or_b64 exec, exec, s[18:19]
	v_or_b32_e32 v28, 0x680, v0
	v_cmp_gt_u32_e32 vcc, s22, v28
                                        ; implicit-def: $vgpr27
	s_and_saveexec_b64 s[18:19], vcc
	s_cbranch_execz .LBB392_55
; %bb.54:
	v_lshlrev_b32_e32 v27, 2, v28
	global_load_dword v27, v27, s[16:17]
.LBB392_55:
	s_or_b64 exec, exec, s[18:19]
	v_or_b32_e32 v29, 0x6c0, v0
	v_cmp_gt_u32_e32 vcc, s22, v29
                                        ; implicit-def: $vgpr28
	s_and_saveexec_b64 s[18:19], vcc
	s_cbranch_execz .LBB392_57
; %bb.56:
	v_lshlrev_b32_e32 v28, 2, v29
	global_load_dword v28, v28, s[16:17]
.LBB392_57:
	s_or_b64 exec, exec, s[18:19]
	v_or_b32_e32 v30, 0x700, v0
	v_cmp_gt_u32_e32 vcc, s22, v30
                                        ; implicit-def: $vgpr29
	s_and_saveexec_b64 s[18:19], vcc
	s_cbranch_execz .LBB392_59
; %bb.58:
	v_lshlrev_b32_e32 v29, 2, v30
	global_load_dword v29, v29, s[16:17]
.LBB392_59:
	s_or_b64 exec, exec, s[18:19]
	v_lshlrev_b32_e32 v30, 2, v0
	s_mov_b64 s[16:17], 0
	s_waitcnt vmcnt(0)
	ds_write2st64_b32 v30, v1, v2 offset1:1
	ds_write2st64_b32 v30, v3, v4 offset0:2 offset1:3
	ds_write2st64_b32 v30, v5, v6 offset0:4 offset1:5
	;; [unrolled: 1-line block ×13, first 2 shown]
	ds_write_b32 v30, v29 offset:7168
	s_waitcnt lgkmcnt(0)
	; wave barrier
.LBB392_60:
	s_and_b64 vcc, exec, s[16:17]
	v_lshlrev_b32_e32 v2, 2, v0
	s_cbranch_vccz .LBB392_62
; %bb.61:
	s_lshl_b64 s[16:17], s[4:5], 2
	s_add_u32 s16, s20, s16
	s_addc_u32 s17, s21, s17
	v_mov_b32_e32 v3, 0
	v_lshl_add_u64 v[4:5], s[16:17], 0, v[2:3]
	s_movk_i32 s5, 0x1000
	v_add_co_u32_e32 v4, vcc, s5, v4
	global_load_dword v1, v2, s[16:17]
	global_load_dword v3, v2, s[16:17] offset:256
	global_load_dword v6, v2, s[16:17] offset:512
	;; [unrolled: 1-line block ×15, first 2 shown]
	v_addc_co_u32_e32 v5, vcc, 0, v5, vcc
	global_load_dword v20, v[4:5], off
	global_load_dword v21, v[4:5], off offset:256
	global_load_dword v22, v[4:5], off offset:512
	;; [unrolled: 1-line block ×12, first 2 shown]
	s_waitcnt vmcnt(27)
	ds_write2st64_b32 v2, v1, v3 offset1:1
	s_waitcnt vmcnt(25)
	ds_write2st64_b32 v2, v6, v7 offset0:2 offset1:3
	s_waitcnt vmcnt(23)
	ds_write2st64_b32 v2, v8, v9 offset0:4 offset1:5
	;; [unrolled: 2-line block ×13, first 2 shown]
	s_waitcnt vmcnt(0)
	ds_write_b32 v2, v32 offset:7168
	s_waitcnt lgkmcnt(0)
	; wave barrier
.LBB392_62:
	v_mul_u32_u24_e32 v1, 29, v0
	v_lshlrev_b32_e32 v1, 2, v1
	s_waitcnt lgkmcnt(0)
	ds_read_b32 v3, v1 offset:112
	ds_read2_b32 v[4:5], v1 offset0:26 offset1:27
	ds_read2_b32 v[6:7], v1 offset0:24 offset1:25
	ds_read2_b32 v[30:31], v1 offset1:1
	ds_read2_b32 v[28:29], v1 offset0:2 offset1:3
	ds_read2_b32 v[26:27], v1 offset0:4 offset1:5
	;; [unrolled: 1-line block ×11, first 2 shown]
	s_cmp_eq_u64 s[2:3], 0
	s_waitcnt lgkmcnt(0)
	; wave barrier
	s_waitcnt lgkmcnt(0)
	s_cbranch_scc1 .LBB392_67
; %bb.63:
	s_mov_b32 s5, 0
	s_lshl_b64 s[16:17], s[4:5], 2
	s_add_u32 s5, s20, s16
	s_addc_u32 s17, s21, s17
	s_add_u32 s16, s5, -4
	s_addc_u32 s17, s17, -1
	s_load_dword s5, s[16:17], 0x0
	s_cmp_eq_u64 s[2:3], s[14:15]
	s_cbranch_scc1 .LBB392_68
; %bb.64:
	v_cmp_ne_u32_e32 vcc, 0, v0
	s_waitcnt lgkmcnt(0)
	v_mov_b32_e32 v1, s5
	ds_write_b32 v2, v3
	s_waitcnt lgkmcnt(0)
	; wave barrier
	s_waitcnt lgkmcnt(0)
	s_and_saveexec_b64 s[14:15], vcc
	s_cbranch_execz .LBB392_66
; %bb.65:
	v_add_u32_e32 v1, -4, v2
	ds_read_b32 v1, v1
.LBB392_66:
	s_or_b64 exec, exec, s[14:15]
	s_waitcnt lgkmcnt(0)
	v_add_u32_e32 v1, v1, v30
	s_mov_b64 s[14:15], 0
	s_branch .LBB392_69
.LBB392_67:
                                        ; implicit-def: $vgpr32_vgpr33
                                        ; implicit-def: $vgpr34_vgpr35
                                        ; implicit-def: $vgpr36_vgpr37
                                        ; implicit-def: $vgpr38_vgpr39
                                        ; implicit-def: $vgpr40_vgpr41
                                        ; implicit-def: $vgpr42_vgpr43
                                        ; implicit-def: $vgpr44_vgpr45
                                        ; implicit-def: $vgpr46_vgpr47
                                        ; implicit-def: $vgpr48_vgpr49
                                        ; implicit-def: $vgpr50_vgpr51
                                        ; implicit-def: $vgpr52_vgpr53
                                        ; implicit-def: $vgpr54_vgpr55
                                        ; implicit-def: $vgpr56_vgpr57
                                        ; implicit-def: $vgpr58_vgpr59
                                        ; implicit-def: $vgpr1
	s_branch .LBB392_74
.LBB392_68:
	s_mov_b64 s[14:15], -1
                                        ; implicit-def: $vgpr1
.LBB392_69:
	s_and_b64 vcc, exec, s[14:15]
	v_mov_b64_e32 v[32:33], v[4:5]
	v_mov_b64_e32 v[34:35], v[6:7]
	v_mov_b64_e32 v[36:37], v[8:9]
	v_mov_b64_e32 v[38:39], v[10:11]
	v_mov_b64_e32 v[40:41], v[12:13]
	v_mov_b64_e32 v[42:43], v[14:15]
	v_mov_b64_e32 v[44:45], v[16:17]
	v_mov_b64_e32 v[46:47], v[18:19]
	v_mov_b64_e32 v[48:49], v[20:21]
	v_mov_b64_e32 v[50:51], v[22:23]
	v_mov_b64_e32 v[52:53], v[24:25]
	v_mov_b64_e32 v[54:55], v[26:27]
	v_mov_b64_e32 v[56:57], v[28:29]
	v_mov_b64_e32 v[58:59], v[30:31]
	s_cbranch_vccz .LBB392_73
; %bb.70:
	v_mul_u32_u24_e32 v1, 29, v0
	v_cmp_ne_u32_e32 vcc, 0, v0
	s_waitcnt lgkmcnt(0)
	v_mov_b32_e32 v60, s5
	ds_write_b32 v2, v3
	s_waitcnt lgkmcnt(0)
	; wave barrier
	s_waitcnt lgkmcnt(0)
	s_and_saveexec_b64 s[14:15], vcc
	s_cbranch_execz .LBB392_72
; %bb.71:
	v_add_u32_e32 v32, -4, v2
	ds_read_b32 v60, v32
.LBB392_72:
	s_or_b64 exec, exec, s[14:15]
	s_mulk_i32 s2, 0xf8c0
	s_add_i32 s2, s2, s10
	v_add_u32_e32 v32, 28, v1
	v_add_u32_e32 v34, 27, v1
	v_cmp_gt_u32_e32 vcc, s2, v32
	v_add_u32_e32 v36, 25, v1
	v_add_u32_e32 v38, 23, v1
	v_cndmask_b32_e32 v33, 0, v5, vcc
	v_cmp_gt_u32_e32 vcc, s2, v34
	v_add_u32_e32 v34, 26, v1
	v_add_u32_e32 v40, 21, v1
	v_cndmask_b32_e32 v32, 0, v4, vcc
	;; [unrolled: 4-line block ×8, first 2 shown]
	v_cmp_gt_u32_e32 vcc, s2, v40
	v_add_u32_e32 v61, 1, v1
	s_nop 0
	v_cndmask_b32_e32 v41, 0, v13, vcc
	v_cmp_gt_u32_e32 vcc, s2, v42
	v_add_u32_e32 v42, 18, v1
	s_nop 0
	v_cndmask_b32_e32 v40, 0, v12, vcc
	v_cmp_gt_u32_e32 vcc, s2, v42
	s_nop 1
	v_cndmask_b32_e32 v43, 0, v15, vcc
	v_cmp_gt_u32_e32 vcc, s2, v44
	v_add_u32_e32 v44, 16, v1
	s_nop 0
	v_cndmask_b32_e32 v42, 0, v14, vcc
	v_cmp_gt_u32_e32 vcc, s2, v44
	;; [unrolled: 7-line block ×9, first 2 shown]
	s_nop 1
	v_cndmask_b32_e32 v59, 0, v31, vcc
	v_cmp_gt_u32_e32 vcc, s2, v61
	s_nop 1
	v_cndmask_b32_e32 v58, 0, v30, vcc
	v_cmp_gt_u32_e32 vcc, s2, v1
	s_waitcnt lgkmcnt(0)
	s_nop 0
	v_cndmask_b32_e32 v1, 0, v60, vcc
	v_add_u32_e32 v1, v1, v30
.LBB392_73:
	s_cbranch_execnz .LBB392_83
.LBB392_74:
	s_cmp_eq_u64 s[12:13], 1
	v_cmp_ne_u32_e32 vcc, 0, v0
	s_cbranch_scc1 .LBB392_78
; %bb.75:
	v_mov_b32_e32 v1, v30
	ds_write_b32 v2, v3
	s_waitcnt lgkmcnt(0)
	; wave barrier
	s_waitcnt lgkmcnt(0)
	s_and_saveexec_b64 s[2:3], vcc
	s_cbranch_execz .LBB392_77
; %bb.76:
	v_add_u32_e32 v1, -4, v2
	ds_read_b32 v1, v1
	s_waitcnt lgkmcnt(0)
	v_add_u32_e32 v1, v1, v30
.LBB392_77:
	s_or_b64 exec, exec, s[2:3]
	s_mov_b64 s[2:3], 0
	s_branch .LBB392_79
.LBB392_78:
	s_mov_b64 s[2:3], -1
                                        ; implicit-def: $vgpr1
.LBB392_79:
	s_andn2_b64 vcc, exec, s[2:3]
	v_mov_b64_e32 v[32:33], v[4:5]
	v_mov_b64_e32 v[34:35], v[6:7]
	;; [unrolled: 1-line block ×14, first 2 shown]
	s_cbranch_vccnz .LBB392_83
; %bb.80:
	v_mad_u32_u24 v32, v0, 29, 28
	v_mad_u32_u24 v34, v0, 29, 27
	v_cmp_gt_u32_e32 vcc, s10, v32
	v_mad_u32_u24 v36, v0, 29, 25
	v_mad_u32_u24 v38, v0, 29, 23
	v_cndmask_b32_e32 v33, 0, v5, vcc
	v_cmp_gt_u32_e32 vcc, s10, v34
	v_mad_u32_u24 v34, v0, 29, 26
	v_mad_u32_u24 v40, v0, 29, 21
	v_cndmask_b32_e32 v32, 0, v4, vcc
	;; [unrolled: 4-line block ×8, first 2 shown]
	v_cmp_gt_u32_e32 vcc, s10, v40
	v_mad_u32_u24 v60, v0, 29, 1
	v_mul_u32_u24_e32 v1, 29, v0
	v_cndmask_b32_e32 v41, 0, v13, vcc
	v_cmp_gt_u32_e32 vcc, s10, v42
	v_mad_u32_u24 v42, v0, 29, 18
	v_cmp_gt_u32_e64 s[2:3], s10, v1
	v_cndmask_b32_e32 v40, 0, v12, vcc
	v_cmp_gt_u32_e32 vcc, s10, v42
	ds_write_b32 v2, v3
	s_waitcnt lgkmcnt(0)
	v_cndmask_b32_e32 v43, 0, v15, vcc
	v_cmp_gt_u32_e32 vcc, s10, v44
	v_mad_u32_u24 v44, v0, 29, 16
	; wave barrier
	s_nop 0
	v_cndmask_b32_e32 v42, 0, v14, vcc
	v_cmp_gt_u32_e32 vcc, s10, v44
	s_nop 1
	v_cndmask_b32_e32 v45, 0, v17, vcc
	v_cmp_gt_u32_e32 vcc, s10, v46
	v_mad_u32_u24 v46, v0, 29, 14
	s_nop 0
	v_cndmask_b32_e32 v44, 0, v16, vcc
	v_cmp_gt_u32_e32 vcc, s10, v46
	s_nop 1
	v_cndmask_b32_e32 v47, 0, v19, vcc
	v_cmp_gt_u32_e32 vcc, s10, v48
	v_mad_u32_u24 v48, v0, 29, 12
	;; [unrolled: 7-line block ×7, first 2 shown]
	s_nop 0
	v_cndmask_b32_e32 v56, 0, v28, vcc
	v_cmp_gt_u32_e32 vcc, s10, v58
	s_nop 1
	v_cndmask_b32_e32 v59, 0, v31, vcc
	v_cmp_gt_u32_e32 vcc, s10, v60
	s_nop 1
	v_cndmask_b32_e32 v58, 0, v30, vcc
	v_cmp_ne_u32_e32 vcc, 0, v0
	s_and_b64 s[12:13], vcc, s[2:3]
	s_and_saveexec_b64 s[2:3], s[12:13]
	s_cbranch_execz .LBB392_82
; %bb.81:
	v_add_u32_e32 v1, -4, v2
	ds_read_b32 v1, v1
	s_waitcnt lgkmcnt(0)
	v_add_u32_e32 v30, v1, v30
.LBB392_82:
	s_or_b64 exec, exec, s[2:3]
	v_mov_b32_e32 v1, v30
.LBB392_83:
	s_add_u32 s6, s8, s6
	s_addc_u32 s7, s9, s7
	v_add_u32_e32 v59, v59, v28
	v_add_u32_e32 v58, v58, v31
	;; [unrolled: 1-line block ×28, first 2 shown]
	s_and_b64 vcc, exec, s[0:1]
	s_waitcnt lgkmcnt(0)
	; wave barrier
	s_waitcnt lgkmcnt(0)
	s_cbranch_vccz .LBB392_141
; %bb.84:
	s_movk_i32 s2, 0x74
	v_mul_i32_i24_e32 v63, 0xffffff90, v0
	v_mul_u32_u24_e32 v62, 0x74, v0
	v_mad_u32_u24 v3, v0, s2, v63
	ds_write_b32 v62, v1
	ds_write2_b32 v62, v58, v59 offset0:1 offset1:2
	ds_write2_b32 v62, v56, v57 offset0:3 offset1:4
	;; [unrolled: 1-line block ×14, first 2 shown]
	s_waitcnt lgkmcnt(0)
	; wave barrier
	s_waitcnt lgkmcnt(0)
	ds_read2st64_b32 v[32:33], v3 offset0:1 offset1:2
	ds_read2st64_b32 v[30:31], v3 offset0:3 offset1:4
	;; [unrolled: 1-line block ×14, first 2 shown]
	s_mov_b32 s5, 0
	s_add_i32 s11, s11, s10
	s_lshl_b64 s[0:1], s[4:5], 2
	s_add_u32 s0, s6, s0
	s_addc_u32 s1, s7, s1
	v_mov_b32_e32 v3, 0
	v_lshl_add_u64 v[6:7], s[0:1], 0, v[2:3]
	v_cmp_gt_u32_e32 vcc, s11, v0
	s_and_saveexec_b64 s[0:1], vcc
	s_cbranch_execz .LBB392_86
; %bb.85:
	v_add_u32_e32 v3, v62, v63
	ds_read_b32 v3, v3
	s_waitcnt lgkmcnt(0)
	global_store_dword v[6:7], v3, off
.LBB392_86:
	s_or_b64 exec, exec, s[0:1]
	v_or_b32_e32 v3, 64, v0
	v_cmp_gt_u32_e32 vcc, s11, v3
	s_and_saveexec_b64 s[0:1], vcc
	s_cbranch_execz .LBB392_88
; %bb.87:
	s_waitcnt lgkmcnt(13)
	global_store_dword v[6:7], v32, off offset:256
.LBB392_88:
	s_or_b64 exec, exec, s[0:1]
	v_or_b32_e32 v3, 0x80, v0
	v_cmp_gt_u32_e32 vcc, s11, v3
	s_and_saveexec_b64 s[0:1], vcc
	s_cbranch_execz .LBB392_90
; %bb.89:
	s_waitcnt lgkmcnt(13)
	global_store_dword v[6:7], v33, off offset:512
.LBB392_90:
	;; [unrolled: 9-line block ×15, first 2 shown]
	s_or_b64 exec, exec, s[0:1]
	v_or_b32_e32 v3, 0x400, v0
	v_cmp_gt_u32_e32 vcc, s11, v3
	s_and_saveexec_b64 s[0:1], vcc
	s_cbranch_execz .LBB392_118
; %bb.117:
	s_waitcnt lgkmcnt(7)
	v_add_co_u32_e32 v20, vcc, 0x1000, v6
	s_nop 1
	v_addc_co_u32_e32 v21, vcc, 0, v7, vcc
	s_waitcnt lgkmcnt(6)
	global_store_dword v[20:21], v19, off
.LBB392_118:
	s_or_b64 exec, exec, s[0:1]
	v_or_b32_e32 v3, 0x440, v0
	v_cmp_gt_u32_e32 vcc, s11, v3
	s_and_saveexec_b64 s[0:1], vcc
	s_cbranch_execz .LBB392_120
; %bb.119:
	s_waitcnt lgkmcnt(6)
	v_add_co_u32_e32 v18, vcc, 0x1000, v6
	s_nop 1
	v_addc_co_u32_e32 v19, vcc, 0, v7, vcc
	s_waitcnt lgkmcnt(5)
	global_store_dword v[18:19], v16, off offset:256
.LBB392_120:
	s_or_b64 exec, exec, s[0:1]
	v_or_b32_e32 v3, 0x480, v0
	v_cmp_gt_u32_e32 vcc, s11, v3
	s_and_saveexec_b64 s[0:1], vcc
	s_cbranch_execz .LBB392_122
; %bb.121:
	s_waitcnt lgkmcnt(6)
	v_add_co_u32_e32 v18, vcc, 0x1000, v6
	s_nop 1
	v_addc_co_u32_e32 v19, vcc, 0, v7, vcc
	s_waitcnt lgkmcnt(5)
	global_store_dword v[18:19], v17, off offset:512
.LBB392_122:
	;; [unrolled: 13-line block ×11, first 2 shown]
	s_or_b64 exec, exec, s[0:1]
	v_or_b32_e32 v3, 0x700, v0
	v_cmp_gt_u32_e64 s[0:1], s11, v3
	s_branch .LBB392_143
.LBB392_141:
	s_mov_b64 s[0:1], 0
                                        ; implicit-def: $vgpr5
                                        ; implicit-def: $vgpr6_vgpr7
	s_cbranch_execz .LBB392_143
; %bb.142:
	s_mov_b32 s5, 0
	v_mul_u32_u24_e32 v3, 0x74, v0
	s_lshl_b64 s[2:3], s[4:5], 2
	s_movk_i32 s4, 0x74
	ds_write_b32 v3, v1
	ds_write2_b32 v3, v58, v59 offset0:1 offset1:2
	ds_write2_b32 v3, v56, v57 offset0:3 offset1:4
	;; [unrolled: 1-line block ×14, first 2 shown]
	v_mul_i32_i24_e32 v1, 0xffffff90, v0
	s_add_u32 s2, s6, s2
	v_mad_u32_u24 v3, v0, s4, v1
	s_addc_u32 s3, s7, s3
	s_waitcnt lgkmcnt(0)
	; wave barrier
	s_waitcnt lgkmcnt(0)
	ds_read2st64_b32 v[0:1], v3 offset1:1
	ds_read2st64_b32 v[8:9], v3 offset0:2 offset1:3
	ds_read2st64_b32 v[10:11], v3 offset0:4 offset1:5
	;; [unrolled: 1-line block ×13, first 2 shown]
	ds_read_b32 v5, v3 offset:7168
	v_mov_b32_e32 v3, 0
	v_lshl_add_u64 v[6:7], s[2:3], 0, v[2:3]
	s_waitcnt lgkmcnt(14)
	global_store_dword v2, v0, s[2:3]
	global_store_dword v2, v1, s[2:3] offset:256
	s_waitcnt lgkmcnt(13)
	global_store_dword v2, v8, s[2:3] offset:512
	global_store_dword v2, v9, s[2:3] offset:768
	s_waitcnt lgkmcnt(12)
	global_store_dword v2, v10, s[2:3] offset:1024
	;; [unrolled: 3-line block ×7, first 2 shown]
	global_store_dword v2, v21, s[2:3] offset:3840
	s_movk_i32 s2, 0x1000
	v_add_co_u32_e32 v0, vcc, s2, v6
	s_or_b64 s[0:1], s[0:1], exec
	s_nop 0
	v_addc_co_u32_e32 v1, vcc, 0, v7, vcc
	s_waitcnt lgkmcnt(6)
	global_store_dword v[0:1], v22, off
	global_store_dword v[0:1], v23, off offset:256
	s_waitcnt lgkmcnt(5)
	global_store_dword v[0:1], v24, off offset:512
	global_store_dword v[0:1], v25, off offset:768
	s_waitcnt lgkmcnt(4)
	global_store_dword v[0:1], v26, off offset:1024
	;; [unrolled: 3-line block ×5, first 2 shown]
	global_store_dword v[0:1], v33, off offset:2816
.LBB392_143:
	s_and_saveexec_b64 s[2:3], s[0:1]
	s_cbranch_execnz .LBB392_145
; %bb.144:
	s_endpgm
.LBB392_145:
	v_add_co_u32_e32 v0, vcc, 0x1000, v6
	s_nop 1
	v_addc_co_u32_e32 v1, vcc, 0, v7, vcc
	s_waitcnt lgkmcnt(0)
	global_store_dword v[0:1], v5, off offset:3072
	s_endpgm
	.section	.rodata,"a",@progbits
	.p2align	6, 0x0
	.amdhsa_kernel _ZN7rocprim17ROCPRIM_400000_NS6detail17trampoline_kernelINS0_14default_configENS1_35adjacent_difference_config_selectorILb0EjEEZNS1_24adjacent_difference_implIS3_Lb0ELb0EPjS7_N6thrust23THRUST_200600_302600_NS4plusIjEEEE10hipError_tPvRmT2_T3_mT4_P12ihipStream_tbEUlT_E_NS1_11comp_targetILNS1_3genE5ELNS1_11target_archE942ELNS1_3gpuE9ELNS1_3repE0EEENS1_30default_config_static_selectorELNS0_4arch9wavefront6targetE1EEEvT1_
		.amdhsa_group_segment_fixed_size 7424
		.amdhsa_private_segment_fixed_size 0
		.amdhsa_kernarg_size 56
		.amdhsa_user_sgpr_count 2
		.amdhsa_user_sgpr_dispatch_ptr 0
		.amdhsa_user_sgpr_queue_ptr 0
		.amdhsa_user_sgpr_kernarg_segment_ptr 1
		.amdhsa_user_sgpr_dispatch_id 0
		.amdhsa_user_sgpr_kernarg_preload_length 0
		.amdhsa_user_sgpr_kernarg_preload_offset 0
		.amdhsa_user_sgpr_private_segment_size 0
		.amdhsa_uses_dynamic_stack 0
		.amdhsa_enable_private_segment 0
		.amdhsa_system_sgpr_workgroup_id_x 1
		.amdhsa_system_sgpr_workgroup_id_y 0
		.amdhsa_system_sgpr_workgroup_id_z 0
		.amdhsa_system_sgpr_workgroup_info 0
		.amdhsa_system_vgpr_workitem_id 0
		.amdhsa_next_free_vgpr 64
		.amdhsa_next_free_sgpr 23
		.amdhsa_accum_offset 64
		.amdhsa_reserve_vcc 1
		.amdhsa_float_round_mode_32 0
		.amdhsa_float_round_mode_16_64 0
		.amdhsa_float_denorm_mode_32 3
		.amdhsa_float_denorm_mode_16_64 3
		.amdhsa_dx10_clamp 1
		.amdhsa_ieee_mode 1
		.amdhsa_fp16_overflow 0
		.amdhsa_tg_split 0
		.amdhsa_exception_fp_ieee_invalid_op 0
		.amdhsa_exception_fp_denorm_src 0
		.amdhsa_exception_fp_ieee_div_zero 0
		.amdhsa_exception_fp_ieee_overflow 0
		.amdhsa_exception_fp_ieee_underflow 0
		.amdhsa_exception_fp_ieee_inexact 0
		.amdhsa_exception_int_div_zero 0
	.end_amdhsa_kernel
	.section	.text._ZN7rocprim17ROCPRIM_400000_NS6detail17trampoline_kernelINS0_14default_configENS1_35adjacent_difference_config_selectorILb0EjEEZNS1_24adjacent_difference_implIS3_Lb0ELb0EPjS7_N6thrust23THRUST_200600_302600_NS4plusIjEEEE10hipError_tPvRmT2_T3_mT4_P12ihipStream_tbEUlT_E_NS1_11comp_targetILNS1_3genE5ELNS1_11target_archE942ELNS1_3gpuE9ELNS1_3repE0EEENS1_30default_config_static_selectorELNS0_4arch9wavefront6targetE1EEEvT1_,"axG",@progbits,_ZN7rocprim17ROCPRIM_400000_NS6detail17trampoline_kernelINS0_14default_configENS1_35adjacent_difference_config_selectorILb0EjEEZNS1_24adjacent_difference_implIS3_Lb0ELb0EPjS7_N6thrust23THRUST_200600_302600_NS4plusIjEEEE10hipError_tPvRmT2_T3_mT4_P12ihipStream_tbEUlT_E_NS1_11comp_targetILNS1_3genE5ELNS1_11target_archE942ELNS1_3gpuE9ELNS1_3repE0EEENS1_30default_config_static_selectorELNS0_4arch9wavefront6targetE1EEEvT1_,comdat
.Lfunc_end392:
	.size	_ZN7rocprim17ROCPRIM_400000_NS6detail17trampoline_kernelINS0_14default_configENS1_35adjacent_difference_config_selectorILb0EjEEZNS1_24adjacent_difference_implIS3_Lb0ELb0EPjS7_N6thrust23THRUST_200600_302600_NS4plusIjEEEE10hipError_tPvRmT2_T3_mT4_P12ihipStream_tbEUlT_E_NS1_11comp_targetILNS1_3genE5ELNS1_11target_archE942ELNS1_3gpuE9ELNS1_3repE0EEENS1_30default_config_static_selectorELNS0_4arch9wavefront6targetE1EEEvT1_, .Lfunc_end392-_ZN7rocprim17ROCPRIM_400000_NS6detail17trampoline_kernelINS0_14default_configENS1_35adjacent_difference_config_selectorILb0EjEEZNS1_24adjacent_difference_implIS3_Lb0ELb0EPjS7_N6thrust23THRUST_200600_302600_NS4plusIjEEEE10hipError_tPvRmT2_T3_mT4_P12ihipStream_tbEUlT_E_NS1_11comp_targetILNS1_3genE5ELNS1_11target_archE942ELNS1_3gpuE9ELNS1_3repE0EEENS1_30default_config_static_selectorELNS0_4arch9wavefront6targetE1EEEvT1_
                                        ; -- End function
	.section	.AMDGPU.csdata,"",@progbits
; Kernel info:
; codeLenInByte = 6064
; NumSgprs: 29
; NumVgprs: 64
; NumAgprs: 0
; TotalNumVgprs: 64
; ScratchSize: 0
; MemoryBound: 0
; FloatMode: 240
; IeeeMode: 1
; LDSByteSize: 7424 bytes/workgroup (compile time only)
; SGPRBlocks: 3
; VGPRBlocks: 7
; NumSGPRsForWavesPerEU: 29
; NumVGPRsForWavesPerEU: 64
; AccumOffset: 64
; Occupancy: 2
; WaveLimiterHint : 1
; COMPUTE_PGM_RSRC2:SCRATCH_EN: 0
; COMPUTE_PGM_RSRC2:USER_SGPR: 2
; COMPUTE_PGM_RSRC2:TRAP_HANDLER: 0
; COMPUTE_PGM_RSRC2:TGID_X_EN: 1
; COMPUTE_PGM_RSRC2:TGID_Y_EN: 0
; COMPUTE_PGM_RSRC2:TGID_Z_EN: 0
; COMPUTE_PGM_RSRC2:TIDIG_COMP_CNT: 0
; COMPUTE_PGM_RSRC3_GFX90A:ACCUM_OFFSET: 15
; COMPUTE_PGM_RSRC3_GFX90A:TG_SPLIT: 0
	.section	.text._ZN7rocprim17ROCPRIM_400000_NS6detail17trampoline_kernelINS0_14default_configENS1_35adjacent_difference_config_selectorILb0EjEEZNS1_24adjacent_difference_implIS3_Lb0ELb0EPjS7_N6thrust23THRUST_200600_302600_NS4plusIjEEEE10hipError_tPvRmT2_T3_mT4_P12ihipStream_tbEUlT_E_NS1_11comp_targetILNS1_3genE4ELNS1_11target_archE910ELNS1_3gpuE8ELNS1_3repE0EEENS1_30default_config_static_selectorELNS0_4arch9wavefront6targetE1EEEvT1_,"axG",@progbits,_ZN7rocprim17ROCPRIM_400000_NS6detail17trampoline_kernelINS0_14default_configENS1_35adjacent_difference_config_selectorILb0EjEEZNS1_24adjacent_difference_implIS3_Lb0ELb0EPjS7_N6thrust23THRUST_200600_302600_NS4plusIjEEEE10hipError_tPvRmT2_T3_mT4_P12ihipStream_tbEUlT_E_NS1_11comp_targetILNS1_3genE4ELNS1_11target_archE910ELNS1_3gpuE8ELNS1_3repE0EEENS1_30default_config_static_selectorELNS0_4arch9wavefront6targetE1EEEvT1_,comdat
	.protected	_ZN7rocprim17ROCPRIM_400000_NS6detail17trampoline_kernelINS0_14default_configENS1_35adjacent_difference_config_selectorILb0EjEEZNS1_24adjacent_difference_implIS3_Lb0ELb0EPjS7_N6thrust23THRUST_200600_302600_NS4plusIjEEEE10hipError_tPvRmT2_T3_mT4_P12ihipStream_tbEUlT_E_NS1_11comp_targetILNS1_3genE4ELNS1_11target_archE910ELNS1_3gpuE8ELNS1_3repE0EEENS1_30default_config_static_selectorELNS0_4arch9wavefront6targetE1EEEvT1_ ; -- Begin function _ZN7rocprim17ROCPRIM_400000_NS6detail17trampoline_kernelINS0_14default_configENS1_35adjacent_difference_config_selectorILb0EjEEZNS1_24adjacent_difference_implIS3_Lb0ELb0EPjS7_N6thrust23THRUST_200600_302600_NS4plusIjEEEE10hipError_tPvRmT2_T3_mT4_P12ihipStream_tbEUlT_E_NS1_11comp_targetILNS1_3genE4ELNS1_11target_archE910ELNS1_3gpuE8ELNS1_3repE0EEENS1_30default_config_static_selectorELNS0_4arch9wavefront6targetE1EEEvT1_
	.globl	_ZN7rocprim17ROCPRIM_400000_NS6detail17trampoline_kernelINS0_14default_configENS1_35adjacent_difference_config_selectorILb0EjEEZNS1_24adjacent_difference_implIS3_Lb0ELb0EPjS7_N6thrust23THRUST_200600_302600_NS4plusIjEEEE10hipError_tPvRmT2_T3_mT4_P12ihipStream_tbEUlT_E_NS1_11comp_targetILNS1_3genE4ELNS1_11target_archE910ELNS1_3gpuE8ELNS1_3repE0EEENS1_30default_config_static_selectorELNS0_4arch9wavefront6targetE1EEEvT1_
	.p2align	8
	.type	_ZN7rocprim17ROCPRIM_400000_NS6detail17trampoline_kernelINS0_14default_configENS1_35adjacent_difference_config_selectorILb0EjEEZNS1_24adjacent_difference_implIS3_Lb0ELb0EPjS7_N6thrust23THRUST_200600_302600_NS4plusIjEEEE10hipError_tPvRmT2_T3_mT4_P12ihipStream_tbEUlT_E_NS1_11comp_targetILNS1_3genE4ELNS1_11target_archE910ELNS1_3gpuE8ELNS1_3repE0EEENS1_30default_config_static_selectorELNS0_4arch9wavefront6targetE1EEEvT1_,@function
_ZN7rocprim17ROCPRIM_400000_NS6detail17trampoline_kernelINS0_14default_configENS1_35adjacent_difference_config_selectorILb0EjEEZNS1_24adjacent_difference_implIS3_Lb0ELb0EPjS7_N6thrust23THRUST_200600_302600_NS4plusIjEEEE10hipError_tPvRmT2_T3_mT4_P12ihipStream_tbEUlT_E_NS1_11comp_targetILNS1_3genE4ELNS1_11target_archE910ELNS1_3gpuE8ELNS1_3repE0EEENS1_30default_config_static_selectorELNS0_4arch9wavefront6targetE1EEEvT1_: ; @_ZN7rocprim17ROCPRIM_400000_NS6detail17trampoline_kernelINS0_14default_configENS1_35adjacent_difference_config_selectorILb0EjEEZNS1_24adjacent_difference_implIS3_Lb0ELb0EPjS7_N6thrust23THRUST_200600_302600_NS4plusIjEEEE10hipError_tPvRmT2_T3_mT4_P12ihipStream_tbEUlT_E_NS1_11comp_targetILNS1_3genE4ELNS1_11target_archE910ELNS1_3gpuE8ELNS1_3repE0EEENS1_30default_config_static_selectorELNS0_4arch9wavefront6targetE1EEEvT1_
; %bb.0:
	.section	.rodata,"a",@progbits
	.p2align	6, 0x0
	.amdhsa_kernel _ZN7rocprim17ROCPRIM_400000_NS6detail17trampoline_kernelINS0_14default_configENS1_35adjacent_difference_config_selectorILb0EjEEZNS1_24adjacent_difference_implIS3_Lb0ELb0EPjS7_N6thrust23THRUST_200600_302600_NS4plusIjEEEE10hipError_tPvRmT2_T3_mT4_P12ihipStream_tbEUlT_E_NS1_11comp_targetILNS1_3genE4ELNS1_11target_archE910ELNS1_3gpuE8ELNS1_3repE0EEENS1_30default_config_static_selectorELNS0_4arch9wavefront6targetE1EEEvT1_
		.amdhsa_group_segment_fixed_size 0
		.amdhsa_private_segment_fixed_size 0
		.amdhsa_kernarg_size 56
		.amdhsa_user_sgpr_count 2
		.amdhsa_user_sgpr_dispatch_ptr 0
		.amdhsa_user_sgpr_queue_ptr 0
		.amdhsa_user_sgpr_kernarg_segment_ptr 1
		.amdhsa_user_sgpr_dispatch_id 0
		.amdhsa_user_sgpr_kernarg_preload_length 0
		.amdhsa_user_sgpr_kernarg_preload_offset 0
		.amdhsa_user_sgpr_private_segment_size 0
		.amdhsa_uses_dynamic_stack 0
		.amdhsa_enable_private_segment 0
		.amdhsa_system_sgpr_workgroup_id_x 1
		.amdhsa_system_sgpr_workgroup_id_y 0
		.amdhsa_system_sgpr_workgroup_id_z 0
		.amdhsa_system_sgpr_workgroup_info 0
		.amdhsa_system_vgpr_workitem_id 0
		.amdhsa_next_free_vgpr 1
		.amdhsa_next_free_sgpr 0
		.amdhsa_accum_offset 4
		.amdhsa_reserve_vcc 0
		.amdhsa_float_round_mode_32 0
		.amdhsa_float_round_mode_16_64 0
		.amdhsa_float_denorm_mode_32 3
		.amdhsa_float_denorm_mode_16_64 3
		.amdhsa_dx10_clamp 1
		.amdhsa_ieee_mode 1
		.amdhsa_fp16_overflow 0
		.amdhsa_tg_split 0
		.amdhsa_exception_fp_ieee_invalid_op 0
		.amdhsa_exception_fp_denorm_src 0
		.amdhsa_exception_fp_ieee_div_zero 0
		.amdhsa_exception_fp_ieee_overflow 0
		.amdhsa_exception_fp_ieee_underflow 0
		.amdhsa_exception_fp_ieee_inexact 0
		.amdhsa_exception_int_div_zero 0
	.end_amdhsa_kernel
	.section	.text._ZN7rocprim17ROCPRIM_400000_NS6detail17trampoline_kernelINS0_14default_configENS1_35adjacent_difference_config_selectorILb0EjEEZNS1_24adjacent_difference_implIS3_Lb0ELb0EPjS7_N6thrust23THRUST_200600_302600_NS4plusIjEEEE10hipError_tPvRmT2_T3_mT4_P12ihipStream_tbEUlT_E_NS1_11comp_targetILNS1_3genE4ELNS1_11target_archE910ELNS1_3gpuE8ELNS1_3repE0EEENS1_30default_config_static_selectorELNS0_4arch9wavefront6targetE1EEEvT1_,"axG",@progbits,_ZN7rocprim17ROCPRIM_400000_NS6detail17trampoline_kernelINS0_14default_configENS1_35adjacent_difference_config_selectorILb0EjEEZNS1_24adjacent_difference_implIS3_Lb0ELb0EPjS7_N6thrust23THRUST_200600_302600_NS4plusIjEEEE10hipError_tPvRmT2_T3_mT4_P12ihipStream_tbEUlT_E_NS1_11comp_targetILNS1_3genE4ELNS1_11target_archE910ELNS1_3gpuE8ELNS1_3repE0EEENS1_30default_config_static_selectorELNS0_4arch9wavefront6targetE1EEEvT1_,comdat
.Lfunc_end393:
	.size	_ZN7rocprim17ROCPRIM_400000_NS6detail17trampoline_kernelINS0_14default_configENS1_35adjacent_difference_config_selectorILb0EjEEZNS1_24adjacent_difference_implIS3_Lb0ELb0EPjS7_N6thrust23THRUST_200600_302600_NS4plusIjEEEE10hipError_tPvRmT2_T3_mT4_P12ihipStream_tbEUlT_E_NS1_11comp_targetILNS1_3genE4ELNS1_11target_archE910ELNS1_3gpuE8ELNS1_3repE0EEENS1_30default_config_static_selectorELNS0_4arch9wavefront6targetE1EEEvT1_, .Lfunc_end393-_ZN7rocprim17ROCPRIM_400000_NS6detail17trampoline_kernelINS0_14default_configENS1_35adjacent_difference_config_selectorILb0EjEEZNS1_24adjacent_difference_implIS3_Lb0ELb0EPjS7_N6thrust23THRUST_200600_302600_NS4plusIjEEEE10hipError_tPvRmT2_T3_mT4_P12ihipStream_tbEUlT_E_NS1_11comp_targetILNS1_3genE4ELNS1_11target_archE910ELNS1_3gpuE8ELNS1_3repE0EEENS1_30default_config_static_selectorELNS0_4arch9wavefront6targetE1EEEvT1_
                                        ; -- End function
	.section	.AMDGPU.csdata,"",@progbits
; Kernel info:
; codeLenInByte = 0
; NumSgprs: 6
; NumVgprs: 0
; NumAgprs: 0
; TotalNumVgprs: 0
; ScratchSize: 0
; MemoryBound: 0
; FloatMode: 240
; IeeeMode: 1
; LDSByteSize: 0 bytes/workgroup (compile time only)
; SGPRBlocks: 0
; VGPRBlocks: 0
; NumSGPRsForWavesPerEU: 6
; NumVGPRsForWavesPerEU: 1
; AccumOffset: 4
; Occupancy: 8
; WaveLimiterHint : 0
; COMPUTE_PGM_RSRC2:SCRATCH_EN: 0
; COMPUTE_PGM_RSRC2:USER_SGPR: 2
; COMPUTE_PGM_RSRC2:TRAP_HANDLER: 0
; COMPUTE_PGM_RSRC2:TGID_X_EN: 1
; COMPUTE_PGM_RSRC2:TGID_Y_EN: 0
; COMPUTE_PGM_RSRC2:TGID_Z_EN: 0
; COMPUTE_PGM_RSRC2:TIDIG_COMP_CNT: 0
; COMPUTE_PGM_RSRC3_GFX90A:ACCUM_OFFSET: 0
; COMPUTE_PGM_RSRC3_GFX90A:TG_SPLIT: 0
	.section	.text._ZN7rocprim17ROCPRIM_400000_NS6detail17trampoline_kernelINS0_14default_configENS1_35adjacent_difference_config_selectorILb0EjEEZNS1_24adjacent_difference_implIS3_Lb0ELb0EPjS7_N6thrust23THRUST_200600_302600_NS4plusIjEEEE10hipError_tPvRmT2_T3_mT4_P12ihipStream_tbEUlT_E_NS1_11comp_targetILNS1_3genE3ELNS1_11target_archE908ELNS1_3gpuE7ELNS1_3repE0EEENS1_30default_config_static_selectorELNS0_4arch9wavefront6targetE1EEEvT1_,"axG",@progbits,_ZN7rocprim17ROCPRIM_400000_NS6detail17trampoline_kernelINS0_14default_configENS1_35adjacent_difference_config_selectorILb0EjEEZNS1_24adjacent_difference_implIS3_Lb0ELb0EPjS7_N6thrust23THRUST_200600_302600_NS4plusIjEEEE10hipError_tPvRmT2_T3_mT4_P12ihipStream_tbEUlT_E_NS1_11comp_targetILNS1_3genE3ELNS1_11target_archE908ELNS1_3gpuE7ELNS1_3repE0EEENS1_30default_config_static_selectorELNS0_4arch9wavefront6targetE1EEEvT1_,comdat
	.protected	_ZN7rocprim17ROCPRIM_400000_NS6detail17trampoline_kernelINS0_14default_configENS1_35adjacent_difference_config_selectorILb0EjEEZNS1_24adjacent_difference_implIS3_Lb0ELb0EPjS7_N6thrust23THRUST_200600_302600_NS4plusIjEEEE10hipError_tPvRmT2_T3_mT4_P12ihipStream_tbEUlT_E_NS1_11comp_targetILNS1_3genE3ELNS1_11target_archE908ELNS1_3gpuE7ELNS1_3repE0EEENS1_30default_config_static_selectorELNS0_4arch9wavefront6targetE1EEEvT1_ ; -- Begin function _ZN7rocprim17ROCPRIM_400000_NS6detail17trampoline_kernelINS0_14default_configENS1_35adjacent_difference_config_selectorILb0EjEEZNS1_24adjacent_difference_implIS3_Lb0ELb0EPjS7_N6thrust23THRUST_200600_302600_NS4plusIjEEEE10hipError_tPvRmT2_T3_mT4_P12ihipStream_tbEUlT_E_NS1_11comp_targetILNS1_3genE3ELNS1_11target_archE908ELNS1_3gpuE7ELNS1_3repE0EEENS1_30default_config_static_selectorELNS0_4arch9wavefront6targetE1EEEvT1_
	.globl	_ZN7rocprim17ROCPRIM_400000_NS6detail17trampoline_kernelINS0_14default_configENS1_35adjacent_difference_config_selectorILb0EjEEZNS1_24adjacent_difference_implIS3_Lb0ELb0EPjS7_N6thrust23THRUST_200600_302600_NS4plusIjEEEE10hipError_tPvRmT2_T3_mT4_P12ihipStream_tbEUlT_E_NS1_11comp_targetILNS1_3genE3ELNS1_11target_archE908ELNS1_3gpuE7ELNS1_3repE0EEENS1_30default_config_static_selectorELNS0_4arch9wavefront6targetE1EEEvT1_
	.p2align	8
	.type	_ZN7rocprim17ROCPRIM_400000_NS6detail17trampoline_kernelINS0_14default_configENS1_35adjacent_difference_config_selectorILb0EjEEZNS1_24adjacent_difference_implIS3_Lb0ELb0EPjS7_N6thrust23THRUST_200600_302600_NS4plusIjEEEE10hipError_tPvRmT2_T3_mT4_P12ihipStream_tbEUlT_E_NS1_11comp_targetILNS1_3genE3ELNS1_11target_archE908ELNS1_3gpuE7ELNS1_3repE0EEENS1_30default_config_static_selectorELNS0_4arch9wavefront6targetE1EEEvT1_,@function
_ZN7rocprim17ROCPRIM_400000_NS6detail17trampoline_kernelINS0_14default_configENS1_35adjacent_difference_config_selectorILb0EjEEZNS1_24adjacent_difference_implIS3_Lb0ELb0EPjS7_N6thrust23THRUST_200600_302600_NS4plusIjEEEE10hipError_tPvRmT2_T3_mT4_P12ihipStream_tbEUlT_E_NS1_11comp_targetILNS1_3genE3ELNS1_11target_archE908ELNS1_3gpuE7ELNS1_3repE0EEENS1_30default_config_static_selectorELNS0_4arch9wavefront6targetE1EEEvT1_: ; @_ZN7rocprim17ROCPRIM_400000_NS6detail17trampoline_kernelINS0_14default_configENS1_35adjacent_difference_config_selectorILb0EjEEZNS1_24adjacent_difference_implIS3_Lb0ELb0EPjS7_N6thrust23THRUST_200600_302600_NS4plusIjEEEE10hipError_tPvRmT2_T3_mT4_P12ihipStream_tbEUlT_E_NS1_11comp_targetILNS1_3genE3ELNS1_11target_archE908ELNS1_3gpuE7ELNS1_3repE0EEENS1_30default_config_static_selectorELNS0_4arch9wavefront6targetE1EEEvT1_
; %bb.0:
	.section	.rodata,"a",@progbits
	.p2align	6, 0x0
	.amdhsa_kernel _ZN7rocprim17ROCPRIM_400000_NS6detail17trampoline_kernelINS0_14default_configENS1_35adjacent_difference_config_selectorILb0EjEEZNS1_24adjacent_difference_implIS3_Lb0ELb0EPjS7_N6thrust23THRUST_200600_302600_NS4plusIjEEEE10hipError_tPvRmT2_T3_mT4_P12ihipStream_tbEUlT_E_NS1_11comp_targetILNS1_3genE3ELNS1_11target_archE908ELNS1_3gpuE7ELNS1_3repE0EEENS1_30default_config_static_selectorELNS0_4arch9wavefront6targetE1EEEvT1_
		.amdhsa_group_segment_fixed_size 0
		.amdhsa_private_segment_fixed_size 0
		.amdhsa_kernarg_size 56
		.amdhsa_user_sgpr_count 2
		.amdhsa_user_sgpr_dispatch_ptr 0
		.amdhsa_user_sgpr_queue_ptr 0
		.amdhsa_user_sgpr_kernarg_segment_ptr 1
		.amdhsa_user_sgpr_dispatch_id 0
		.amdhsa_user_sgpr_kernarg_preload_length 0
		.amdhsa_user_sgpr_kernarg_preload_offset 0
		.amdhsa_user_sgpr_private_segment_size 0
		.amdhsa_uses_dynamic_stack 0
		.amdhsa_enable_private_segment 0
		.amdhsa_system_sgpr_workgroup_id_x 1
		.amdhsa_system_sgpr_workgroup_id_y 0
		.amdhsa_system_sgpr_workgroup_id_z 0
		.amdhsa_system_sgpr_workgroup_info 0
		.amdhsa_system_vgpr_workitem_id 0
		.amdhsa_next_free_vgpr 1
		.amdhsa_next_free_sgpr 0
		.amdhsa_accum_offset 4
		.amdhsa_reserve_vcc 0
		.amdhsa_float_round_mode_32 0
		.amdhsa_float_round_mode_16_64 0
		.amdhsa_float_denorm_mode_32 3
		.amdhsa_float_denorm_mode_16_64 3
		.amdhsa_dx10_clamp 1
		.amdhsa_ieee_mode 1
		.amdhsa_fp16_overflow 0
		.amdhsa_tg_split 0
		.amdhsa_exception_fp_ieee_invalid_op 0
		.amdhsa_exception_fp_denorm_src 0
		.amdhsa_exception_fp_ieee_div_zero 0
		.amdhsa_exception_fp_ieee_overflow 0
		.amdhsa_exception_fp_ieee_underflow 0
		.amdhsa_exception_fp_ieee_inexact 0
		.amdhsa_exception_int_div_zero 0
	.end_amdhsa_kernel
	.section	.text._ZN7rocprim17ROCPRIM_400000_NS6detail17trampoline_kernelINS0_14default_configENS1_35adjacent_difference_config_selectorILb0EjEEZNS1_24adjacent_difference_implIS3_Lb0ELb0EPjS7_N6thrust23THRUST_200600_302600_NS4plusIjEEEE10hipError_tPvRmT2_T3_mT4_P12ihipStream_tbEUlT_E_NS1_11comp_targetILNS1_3genE3ELNS1_11target_archE908ELNS1_3gpuE7ELNS1_3repE0EEENS1_30default_config_static_selectorELNS0_4arch9wavefront6targetE1EEEvT1_,"axG",@progbits,_ZN7rocprim17ROCPRIM_400000_NS6detail17trampoline_kernelINS0_14default_configENS1_35adjacent_difference_config_selectorILb0EjEEZNS1_24adjacent_difference_implIS3_Lb0ELb0EPjS7_N6thrust23THRUST_200600_302600_NS4plusIjEEEE10hipError_tPvRmT2_T3_mT4_P12ihipStream_tbEUlT_E_NS1_11comp_targetILNS1_3genE3ELNS1_11target_archE908ELNS1_3gpuE7ELNS1_3repE0EEENS1_30default_config_static_selectorELNS0_4arch9wavefront6targetE1EEEvT1_,comdat
.Lfunc_end394:
	.size	_ZN7rocprim17ROCPRIM_400000_NS6detail17trampoline_kernelINS0_14default_configENS1_35adjacent_difference_config_selectorILb0EjEEZNS1_24adjacent_difference_implIS3_Lb0ELb0EPjS7_N6thrust23THRUST_200600_302600_NS4plusIjEEEE10hipError_tPvRmT2_T3_mT4_P12ihipStream_tbEUlT_E_NS1_11comp_targetILNS1_3genE3ELNS1_11target_archE908ELNS1_3gpuE7ELNS1_3repE0EEENS1_30default_config_static_selectorELNS0_4arch9wavefront6targetE1EEEvT1_, .Lfunc_end394-_ZN7rocprim17ROCPRIM_400000_NS6detail17trampoline_kernelINS0_14default_configENS1_35adjacent_difference_config_selectorILb0EjEEZNS1_24adjacent_difference_implIS3_Lb0ELb0EPjS7_N6thrust23THRUST_200600_302600_NS4plusIjEEEE10hipError_tPvRmT2_T3_mT4_P12ihipStream_tbEUlT_E_NS1_11comp_targetILNS1_3genE3ELNS1_11target_archE908ELNS1_3gpuE7ELNS1_3repE0EEENS1_30default_config_static_selectorELNS0_4arch9wavefront6targetE1EEEvT1_
                                        ; -- End function
	.section	.AMDGPU.csdata,"",@progbits
; Kernel info:
; codeLenInByte = 0
; NumSgprs: 6
; NumVgprs: 0
; NumAgprs: 0
; TotalNumVgprs: 0
; ScratchSize: 0
; MemoryBound: 0
; FloatMode: 240
; IeeeMode: 1
; LDSByteSize: 0 bytes/workgroup (compile time only)
; SGPRBlocks: 0
; VGPRBlocks: 0
; NumSGPRsForWavesPerEU: 6
; NumVGPRsForWavesPerEU: 1
; AccumOffset: 4
; Occupancy: 8
; WaveLimiterHint : 0
; COMPUTE_PGM_RSRC2:SCRATCH_EN: 0
; COMPUTE_PGM_RSRC2:USER_SGPR: 2
; COMPUTE_PGM_RSRC2:TRAP_HANDLER: 0
; COMPUTE_PGM_RSRC2:TGID_X_EN: 1
; COMPUTE_PGM_RSRC2:TGID_Y_EN: 0
; COMPUTE_PGM_RSRC2:TGID_Z_EN: 0
; COMPUTE_PGM_RSRC2:TIDIG_COMP_CNT: 0
; COMPUTE_PGM_RSRC3_GFX90A:ACCUM_OFFSET: 0
; COMPUTE_PGM_RSRC3_GFX90A:TG_SPLIT: 0
	.section	.text._ZN7rocprim17ROCPRIM_400000_NS6detail17trampoline_kernelINS0_14default_configENS1_35adjacent_difference_config_selectorILb0EjEEZNS1_24adjacent_difference_implIS3_Lb0ELb0EPjS7_N6thrust23THRUST_200600_302600_NS4plusIjEEEE10hipError_tPvRmT2_T3_mT4_P12ihipStream_tbEUlT_E_NS1_11comp_targetILNS1_3genE2ELNS1_11target_archE906ELNS1_3gpuE6ELNS1_3repE0EEENS1_30default_config_static_selectorELNS0_4arch9wavefront6targetE1EEEvT1_,"axG",@progbits,_ZN7rocprim17ROCPRIM_400000_NS6detail17trampoline_kernelINS0_14default_configENS1_35adjacent_difference_config_selectorILb0EjEEZNS1_24adjacent_difference_implIS3_Lb0ELb0EPjS7_N6thrust23THRUST_200600_302600_NS4plusIjEEEE10hipError_tPvRmT2_T3_mT4_P12ihipStream_tbEUlT_E_NS1_11comp_targetILNS1_3genE2ELNS1_11target_archE906ELNS1_3gpuE6ELNS1_3repE0EEENS1_30default_config_static_selectorELNS0_4arch9wavefront6targetE1EEEvT1_,comdat
	.protected	_ZN7rocprim17ROCPRIM_400000_NS6detail17trampoline_kernelINS0_14default_configENS1_35adjacent_difference_config_selectorILb0EjEEZNS1_24adjacent_difference_implIS3_Lb0ELb0EPjS7_N6thrust23THRUST_200600_302600_NS4plusIjEEEE10hipError_tPvRmT2_T3_mT4_P12ihipStream_tbEUlT_E_NS1_11comp_targetILNS1_3genE2ELNS1_11target_archE906ELNS1_3gpuE6ELNS1_3repE0EEENS1_30default_config_static_selectorELNS0_4arch9wavefront6targetE1EEEvT1_ ; -- Begin function _ZN7rocprim17ROCPRIM_400000_NS6detail17trampoline_kernelINS0_14default_configENS1_35adjacent_difference_config_selectorILb0EjEEZNS1_24adjacent_difference_implIS3_Lb0ELb0EPjS7_N6thrust23THRUST_200600_302600_NS4plusIjEEEE10hipError_tPvRmT2_T3_mT4_P12ihipStream_tbEUlT_E_NS1_11comp_targetILNS1_3genE2ELNS1_11target_archE906ELNS1_3gpuE6ELNS1_3repE0EEENS1_30default_config_static_selectorELNS0_4arch9wavefront6targetE1EEEvT1_
	.globl	_ZN7rocprim17ROCPRIM_400000_NS6detail17trampoline_kernelINS0_14default_configENS1_35adjacent_difference_config_selectorILb0EjEEZNS1_24adjacent_difference_implIS3_Lb0ELb0EPjS7_N6thrust23THRUST_200600_302600_NS4plusIjEEEE10hipError_tPvRmT2_T3_mT4_P12ihipStream_tbEUlT_E_NS1_11comp_targetILNS1_3genE2ELNS1_11target_archE906ELNS1_3gpuE6ELNS1_3repE0EEENS1_30default_config_static_selectorELNS0_4arch9wavefront6targetE1EEEvT1_
	.p2align	8
	.type	_ZN7rocprim17ROCPRIM_400000_NS6detail17trampoline_kernelINS0_14default_configENS1_35adjacent_difference_config_selectorILb0EjEEZNS1_24adjacent_difference_implIS3_Lb0ELb0EPjS7_N6thrust23THRUST_200600_302600_NS4plusIjEEEE10hipError_tPvRmT2_T3_mT4_P12ihipStream_tbEUlT_E_NS1_11comp_targetILNS1_3genE2ELNS1_11target_archE906ELNS1_3gpuE6ELNS1_3repE0EEENS1_30default_config_static_selectorELNS0_4arch9wavefront6targetE1EEEvT1_,@function
_ZN7rocprim17ROCPRIM_400000_NS6detail17trampoline_kernelINS0_14default_configENS1_35adjacent_difference_config_selectorILb0EjEEZNS1_24adjacent_difference_implIS3_Lb0ELb0EPjS7_N6thrust23THRUST_200600_302600_NS4plusIjEEEE10hipError_tPvRmT2_T3_mT4_P12ihipStream_tbEUlT_E_NS1_11comp_targetILNS1_3genE2ELNS1_11target_archE906ELNS1_3gpuE6ELNS1_3repE0EEENS1_30default_config_static_selectorELNS0_4arch9wavefront6targetE1EEEvT1_: ; @_ZN7rocprim17ROCPRIM_400000_NS6detail17trampoline_kernelINS0_14default_configENS1_35adjacent_difference_config_selectorILb0EjEEZNS1_24adjacent_difference_implIS3_Lb0ELb0EPjS7_N6thrust23THRUST_200600_302600_NS4plusIjEEEE10hipError_tPvRmT2_T3_mT4_P12ihipStream_tbEUlT_E_NS1_11comp_targetILNS1_3genE2ELNS1_11target_archE906ELNS1_3gpuE6ELNS1_3repE0EEENS1_30default_config_static_selectorELNS0_4arch9wavefront6targetE1EEEvT1_
; %bb.0:
	.section	.rodata,"a",@progbits
	.p2align	6, 0x0
	.amdhsa_kernel _ZN7rocprim17ROCPRIM_400000_NS6detail17trampoline_kernelINS0_14default_configENS1_35adjacent_difference_config_selectorILb0EjEEZNS1_24adjacent_difference_implIS3_Lb0ELb0EPjS7_N6thrust23THRUST_200600_302600_NS4plusIjEEEE10hipError_tPvRmT2_T3_mT4_P12ihipStream_tbEUlT_E_NS1_11comp_targetILNS1_3genE2ELNS1_11target_archE906ELNS1_3gpuE6ELNS1_3repE0EEENS1_30default_config_static_selectorELNS0_4arch9wavefront6targetE1EEEvT1_
		.amdhsa_group_segment_fixed_size 0
		.amdhsa_private_segment_fixed_size 0
		.amdhsa_kernarg_size 56
		.amdhsa_user_sgpr_count 2
		.amdhsa_user_sgpr_dispatch_ptr 0
		.amdhsa_user_sgpr_queue_ptr 0
		.amdhsa_user_sgpr_kernarg_segment_ptr 1
		.amdhsa_user_sgpr_dispatch_id 0
		.amdhsa_user_sgpr_kernarg_preload_length 0
		.amdhsa_user_sgpr_kernarg_preload_offset 0
		.amdhsa_user_sgpr_private_segment_size 0
		.amdhsa_uses_dynamic_stack 0
		.amdhsa_enable_private_segment 0
		.amdhsa_system_sgpr_workgroup_id_x 1
		.amdhsa_system_sgpr_workgroup_id_y 0
		.amdhsa_system_sgpr_workgroup_id_z 0
		.amdhsa_system_sgpr_workgroup_info 0
		.amdhsa_system_vgpr_workitem_id 0
		.amdhsa_next_free_vgpr 1
		.amdhsa_next_free_sgpr 0
		.amdhsa_accum_offset 4
		.amdhsa_reserve_vcc 0
		.amdhsa_float_round_mode_32 0
		.amdhsa_float_round_mode_16_64 0
		.amdhsa_float_denorm_mode_32 3
		.amdhsa_float_denorm_mode_16_64 3
		.amdhsa_dx10_clamp 1
		.amdhsa_ieee_mode 1
		.amdhsa_fp16_overflow 0
		.amdhsa_tg_split 0
		.amdhsa_exception_fp_ieee_invalid_op 0
		.amdhsa_exception_fp_denorm_src 0
		.amdhsa_exception_fp_ieee_div_zero 0
		.amdhsa_exception_fp_ieee_overflow 0
		.amdhsa_exception_fp_ieee_underflow 0
		.amdhsa_exception_fp_ieee_inexact 0
		.amdhsa_exception_int_div_zero 0
	.end_amdhsa_kernel
	.section	.text._ZN7rocprim17ROCPRIM_400000_NS6detail17trampoline_kernelINS0_14default_configENS1_35adjacent_difference_config_selectorILb0EjEEZNS1_24adjacent_difference_implIS3_Lb0ELb0EPjS7_N6thrust23THRUST_200600_302600_NS4plusIjEEEE10hipError_tPvRmT2_T3_mT4_P12ihipStream_tbEUlT_E_NS1_11comp_targetILNS1_3genE2ELNS1_11target_archE906ELNS1_3gpuE6ELNS1_3repE0EEENS1_30default_config_static_selectorELNS0_4arch9wavefront6targetE1EEEvT1_,"axG",@progbits,_ZN7rocprim17ROCPRIM_400000_NS6detail17trampoline_kernelINS0_14default_configENS1_35adjacent_difference_config_selectorILb0EjEEZNS1_24adjacent_difference_implIS3_Lb0ELb0EPjS7_N6thrust23THRUST_200600_302600_NS4plusIjEEEE10hipError_tPvRmT2_T3_mT4_P12ihipStream_tbEUlT_E_NS1_11comp_targetILNS1_3genE2ELNS1_11target_archE906ELNS1_3gpuE6ELNS1_3repE0EEENS1_30default_config_static_selectorELNS0_4arch9wavefront6targetE1EEEvT1_,comdat
.Lfunc_end395:
	.size	_ZN7rocprim17ROCPRIM_400000_NS6detail17trampoline_kernelINS0_14default_configENS1_35adjacent_difference_config_selectorILb0EjEEZNS1_24adjacent_difference_implIS3_Lb0ELb0EPjS7_N6thrust23THRUST_200600_302600_NS4plusIjEEEE10hipError_tPvRmT2_T3_mT4_P12ihipStream_tbEUlT_E_NS1_11comp_targetILNS1_3genE2ELNS1_11target_archE906ELNS1_3gpuE6ELNS1_3repE0EEENS1_30default_config_static_selectorELNS0_4arch9wavefront6targetE1EEEvT1_, .Lfunc_end395-_ZN7rocprim17ROCPRIM_400000_NS6detail17trampoline_kernelINS0_14default_configENS1_35adjacent_difference_config_selectorILb0EjEEZNS1_24adjacent_difference_implIS3_Lb0ELb0EPjS7_N6thrust23THRUST_200600_302600_NS4plusIjEEEE10hipError_tPvRmT2_T3_mT4_P12ihipStream_tbEUlT_E_NS1_11comp_targetILNS1_3genE2ELNS1_11target_archE906ELNS1_3gpuE6ELNS1_3repE0EEENS1_30default_config_static_selectorELNS0_4arch9wavefront6targetE1EEEvT1_
                                        ; -- End function
	.section	.AMDGPU.csdata,"",@progbits
; Kernel info:
; codeLenInByte = 0
; NumSgprs: 6
; NumVgprs: 0
; NumAgprs: 0
; TotalNumVgprs: 0
; ScratchSize: 0
; MemoryBound: 0
; FloatMode: 240
; IeeeMode: 1
; LDSByteSize: 0 bytes/workgroup (compile time only)
; SGPRBlocks: 0
; VGPRBlocks: 0
; NumSGPRsForWavesPerEU: 6
; NumVGPRsForWavesPerEU: 1
; AccumOffset: 4
; Occupancy: 8
; WaveLimiterHint : 0
; COMPUTE_PGM_RSRC2:SCRATCH_EN: 0
; COMPUTE_PGM_RSRC2:USER_SGPR: 2
; COMPUTE_PGM_RSRC2:TRAP_HANDLER: 0
; COMPUTE_PGM_RSRC2:TGID_X_EN: 1
; COMPUTE_PGM_RSRC2:TGID_Y_EN: 0
; COMPUTE_PGM_RSRC2:TGID_Z_EN: 0
; COMPUTE_PGM_RSRC2:TIDIG_COMP_CNT: 0
; COMPUTE_PGM_RSRC3_GFX90A:ACCUM_OFFSET: 0
; COMPUTE_PGM_RSRC3_GFX90A:TG_SPLIT: 0
	.section	.text._ZN7rocprim17ROCPRIM_400000_NS6detail17trampoline_kernelINS0_14default_configENS1_35adjacent_difference_config_selectorILb0EjEEZNS1_24adjacent_difference_implIS3_Lb0ELb0EPjS7_N6thrust23THRUST_200600_302600_NS4plusIjEEEE10hipError_tPvRmT2_T3_mT4_P12ihipStream_tbEUlT_E_NS1_11comp_targetILNS1_3genE9ELNS1_11target_archE1100ELNS1_3gpuE3ELNS1_3repE0EEENS1_30default_config_static_selectorELNS0_4arch9wavefront6targetE1EEEvT1_,"axG",@progbits,_ZN7rocprim17ROCPRIM_400000_NS6detail17trampoline_kernelINS0_14default_configENS1_35adjacent_difference_config_selectorILb0EjEEZNS1_24adjacent_difference_implIS3_Lb0ELb0EPjS7_N6thrust23THRUST_200600_302600_NS4plusIjEEEE10hipError_tPvRmT2_T3_mT4_P12ihipStream_tbEUlT_E_NS1_11comp_targetILNS1_3genE9ELNS1_11target_archE1100ELNS1_3gpuE3ELNS1_3repE0EEENS1_30default_config_static_selectorELNS0_4arch9wavefront6targetE1EEEvT1_,comdat
	.protected	_ZN7rocprim17ROCPRIM_400000_NS6detail17trampoline_kernelINS0_14default_configENS1_35adjacent_difference_config_selectorILb0EjEEZNS1_24adjacent_difference_implIS3_Lb0ELb0EPjS7_N6thrust23THRUST_200600_302600_NS4plusIjEEEE10hipError_tPvRmT2_T3_mT4_P12ihipStream_tbEUlT_E_NS1_11comp_targetILNS1_3genE9ELNS1_11target_archE1100ELNS1_3gpuE3ELNS1_3repE0EEENS1_30default_config_static_selectorELNS0_4arch9wavefront6targetE1EEEvT1_ ; -- Begin function _ZN7rocprim17ROCPRIM_400000_NS6detail17trampoline_kernelINS0_14default_configENS1_35adjacent_difference_config_selectorILb0EjEEZNS1_24adjacent_difference_implIS3_Lb0ELb0EPjS7_N6thrust23THRUST_200600_302600_NS4plusIjEEEE10hipError_tPvRmT2_T3_mT4_P12ihipStream_tbEUlT_E_NS1_11comp_targetILNS1_3genE9ELNS1_11target_archE1100ELNS1_3gpuE3ELNS1_3repE0EEENS1_30default_config_static_selectorELNS0_4arch9wavefront6targetE1EEEvT1_
	.globl	_ZN7rocprim17ROCPRIM_400000_NS6detail17trampoline_kernelINS0_14default_configENS1_35adjacent_difference_config_selectorILb0EjEEZNS1_24adjacent_difference_implIS3_Lb0ELb0EPjS7_N6thrust23THRUST_200600_302600_NS4plusIjEEEE10hipError_tPvRmT2_T3_mT4_P12ihipStream_tbEUlT_E_NS1_11comp_targetILNS1_3genE9ELNS1_11target_archE1100ELNS1_3gpuE3ELNS1_3repE0EEENS1_30default_config_static_selectorELNS0_4arch9wavefront6targetE1EEEvT1_
	.p2align	8
	.type	_ZN7rocprim17ROCPRIM_400000_NS6detail17trampoline_kernelINS0_14default_configENS1_35adjacent_difference_config_selectorILb0EjEEZNS1_24adjacent_difference_implIS3_Lb0ELb0EPjS7_N6thrust23THRUST_200600_302600_NS4plusIjEEEE10hipError_tPvRmT2_T3_mT4_P12ihipStream_tbEUlT_E_NS1_11comp_targetILNS1_3genE9ELNS1_11target_archE1100ELNS1_3gpuE3ELNS1_3repE0EEENS1_30default_config_static_selectorELNS0_4arch9wavefront6targetE1EEEvT1_,@function
_ZN7rocprim17ROCPRIM_400000_NS6detail17trampoline_kernelINS0_14default_configENS1_35adjacent_difference_config_selectorILb0EjEEZNS1_24adjacent_difference_implIS3_Lb0ELb0EPjS7_N6thrust23THRUST_200600_302600_NS4plusIjEEEE10hipError_tPvRmT2_T3_mT4_P12ihipStream_tbEUlT_E_NS1_11comp_targetILNS1_3genE9ELNS1_11target_archE1100ELNS1_3gpuE3ELNS1_3repE0EEENS1_30default_config_static_selectorELNS0_4arch9wavefront6targetE1EEEvT1_: ; @_ZN7rocprim17ROCPRIM_400000_NS6detail17trampoline_kernelINS0_14default_configENS1_35adjacent_difference_config_selectorILb0EjEEZNS1_24adjacent_difference_implIS3_Lb0ELb0EPjS7_N6thrust23THRUST_200600_302600_NS4plusIjEEEE10hipError_tPvRmT2_T3_mT4_P12ihipStream_tbEUlT_E_NS1_11comp_targetILNS1_3genE9ELNS1_11target_archE1100ELNS1_3gpuE3ELNS1_3repE0EEENS1_30default_config_static_selectorELNS0_4arch9wavefront6targetE1EEEvT1_
; %bb.0:
	.section	.rodata,"a",@progbits
	.p2align	6, 0x0
	.amdhsa_kernel _ZN7rocprim17ROCPRIM_400000_NS6detail17trampoline_kernelINS0_14default_configENS1_35adjacent_difference_config_selectorILb0EjEEZNS1_24adjacent_difference_implIS3_Lb0ELb0EPjS7_N6thrust23THRUST_200600_302600_NS4plusIjEEEE10hipError_tPvRmT2_T3_mT4_P12ihipStream_tbEUlT_E_NS1_11comp_targetILNS1_3genE9ELNS1_11target_archE1100ELNS1_3gpuE3ELNS1_3repE0EEENS1_30default_config_static_selectorELNS0_4arch9wavefront6targetE1EEEvT1_
		.amdhsa_group_segment_fixed_size 0
		.amdhsa_private_segment_fixed_size 0
		.amdhsa_kernarg_size 56
		.amdhsa_user_sgpr_count 2
		.amdhsa_user_sgpr_dispatch_ptr 0
		.amdhsa_user_sgpr_queue_ptr 0
		.amdhsa_user_sgpr_kernarg_segment_ptr 1
		.amdhsa_user_sgpr_dispatch_id 0
		.amdhsa_user_sgpr_kernarg_preload_length 0
		.amdhsa_user_sgpr_kernarg_preload_offset 0
		.amdhsa_user_sgpr_private_segment_size 0
		.amdhsa_uses_dynamic_stack 0
		.amdhsa_enable_private_segment 0
		.amdhsa_system_sgpr_workgroup_id_x 1
		.amdhsa_system_sgpr_workgroup_id_y 0
		.amdhsa_system_sgpr_workgroup_id_z 0
		.amdhsa_system_sgpr_workgroup_info 0
		.amdhsa_system_vgpr_workitem_id 0
		.amdhsa_next_free_vgpr 1
		.amdhsa_next_free_sgpr 0
		.amdhsa_accum_offset 4
		.amdhsa_reserve_vcc 0
		.amdhsa_float_round_mode_32 0
		.amdhsa_float_round_mode_16_64 0
		.amdhsa_float_denorm_mode_32 3
		.amdhsa_float_denorm_mode_16_64 3
		.amdhsa_dx10_clamp 1
		.amdhsa_ieee_mode 1
		.amdhsa_fp16_overflow 0
		.amdhsa_tg_split 0
		.amdhsa_exception_fp_ieee_invalid_op 0
		.amdhsa_exception_fp_denorm_src 0
		.amdhsa_exception_fp_ieee_div_zero 0
		.amdhsa_exception_fp_ieee_overflow 0
		.amdhsa_exception_fp_ieee_underflow 0
		.amdhsa_exception_fp_ieee_inexact 0
		.amdhsa_exception_int_div_zero 0
	.end_amdhsa_kernel
	.section	.text._ZN7rocprim17ROCPRIM_400000_NS6detail17trampoline_kernelINS0_14default_configENS1_35adjacent_difference_config_selectorILb0EjEEZNS1_24adjacent_difference_implIS3_Lb0ELb0EPjS7_N6thrust23THRUST_200600_302600_NS4plusIjEEEE10hipError_tPvRmT2_T3_mT4_P12ihipStream_tbEUlT_E_NS1_11comp_targetILNS1_3genE9ELNS1_11target_archE1100ELNS1_3gpuE3ELNS1_3repE0EEENS1_30default_config_static_selectorELNS0_4arch9wavefront6targetE1EEEvT1_,"axG",@progbits,_ZN7rocprim17ROCPRIM_400000_NS6detail17trampoline_kernelINS0_14default_configENS1_35adjacent_difference_config_selectorILb0EjEEZNS1_24adjacent_difference_implIS3_Lb0ELb0EPjS7_N6thrust23THRUST_200600_302600_NS4plusIjEEEE10hipError_tPvRmT2_T3_mT4_P12ihipStream_tbEUlT_E_NS1_11comp_targetILNS1_3genE9ELNS1_11target_archE1100ELNS1_3gpuE3ELNS1_3repE0EEENS1_30default_config_static_selectorELNS0_4arch9wavefront6targetE1EEEvT1_,comdat
.Lfunc_end396:
	.size	_ZN7rocprim17ROCPRIM_400000_NS6detail17trampoline_kernelINS0_14default_configENS1_35adjacent_difference_config_selectorILb0EjEEZNS1_24adjacent_difference_implIS3_Lb0ELb0EPjS7_N6thrust23THRUST_200600_302600_NS4plusIjEEEE10hipError_tPvRmT2_T3_mT4_P12ihipStream_tbEUlT_E_NS1_11comp_targetILNS1_3genE9ELNS1_11target_archE1100ELNS1_3gpuE3ELNS1_3repE0EEENS1_30default_config_static_selectorELNS0_4arch9wavefront6targetE1EEEvT1_, .Lfunc_end396-_ZN7rocprim17ROCPRIM_400000_NS6detail17trampoline_kernelINS0_14default_configENS1_35adjacent_difference_config_selectorILb0EjEEZNS1_24adjacent_difference_implIS3_Lb0ELb0EPjS7_N6thrust23THRUST_200600_302600_NS4plusIjEEEE10hipError_tPvRmT2_T3_mT4_P12ihipStream_tbEUlT_E_NS1_11comp_targetILNS1_3genE9ELNS1_11target_archE1100ELNS1_3gpuE3ELNS1_3repE0EEENS1_30default_config_static_selectorELNS0_4arch9wavefront6targetE1EEEvT1_
                                        ; -- End function
	.section	.AMDGPU.csdata,"",@progbits
; Kernel info:
; codeLenInByte = 0
; NumSgprs: 6
; NumVgprs: 0
; NumAgprs: 0
; TotalNumVgprs: 0
; ScratchSize: 0
; MemoryBound: 0
; FloatMode: 240
; IeeeMode: 1
; LDSByteSize: 0 bytes/workgroup (compile time only)
; SGPRBlocks: 0
; VGPRBlocks: 0
; NumSGPRsForWavesPerEU: 6
; NumVGPRsForWavesPerEU: 1
; AccumOffset: 4
; Occupancy: 8
; WaveLimiterHint : 0
; COMPUTE_PGM_RSRC2:SCRATCH_EN: 0
; COMPUTE_PGM_RSRC2:USER_SGPR: 2
; COMPUTE_PGM_RSRC2:TRAP_HANDLER: 0
; COMPUTE_PGM_RSRC2:TGID_X_EN: 1
; COMPUTE_PGM_RSRC2:TGID_Y_EN: 0
; COMPUTE_PGM_RSRC2:TGID_Z_EN: 0
; COMPUTE_PGM_RSRC2:TIDIG_COMP_CNT: 0
; COMPUTE_PGM_RSRC3_GFX90A:ACCUM_OFFSET: 0
; COMPUTE_PGM_RSRC3_GFX90A:TG_SPLIT: 0
	.section	.text._ZN7rocprim17ROCPRIM_400000_NS6detail17trampoline_kernelINS0_14default_configENS1_35adjacent_difference_config_selectorILb0EjEEZNS1_24adjacent_difference_implIS3_Lb0ELb0EPjS7_N6thrust23THRUST_200600_302600_NS4plusIjEEEE10hipError_tPvRmT2_T3_mT4_P12ihipStream_tbEUlT_E_NS1_11comp_targetILNS1_3genE8ELNS1_11target_archE1030ELNS1_3gpuE2ELNS1_3repE0EEENS1_30default_config_static_selectorELNS0_4arch9wavefront6targetE1EEEvT1_,"axG",@progbits,_ZN7rocprim17ROCPRIM_400000_NS6detail17trampoline_kernelINS0_14default_configENS1_35adjacent_difference_config_selectorILb0EjEEZNS1_24adjacent_difference_implIS3_Lb0ELb0EPjS7_N6thrust23THRUST_200600_302600_NS4plusIjEEEE10hipError_tPvRmT2_T3_mT4_P12ihipStream_tbEUlT_E_NS1_11comp_targetILNS1_3genE8ELNS1_11target_archE1030ELNS1_3gpuE2ELNS1_3repE0EEENS1_30default_config_static_selectorELNS0_4arch9wavefront6targetE1EEEvT1_,comdat
	.protected	_ZN7rocprim17ROCPRIM_400000_NS6detail17trampoline_kernelINS0_14default_configENS1_35adjacent_difference_config_selectorILb0EjEEZNS1_24adjacent_difference_implIS3_Lb0ELb0EPjS7_N6thrust23THRUST_200600_302600_NS4plusIjEEEE10hipError_tPvRmT2_T3_mT4_P12ihipStream_tbEUlT_E_NS1_11comp_targetILNS1_3genE8ELNS1_11target_archE1030ELNS1_3gpuE2ELNS1_3repE0EEENS1_30default_config_static_selectorELNS0_4arch9wavefront6targetE1EEEvT1_ ; -- Begin function _ZN7rocprim17ROCPRIM_400000_NS6detail17trampoline_kernelINS0_14default_configENS1_35adjacent_difference_config_selectorILb0EjEEZNS1_24adjacent_difference_implIS3_Lb0ELb0EPjS7_N6thrust23THRUST_200600_302600_NS4plusIjEEEE10hipError_tPvRmT2_T3_mT4_P12ihipStream_tbEUlT_E_NS1_11comp_targetILNS1_3genE8ELNS1_11target_archE1030ELNS1_3gpuE2ELNS1_3repE0EEENS1_30default_config_static_selectorELNS0_4arch9wavefront6targetE1EEEvT1_
	.globl	_ZN7rocprim17ROCPRIM_400000_NS6detail17trampoline_kernelINS0_14default_configENS1_35adjacent_difference_config_selectorILb0EjEEZNS1_24adjacent_difference_implIS3_Lb0ELb0EPjS7_N6thrust23THRUST_200600_302600_NS4plusIjEEEE10hipError_tPvRmT2_T3_mT4_P12ihipStream_tbEUlT_E_NS1_11comp_targetILNS1_3genE8ELNS1_11target_archE1030ELNS1_3gpuE2ELNS1_3repE0EEENS1_30default_config_static_selectorELNS0_4arch9wavefront6targetE1EEEvT1_
	.p2align	8
	.type	_ZN7rocprim17ROCPRIM_400000_NS6detail17trampoline_kernelINS0_14default_configENS1_35adjacent_difference_config_selectorILb0EjEEZNS1_24adjacent_difference_implIS3_Lb0ELb0EPjS7_N6thrust23THRUST_200600_302600_NS4plusIjEEEE10hipError_tPvRmT2_T3_mT4_P12ihipStream_tbEUlT_E_NS1_11comp_targetILNS1_3genE8ELNS1_11target_archE1030ELNS1_3gpuE2ELNS1_3repE0EEENS1_30default_config_static_selectorELNS0_4arch9wavefront6targetE1EEEvT1_,@function
_ZN7rocprim17ROCPRIM_400000_NS6detail17trampoline_kernelINS0_14default_configENS1_35adjacent_difference_config_selectorILb0EjEEZNS1_24adjacent_difference_implIS3_Lb0ELb0EPjS7_N6thrust23THRUST_200600_302600_NS4plusIjEEEE10hipError_tPvRmT2_T3_mT4_P12ihipStream_tbEUlT_E_NS1_11comp_targetILNS1_3genE8ELNS1_11target_archE1030ELNS1_3gpuE2ELNS1_3repE0EEENS1_30default_config_static_selectorELNS0_4arch9wavefront6targetE1EEEvT1_: ; @_ZN7rocprim17ROCPRIM_400000_NS6detail17trampoline_kernelINS0_14default_configENS1_35adjacent_difference_config_selectorILb0EjEEZNS1_24adjacent_difference_implIS3_Lb0ELb0EPjS7_N6thrust23THRUST_200600_302600_NS4plusIjEEEE10hipError_tPvRmT2_T3_mT4_P12ihipStream_tbEUlT_E_NS1_11comp_targetILNS1_3genE8ELNS1_11target_archE1030ELNS1_3gpuE2ELNS1_3repE0EEENS1_30default_config_static_selectorELNS0_4arch9wavefront6targetE1EEEvT1_
; %bb.0:
	.section	.rodata,"a",@progbits
	.p2align	6, 0x0
	.amdhsa_kernel _ZN7rocprim17ROCPRIM_400000_NS6detail17trampoline_kernelINS0_14default_configENS1_35adjacent_difference_config_selectorILb0EjEEZNS1_24adjacent_difference_implIS3_Lb0ELb0EPjS7_N6thrust23THRUST_200600_302600_NS4plusIjEEEE10hipError_tPvRmT2_T3_mT4_P12ihipStream_tbEUlT_E_NS1_11comp_targetILNS1_3genE8ELNS1_11target_archE1030ELNS1_3gpuE2ELNS1_3repE0EEENS1_30default_config_static_selectorELNS0_4arch9wavefront6targetE1EEEvT1_
		.amdhsa_group_segment_fixed_size 0
		.amdhsa_private_segment_fixed_size 0
		.amdhsa_kernarg_size 56
		.amdhsa_user_sgpr_count 2
		.amdhsa_user_sgpr_dispatch_ptr 0
		.amdhsa_user_sgpr_queue_ptr 0
		.amdhsa_user_sgpr_kernarg_segment_ptr 1
		.amdhsa_user_sgpr_dispatch_id 0
		.amdhsa_user_sgpr_kernarg_preload_length 0
		.amdhsa_user_sgpr_kernarg_preload_offset 0
		.amdhsa_user_sgpr_private_segment_size 0
		.amdhsa_uses_dynamic_stack 0
		.amdhsa_enable_private_segment 0
		.amdhsa_system_sgpr_workgroup_id_x 1
		.amdhsa_system_sgpr_workgroup_id_y 0
		.amdhsa_system_sgpr_workgroup_id_z 0
		.amdhsa_system_sgpr_workgroup_info 0
		.amdhsa_system_vgpr_workitem_id 0
		.amdhsa_next_free_vgpr 1
		.amdhsa_next_free_sgpr 0
		.amdhsa_accum_offset 4
		.amdhsa_reserve_vcc 0
		.amdhsa_float_round_mode_32 0
		.amdhsa_float_round_mode_16_64 0
		.amdhsa_float_denorm_mode_32 3
		.amdhsa_float_denorm_mode_16_64 3
		.amdhsa_dx10_clamp 1
		.amdhsa_ieee_mode 1
		.amdhsa_fp16_overflow 0
		.amdhsa_tg_split 0
		.amdhsa_exception_fp_ieee_invalid_op 0
		.amdhsa_exception_fp_denorm_src 0
		.amdhsa_exception_fp_ieee_div_zero 0
		.amdhsa_exception_fp_ieee_overflow 0
		.amdhsa_exception_fp_ieee_underflow 0
		.amdhsa_exception_fp_ieee_inexact 0
		.amdhsa_exception_int_div_zero 0
	.end_amdhsa_kernel
	.section	.text._ZN7rocprim17ROCPRIM_400000_NS6detail17trampoline_kernelINS0_14default_configENS1_35adjacent_difference_config_selectorILb0EjEEZNS1_24adjacent_difference_implIS3_Lb0ELb0EPjS7_N6thrust23THRUST_200600_302600_NS4plusIjEEEE10hipError_tPvRmT2_T3_mT4_P12ihipStream_tbEUlT_E_NS1_11comp_targetILNS1_3genE8ELNS1_11target_archE1030ELNS1_3gpuE2ELNS1_3repE0EEENS1_30default_config_static_selectorELNS0_4arch9wavefront6targetE1EEEvT1_,"axG",@progbits,_ZN7rocprim17ROCPRIM_400000_NS6detail17trampoline_kernelINS0_14default_configENS1_35adjacent_difference_config_selectorILb0EjEEZNS1_24adjacent_difference_implIS3_Lb0ELb0EPjS7_N6thrust23THRUST_200600_302600_NS4plusIjEEEE10hipError_tPvRmT2_T3_mT4_P12ihipStream_tbEUlT_E_NS1_11comp_targetILNS1_3genE8ELNS1_11target_archE1030ELNS1_3gpuE2ELNS1_3repE0EEENS1_30default_config_static_selectorELNS0_4arch9wavefront6targetE1EEEvT1_,comdat
.Lfunc_end397:
	.size	_ZN7rocprim17ROCPRIM_400000_NS6detail17trampoline_kernelINS0_14default_configENS1_35adjacent_difference_config_selectorILb0EjEEZNS1_24adjacent_difference_implIS3_Lb0ELb0EPjS7_N6thrust23THRUST_200600_302600_NS4plusIjEEEE10hipError_tPvRmT2_T3_mT4_P12ihipStream_tbEUlT_E_NS1_11comp_targetILNS1_3genE8ELNS1_11target_archE1030ELNS1_3gpuE2ELNS1_3repE0EEENS1_30default_config_static_selectorELNS0_4arch9wavefront6targetE1EEEvT1_, .Lfunc_end397-_ZN7rocprim17ROCPRIM_400000_NS6detail17trampoline_kernelINS0_14default_configENS1_35adjacent_difference_config_selectorILb0EjEEZNS1_24adjacent_difference_implIS3_Lb0ELb0EPjS7_N6thrust23THRUST_200600_302600_NS4plusIjEEEE10hipError_tPvRmT2_T3_mT4_P12ihipStream_tbEUlT_E_NS1_11comp_targetILNS1_3genE8ELNS1_11target_archE1030ELNS1_3gpuE2ELNS1_3repE0EEENS1_30default_config_static_selectorELNS0_4arch9wavefront6targetE1EEEvT1_
                                        ; -- End function
	.section	.AMDGPU.csdata,"",@progbits
; Kernel info:
; codeLenInByte = 0
; NumSgprs: 6
; NumVgprs: 0
; NumAgprs: 0
; TotalNumVgprs: 0
; ScratchSize: 0
; MemoryBound: 0
; FloatMode: 240
; IeeeMode: 1
; LDSByteSize: 0 bytes/workgroup (compile time only)
; SGPRBlocks: 0
; VGPRBlocks: 0
; NumSGPRsForWavesPerEU: 6
; NumVGPRsForWavesPerEU: 1
; AccumOffset: 4
; Occupancy: 8
; WaveLimiterHint : 0
; COMPUTE_PGM_RSRC2:SCRATCH_EN: 0
; COMPUTE_PGM_RSRC2:USER_SGPR: 2
; COMPUTE_PGM_RSRC2:TRAP_HANDLER: 0
; COMPUTE_PGM_RSRC2:TGID_X_EN: 1
; COMPUTE_PGM_RSRC2:TGID_Y_EN: 0
; COMPUTE_PGM_RSRC2:TGID_Z_EN: 0
; COMPUTE_PGM_RSRC2:TIDIG_COMP_CNT: 0
; COMPUTE_PGM_RSRC3_GFX90A:ACCUM_OFFSET: 0
; COMPUTE_PGM_RSRC3_GFX90A:TG_SPLIT: 0
	.section	.text._ZN7rocprim17ROCPRIM_400000_NS6detail17trampoline_kernelINS0_14default_configENS1_25transform_config_selectorIjLb0EEEZNS1_14transform_implILb0ES3_S5_NS0_18transform_iteratorINS0_17counting_iteratorImlEEZNS1_24adjacent_difference_implIS3_Lb1ELb0EPjSB_N6thrust23THRUST_200600_302600_NS4plusIjEEEE10hipError_tPvRmT2_T3_mT4_P12ihipStream_tbEUlmE_jEESB_NS0_8identityIvEEEESG_SJ_SK_mSL_SN_bEUlT_E_NS1_11comp_targetILNS1_3genE0ELNS1_11target_archE4294967295ELNS1_3gpuE0ELNS1_3repE0EEENS1_30default_config_static_selectorELNS0_4arch9wavefront6targetE1EEEvT1_,"axG",@progbits,_ZN7rocprim17ROCPRIM_400000_NS6detail17trampoline_kernelINS0_14default_configENS1_25transform_config_selectorIjLb0EEEZNS1_14transform_implILb0ES3_S5_NS0_18transform_iteratorINS0_17counting_iteratorImlEEZNS1_24adjacent_difference_implIS3_Lb1ELb0EPjSB_N6thrust23THRUST_200600_302600_NS4plusIjEEEE10hipError_tPvRmT2_T3_mT4_P12ihipStream_tbEUlmE_jEESB_NS0_8identityIvEEEESG_SJ_SK_mSL_SN_bEUlT_E_NS1_11comp_targetILNS1_3genE0ELNS1_11target_archE4294967295ELNS1_3gpuE0ELNS1_3repE0EEENS1_30default_config_static_selectorELNS0_4arch9wavefront6targetE1EEEvT1_,comdat
	.protected	_ZN7rocprim17ROCPRIM_400000_NS6detail17trampoline_kernelINS0_14default_configENS1_25transform_config_selectorIjLb0EEEZNS1_14transform_implILb0ES3_S5_NS0_18transform_iteratorINS0_17counting_iteratorImlEEZNS1_24adjacent_difference_implIS3_Lb1ELb0EPjSB_N6thrust23THRUST_200600_302600_NS4plusIjEEEE10hipError_tPvRmT2_T3_mT4_P12ihipStream_tbEUlmE_jEESB_NS0_8identityIvEEEESG_SJ_SK_mSL_SN_bEUlT_E_NS1_11comp_targetILNS1_3genE0ELNS1_11target_archE4294967295ELNS1_3gpuE0ELNS1_3repE0EEENS1_30default_config_static_selectorELNS0_4arch9wavefront6targetE1EEEvT1_ ; -- Begin function _ZN7rocprim17ROCPRIM_400000_NS6detail17trampoline_kernelINS0_14default_configENS1_25transform_config_selectorIjLb0EEEZNS1_14transform_implILb0ES3_S5_NS0_18transform_iteratorINS0_17counting_iteratorImlEEZNS1_24adjacent_difference_implIS3_Lb1ELb0EPjSB_N6thrust23THRUST_200600_302600_NS4plusIjEEEE10hipError_tPvRmT2_T3_mT4_P12ihipStream_tbEUlmE_jEESB_NS0_8identityIvEEEESG_SJ_SK_mSL_SN_bEUlT_E_NS1_11comp_targetILNS1_3genE0ELNS1_11target_archE4294967295ELNS1_3gpuE0ELNS1_3repE0EEENS1_30default_config_static_selectorELNS0_4arch9wavefront6targetE1EEEvT1_
	.globl	_ZN7rocprim17ROCPRIM_400000_NS6detail17trampoline_kernelINS0_14default_configENS1_25transform_config_selectorIjLb0EEEZNS1_14transform_implILb0ES3_S5_NS0_18transform_iteratorINS0_17counting_iteratorImlEEZNS1_24adjacent_difference_implIS3_Lb1ELb0EPjSB_N6thrust23THRUST_200600_302600_NS4plusIjEEEE10hipError_tPvRmT2_T3_mT4_P12ihipStream_tbEUlmE_jEESB_NS0_8identityIvEEEESG_SJ_SK_mSL_SN_bEUlT_E_NS1_11comp_targetILNS1_3genE0ELNS1_11target_archE4294967295ELNS1_3gpuE0ELNS1_3repE0EEENS1_30default_config_static_selectorELNS0_4arch9wavefront6targetE1EEEvT1_
	.p2align	8
	.type	_ZN7rocprim17ROCPRIM_400000_NS6detail17trampoline_kernelINS0_14default_configENS1_25transform_config_selectorIjLb0EEEZNS1_14transform_implILb0ES3_S5_NS0_18transform_iteratorINS0_17counting_iteratorImlEEZNS1_24adjacent_difference_implIS3_Lb1ELb0EPjSB_N6thrust23THRUST_200600_302600_NS4plusIjEEEE10hipError_tPvRmT2_T3_mT4_P12ihipStream_tbEUlmE_jEESB_NS0_8identityIvEEEESG_SJ_SK_mSL_SN_bEUlT_E_NS1_11comp_targetILNS1_3genE0ELNS1_11target_archE4294967295ELNS1_3gpuE0ELNS1_3repE0EEENS1_30default_config_static_selectorELNS0_4arch9wavefront6targetE1EEEvT1_,@function
_ZN7rocprim17ROCPRIM_400000_NS6detail17trampoline_kernelINS0_14default_configENS1_25transform_config_selectorIjLb0EEEZNS1_14transform_implILb0ES3_S5_NS0_18transform_iteratorINS0_17counting_iteratorImlEEZNS1_24adjacent_difference_implIS3_Lb1ELb0EPjSB_N6thrust23THRUST_200600_302600_NS4plusIjEEEE10hipError_tPvRmT2_T3_mT4_P12ihipStream_tbEUlmE_jEESB_NS0_8identityIvEEEESG_SJ_SK_mSL_SN_bEUlT_E_NS1_11comp_targetILNS1_3genE0ELNS1_11target_archE4294967295ELNS1_3gpuE0ELNS1_3repE0EEENS1_30default_config_static_selectorELNS0_4arch9wavefront6targetE1EEEvT1_: ; @_ZN7rocprim17ROCPRIM_400000_NS6detail17trampoline_kernelINS0_14default_configENS1_25transform_config_selectorIjLb0EEEZNS1_14transform_implILb0ES3_S5_NS0_18transform_iteratorINS0_17counting_iteratorImlEEZNS1_24adjacent_difference_implIS3_Lb1ELb0EPjSB_N6thrust23THRUST_200600_302600_NS4plusIjEEEE10hipError_tPvRmT2_T3_mT4_P12ihipStream_tbEUlmE_jEESB_NS0_8identityIvEEEESG_SJ_SK_mSL_SN_bEUlT_E_NS1_11comp_targetILNS1_3genE0ELNS1_11target_archE4294967295ELNS1_3gpuE0ELNS1_3repE0EEENS1_30default_config_static_selectorELNS0_4arch9wavefront6targetE1EEEvT1_
; %bb.0:
	.section	.rodata,"a",@progbits
	.p2align	6, 0x0
	.amdhsa_kernel _ZN7rocprim17ROCPRIM_400000_NS6detail17trampoline_kernelINS0_14default_configENS1_25transform_config_selectorIjLb0EEEZNS1_14transform_implILb0ES3_S5_NS0_18transform_iteratorINS0_17counting_iteratorImlEEZNS1_24adjacent_difference_implIS3_Lb1ELb0EPjSB_N6thrust23THRUST_200600_302600_NS4plusIjEEEE10hipError_tPvRmT2_T3_mT4_P12ihipStream_tbEUlmE_jEESB_NS0_8identityIvEEEESG_SJ_SK_mSL_SN_bEUlT_E_NS1_11comp_targetILNS1_3genE0ELNS1_11target_archE4294967295ELNS1_3gpuE0ELNS1_3repE0EEENS1_30default_config_static_selectorELNS0_4arch9wavefront6targetE1EEEvT1_
		.amdhsa_group_segment_fixed_size 0
		.amdhsa_private_segment_fixed_size 0
		.amdhsa_kernarg_size 56
		.amdhsa_user_sgpr_count 2
		.amdhsa_user_sgpr_dispatch_ptr 0
		.amdhsa_user_sgpr_queue_ptr 0
		.amdhsa_user_sgpr_kernarg_segment_ptr 1
		.amdhsa_user_sgpr_dispatch_id 0
		.amdhsa_user_sgpr_kernarg_preload_length 0
		.amdhsa_user_sgpr_kernarg_preload_offset 0
		.amdhsa_user_sgpr_private_segment_size 0
		.amdhsa_uses_dynamic_stack 0
		.amdhsa_enable_private_segment 0
		.amdhsa_system_sgpr_workgroup_id_x 1
		.amdhsa_system_sgpr_workgroup_id_y 0
		.amdhsa_system_sgpr_workgroup_id_z 0
		.amdhsa_system_sgpr_workgroup_info 0
		.amdhsa_system_vgpr_workitem_id 0
		.amdhsa_next_free_vgpr 1
		.amdhsa_next_free_sgpr 0
		.amdhsa_accum_offset 4
		.amdhsa_reserve_vcc 0
		.amdhsa_float_round_mode_32 0
		.amdhsa_float_round_mode_16_64 0
		.amdhsa_float_denorm_mode_32 3
		.amdhsa_float_denorm_mode_16_64 3
		.amdhsa_dx10_clamp 1
		.amdhsa_ieee_mode 1
		.amdhsa_fp16_overflow 0
		.amdhsa_tg_split 0
		.amdhsa_exception_fp_ieee_invalid_op 0
		.amdhsa_exception_fp_denorm_src 0
		.amdhsa_exception_fp_ieee_div_zero 0
		.amdhsa_exception_fp_ieee_overflow 0
		.amdhsa_exception_fp_ieee_underflow 0
		.amdhsa_exception_fp_ieee_inexact 0
		.amdhsa_exception_int_div_zero 0
	.end_amdhsa_kernel
	.section	.text._ZN7rocprim17ROCPRIM_400000_NS6detail17trampoline_kernelINS0_14default_configENS1_25transform_config_selectorIjLb0EEEZNS1_14transform_implILb0ES3_S5_NS0_18transform_iteratorINS0_17counting_iteratorImlEEZNS1_24adjacent_difference_implIS3_Lb1ELb0EPjSB_N6thrust23THRUST_200600_302600_NS4plusIjEEEE10hipError_tPvRmT2_T3_mT4_P12ihipStream_tbEUlmE_jEESB_NS0_8identityIvEEEESG_SJ_SK_mSL_SN_bEUlT_E_NS1_11comp_targetILNS1_3genE0ELNS1_11target_archE4294967295ELNS1_3gpuE0ELNS1_3repE0EEENS1_30default_config_static_selectorELNS0_4arch9wavefront6targetE1EEEvT1_,"axG",@progbits,_ZN7rocprim17ROCPRIM_400000_NS6detail17trampoline_kernelINS0_14default_configENS1_25transform_config_selectorIjLb0EEEZNS1_14transform_implILb0ES3_S5_NS0_18transform_iteratorINS0_17counting_iteratorImlEEZNS1_24adjacent_difference_implIS3_Lb1ELb0EPjSB_N6thrust23THRUST_200600_302600_NS4plusIjEEEE10hipError_tPvRmT2_T3_mT4_P12ihipStream_tbEUlmE_jEESB_NS0_8identityIvEEEESG_SJ_SK_mSL_SN_bEUlT_E_NS1_11comp_targetILNS1_3genE0ELNS1_11target_archE4294967295ELNS1_3gpuE0ELNS1_3repE0EEENS1_30default_config_static_selectorELNS0_4arch9wavefront6targetE1EEEvT1_,comdat
.Lfunc_end398:
	.size	_ZN7rocprim17ROCPRIM_400000_NS6detail17trampoline_kernelINS0_14default_configENS1_25transform_config_selectorIjLb0EEEZNS1_14transform_implILb0ES3_S5_NS0_18transform_iteratorINS0_17counting_iteratorImlEEZNS1_24adjacent_difference_implIS3_Lb1ELb0EPjSB_N6thrust23THRUST_200600_302600_NS4plusIjEEEE10hipError_tPvRmT2_T3_mT4_P12ihipStream_tbEUlmE_jEESB_NS0_8identityIvEEEESG_SJ_SK_mSL_SN_bEUlT_E_NS1_11comp_targetILNS1_3genE0ELNS1_11target_archE4294967295ELNS1_3gpuE0ELNS1_3repE0EEENS1_30default_config_static_selectorELNS0_4arch9wavefront6targetE1EEEvT1_, .Lfunc_end398-_ZN7rocprim17ROCPRIM_400000_NS6detail17trampoline_kernelINS0_14default_configENS1_25transform_config_selectorIjLb0EEEZNS1_14transform_implILb0ES3_S5_NS0_18transform_iteratorINS0_17counting_iteratorImlEEZNS1_24adjacent_difference_implIS3_Lb1ELb0EPjSB_N6thrust23THRUST_200600_302600_NS4plusIjEEEE10hipError_tPvRmT2_T3_mT4_P12ihipStream_tbEUlmE_jEESB_NS0_8identityIvEEEESG_SJ_SK_mSL_SN_bEUlT_E_NS1_11comp_targetILNS1_3genE0ELNS1_11target_archE4294967295ELNS1_3gpuE0ELNS1_3repE0EEENS1_30default_config_static_selectorELNS0_4arch9wavefront6targetE1EEEvT1_
                                        ; -- End function
	.section	.AMDGPU.csdata,"",@progbits
; Kernel info:
; codeLenInByte = 0
; NumSgprs: 6
; NumVgprs: 0
; NumAgprs: 0
; TotalNumVgprs: 0
; ScratchSize: 0
; MemoryBound: 0
; FloatMode: 240
; IeeeMode: 1
; LDSByteSize: 0 bytes/workgroup (compile time only)
; SGPRBlocks: 0
; VGPRBlocks: 0
; NumSGPRsForWavesPerEU: 6
; NumVGPRsForWavesPerEU: 1
; AccumOffset: 4
; Occupancy: 8
; WaveLimiterHint : 0
; COMPUTE_PGM_RSRC2:SCRATCH_EN: 0
; COMPUTE_PGM_RSRC2:USER_SGPR: 2
; COMPUTE_PGM_RSRC2:TRAP_HANDLER: 0
; COMPUTE_PGM_RSRC2:TGID_X_EN: 1
; COMPUTE_PGM_RSRC2:TGID_Y_EN: 0
; COMPUTE_PGM_RSRC2:TGID_Z_EN: 0
; COMPUTE_PGM_RSRC2:TIDIG_COMP_CNT: 0
; COMPUTE_PGM_RSRC3_GFX90A:ACCUM_OFFSET: 0
; COMPUTE_PGM_RSRC3_GFX90A:TG_SPLIT: 0
	.section	.text._ZN7rocprim17ROCPRIM_400000_NS6detail17trampoline_kernelINS0_14default_configENS1_25transform_config_selectorIjLb0EEEZNS1_14transform_implILb0ES3_S5_NS0_18transform_iteratorINS0_17counting_iteratorImlEEZNS1_24adjacent_difference_implIS3_Lb1ELb0EPjSB_N6thrust23THRUST_200600_302600_NS4plusIjEEEE10hipError_tPvRmT2_T3_mT4_P12ihipStream_tbEUlmE_jEESB_NS0_8identityIvEEEESG_SJ_SK_mSL_SN_bEUlT_E_NS1_11comp_targetILNS1_3genE5ELNS1_11target_archE942ELNS1_3gpuE9ELNS1_3repE0EEENS1_30default_config_static_selectorELNS0_4arch9wavefront6targetE1EEEvT1_,"axG",@progbits,_ZN7rocprim17ROCPRIM_400000_NS6detail17trampoline_kernelINS0_14default_configENS1_25transform_config_selectorIjLb0EEEZNS1_14transform_implILb0ES3_S5_NS0_18transform_iteratorINS0_17counting_iteratorImlEEZNS1_24adjacent_difference_implIS3_Lb1ELb0EPjSB_N6thrust23THRUST_200600_302600_NS4plusIjEEEE10hipError_tPvRmT2_T3_mT4_P12ihipStream_tbEUlmE_jEESB_NS0_8identityIvEEEESG_SJ_SK_mSL_SN_bEUlT_E_NS1_11comp_targetILNS1_3genE5ELNS1_11target_archE942ELNS1_3gpuE9ELNS1_3repE0EEENS1_30default_config_static_selectorELNS0_4arch9wavefront6targetE1EEEvT1_,comdat
	.protected	_ZN7rocprim17ROCPRIM_400000_NS6detail17trampoline_kernelINS0_14default_configENS1_25transform_config_selectorIjLb0EEEZNS1_14transform_implILb0ES3_S5_NS0_18transform_iteratorINS0_17counting_iteratorImlEEZNS1_24adjacent_difference_implIS3_Lb1ELb0EPjSB_N6thrust23THRUST_200600_302600_NS4plusIjEEEE10hipError_tPvRmT2_T3_mT4_P12ihipStream_tbEUlmE_jEESB_NS0_8identityIvEEEESG_SJ_SK_mSL_SN_bEUlT_E_NS1_11comp_targetILNS1_3genE5ELNS1_11target_archE942ELNS1_3gpuE9ELNS1_3repE0EEENS1_30default_config_static_selectorELNS0_4arch9wavefront6targetE1EEEvT1_ ; -- Begin function _ZN7rocprim17ROCPRIM_400000_NS6detail17trampoline_kernelINS0_14default_configENS1_25transform_config_selectorIjLb0EEEZNS1_14transform_implILb0ES3_S5_NS0_18transform_iteratorINS0_17counting_iteratorImlEEZNS1_24adjacent_difference_implIS3_Lb1ELb0EPjSB_N6thrust23THRUST_200600_302600_NS4plusIjEEEE10hipError_tPvRmT2_T3_mT4_P12ihipStream_tbEUlmE_jEESB_NS0_8identityIvEEEESG_SJ_SK_mSL_SN_bEUlT_E_NS1_11comp_targetILNS1_3genE5ELNS1_11target_archE942ELNS1_3gpuE9ELNS1_3repE0EEENS1_30default_config_static_selectorELNS0_4arch9wavefront6targetE1EEEvT1_
	.globl	_ZN7rocprim17ROCPRIM_400000_NS6detail17trampoline_kernelINS0_14default_configENS1_25transform_config_selectorIjLb0EEEZNS1_14transform_implILb0ES3_S5_NS0_18transform_iteratorINS0_17counting_iteratorImlEEZNS1_24adjacent_difference_implIS3_Lb1ELb0EPjSB_N6thrust23THRUST_200600_302600_NS4plusIjEEEE10hipError_tPvRmT2_T3_mT4_P12ihipStream_tbEUlmE_jEESB_NS0_8identityIvEEEESG_SJ_SK_mSL_SN_bEUlT_E_NS1_11comp_targetILNS1_3genE5ELNS1_11target_archE942ELNS1_3gpuE9ELNS1_3repE0EEENS1_30default_config_static_selectorELNS0_4arch9wavefront6targetE1EEEvT1_
	.p2align	8
	.type	_ZN7rocprim17ROCPRIM_400000_NS6detail17trampoline_kernelINS0_14default_configENS1_25transform_config_selectorIjLb0EEEZNS1_14transform_implILb0ES3_S5_NS0_18transform_iteratorINS0_17counting_iteratorImlEEZNS1_24adjacent_difference_implIS3_Lb1ELb0EPjSB_N6thrust23THRUST_200600_302600_NS4plusIjEEEE10hipError_tPvRmT2_T3_mT4_P12ihipStream_tbEUlmE_jEESB_NS0_8identityIvEEEESG_SJ_SK_mSL_SN_bEUlT_E_NS1_11comp_targetILNS1_3genE5ELNS1_11target_archE942ELNS1_3gpuE9ELNS1_3repE0EEENS1_30default_config_static_selectorELNS0_4arch9wavefront6targetE1EEEvT1_,@function
_ZN7rocprim17ROCPRIM_400000_NS6detail17trampoline_kernelINS0_14default_configENS1_25transform_config_selectorIjLb0EEEZNS1_14transform_implILb0ES3_S5_NS0_18transform_iteratorINS0_17counting_iteratorImlEEZNS1_24adjacent_difference_implIS3_Lb1ELb0EPjSB_N6thrust23THRUST_200600_302600_NS4plusIjEEEE10hipError_tPvRmT2_T3_mT4_P12ihipStream_tbEUlmE_jEESB_NS0_8identityIvEEEESG_SJ_SK_mSL_SN_bEUlT_E_NS1_11comp_targetILNS1_3genE5ELNS1_11target_archE942ELNS1_3gpuE9ELNS1_3repE0EEENS1_30default_config_static_selectorELNS0_4arch9wavefront6targetE1EEEvT1_: ; @_ZN7rocprim17ROCPRIM_400000_NS6detail17trampoline_kernelINS0_14default_configENS1_25transform_config_selectorIjLb0EEEZNS1_14transform_implILb0ES3_S5_NS0_18transform_iteratorINS0_17counting_iteratorImlEEZNS1_24adjacent_difference_implIS3_Lb1ELb0EPjSB_N6thrust23THRUST_200600_302600_NS4plusIjEEEE10hipError_tPvRmT2_T3_mT4_P12ihipStream_tbEUlmE_jEESB_NS0_8identityIvEEEESG_SJ_SK_mSL_SN_bEUlT_E_NS1_11comp_targetILNS1_3genE5ELNS1_11target_archE942ELNS1_3gpuE9ELNS1_3repE0EEENS1_30default_config_static_selectorELNS0_4arch9wavefront6targetE1EEEvT1_
; %bb.0:
	s_load_dwordx4 s[8:11], s[0:1], 0x18
	s_load_dwordx2 s[14:15], s[0:1], 0x28
	s_load_dwordx4 s[4:7], s[0:1], 0x0
	s_load_dword s12, s[0:1], 0x10
	s_load_dword s3, s[0:1], 0x38
	s_waitcnt lgkmcnt(0)
	s_lshl_b64 s[0:1], s[8:9], 2
	s_add_u32 s18, s14, s0
	s_addc_u32 s19, s15, s1
	s_lshl_b32 s14, s2, 11
	s_add_i32 s3, s3, -1
	s_add_u32 s0, s4, s14
	s_addc_u32 s1, s5, 0
	s_add_u32 s16, s0, s8
	s_addc_u32 s17, s1, s9
	s_mov_b32 s15, 0
	s_cmp_lg_u32 s2, s3
	v_lshlrev_b32_e32 v6, 2, v0
	s_cbranch_scc0 .LBB399_2
; %bb.1:
	v_mov_b32_e32 v1, 0
	v_lshl_add_u64 v[2:3], s[16:17], 0, v[0:1]
	v_mad_u64_u32 v[4:5], s[0:1], v2, s12, 0
	v_mov_b32_e32 v2, v5
	v_mad_u64_u32 v[2:3], s[0:1], v3, s12, v[2:3]
	s_mov_b32 s13, s15
	v_mov_b32_e32 v5, v2
	v_lshl_add_u64 v[2:3], v[4:5], 2, s[6:7]
	s_lshl_b64 s[0:1], s[12:13], 11
	v_lshl_add_u64 v[4:5], v[2:3], 0, s[0:1]
	v_lshl_add_u64 v[8:9], v[4:5], 0, s[0:1]
	global_load_dword v10, v[2:3], off
	global_load_dword v11, v[4:5], off
	;; [unrolled: 1-line block ×3, first 2 shown]
	v_lshl_add_u64 v[2:3], v[8:9], 0, s[0:1]
	global_load_dword v2, v[2:3], off
	s_lshl_b64 s[2:3], s[14:15], 2
	s_add_u32 s2, s18, s2
	v_mov_b32_e32 v7, v1
	s_addc_u32 s3, s19, s3
	v_lshl_add_u64 v[8:9], s[2:3], 0, v[6:7]
	v_add_co_u32_e32 v4, vcc, 0x1000, v8
	s_nop 1
	v_addc_co_u32_e32 v5, vcc, 0, v9, vcc
	s_mov_b64 s[8:9], -1
	s_waitcnt vmcnt(3)
	global_store_dword v6, v10, s[2:3]
	s_waitcnt vmcnt(3)
	global_store_dword v6, v11, s[2:3] offset:2048
	s_waitcnt vmcnt(3)
	global_store_dword v[4:5], v12, off
	s_cbranch_execz .LBB399_3
	s_branch .LBB399_17
.LBB399_2:
	s_mov_b64 s[8:9], 0
                                        ; implicit-def: $vgpr2
                                        ; implicit-def: $vgpr8_vgpr9
.LBB399_3:
	s_sub_i32 s10, s10, s14
	v_cmp_gt_u32_e32 vcc, s10, v0
                                        ; implicit-def: $vgpr2_vgpr3_vgpr4_vgpr5
	s_and_saveexec_b64 s[0:1], vcc
	s_cbranch_execz .LBB399_5
; %bb.4:
	v_mov_b32_e32 v1, 0
	s_waitcnt vmcnt(3)
	v_lshl_add_u64 v[2:3], s[16:17], 0, v[0:1]
	v_mad_u64_u32 v[4:5], s[2:3], v2, s12, 0
	v_mov_b32_e32 v2, v5
	v_mad_u64_u32 v[2:3], s[2:3], v3, s12, v[2:3]
	v_mov_b32_e32 v5, v2
	v_lshl_add_u64 v[2:3], v[4:5], 2, s[6:7]
	global_load_dword v2, v[2:3], off
.LBB399_5:
	s_or_b64 exec, exec, s[0:1]
	v_or_b32_e32 v8, 0x200, v0
	v_cmp_gt_u32_e64 s[0:1], s10, v8
	s_and_saveexec_b64 s[2:3], s[0:1]
	s_cbranch_execz .LBB399_7
; %bb.6:
	v_mov_b32_e32 v9, 0
	v_lshl_add_u64 v[8:9], s[16:17], 0, v[8:9]
	v_mad_u64_u32 v[10:11], s[4:5], v8, s12, 0
	v_mov_b32_e32 v8, v11
	v_mad_u64_u32 v[8:9], s[4:5], v9, s12, v[8:9]
	v_mov_b32_e32 v11, v8
	v_lshl_add_u64 v[8:9], v[10:11], 2, s[6:7]
	global_load_dword v3, v[8:9], off
.LBB399_7:
	s_or_b64 exec, exec, s[2:3]
	v_or_b32_e32 v8, 0x400, v0
	v_cmp_gt_u32_e64 s[2:3], s10, v8
	s_and_saveexec_b64 s[4:5], s[2:3]
	s_cbranch_execz .LBB399_9
; %bb.8:
	v_mov_b32_e32 v9, 0
	v_lshl_add_u64 v[8:9], s[16:17], 0, v[8:9]
	v_mad_u64_u32 v[10:11], s[20:21], v8, s12, 0
	v_mov_b32_e32 v4, v11
	v_mad_u64_u32 v[8:9], s[20:21], v9, s12, v[4:5]
	v_mov_b32_e32 v11, v8
	v_lshl_add_u64 v[8:9], v[10:11], 2, s[6:7]
	global_load_dword v4, v[8:9], off
.LBB399_9:
	;; [unrolled: 15-line block ×3, first 2 shown]
	s_or_b64 exec, exec, s[10:11]
	s_lshl_b64 s[6:7], s[14:15], 2
	s_add_u32 s6, s18, s6
	s_addc_u32 s7, s19, s7
	v_mov_b32_e32 v7, 0
	v_lshl_add_u64 v[8:9], s[6:7], 0, v[6:7]
	s_and_saveexec_b64 s[6:7], vcc
	s_cbranch_execnz .LBB399_20
; %bb.12:
	s_or_b64 exec, exec, s[6:7]
	s_and_saveexec_b64 s[6:7], s[0:1]
	s_cbranch_execnz .LBB399_21
.LBB399_13:
	s_or_b64 exec, exec, s[6:7]
	s_and_saveexec_b64 s[0:1], s[2:3]
	s_cbranch_execnz .LBB399_22
.LBB399_14:
	s_or_b64 exec, exec, s[0:1]
                                        ; implicit-def: $vgpr2
	s_and_saveexec_b64 s[0:1], s[4:5]
	s_cbranch_execz .LBB399_16
.LBB399_15:
	s_waitcnt vmcnt(0)
	v_cndmask_b32_e64 v2, v5, v5, s[4:5]
	s_or_b64 s[8:9], s[8:9], exec
.LBB399_16:
	s_or_b64 exec, exec, s[0:1]
.LBB399_17:
	s_and_saveexec_b64 s[0:1], s[8:9]
	s_cbranch_execnz .LBB399_19
; %bb.18:
	s_endpgm
.LBB399_19:
	v_add_co_u32_e32 v0, vcc, 0x1000, v8
	s_nop 1
	v_addc_co_u32_e32 v1, vcc, 0, v9, vcc
	s_waitcnt vmcnt(0)
	global_store_dword v[0:1], v2, off offset:2048
	s_endpgm
.LBB399_20:
	s_waitcnt vmcnt(0)
	global_store_dword v[8:9], v2, off
	s_or_b64 exec, exec, s[6:7]
	s_and_saveexec_b64 s[6:7], s[0:1]
	s_cbranch_execz .LBB399_13
.LBB399_21:
	s_waitcnt vmcnt(0)
	global_store_dword v[8:9], v3, off offset:2048
	s_or_b64 exec, exec, s[6:7]
	s_and_saveexec_b64 s[0:1], s[2:3]
	s_cbranch_execz .LBB399_14
.LBB399_22:
	v_add_co_u32_e32 v0, vcc, 0x1000, v8
	s_waitcnt vmcnt(0)
	v_cndmask_b32_e64 v2, v4, v4, s[2:3]
	v_addc_co_u32_e32 v1, vcc, 0, v9, vcc
	global_store_dword v[0:1], v2, off
	s_or_b64 exec, exec, s[0:1]
                                        ; implicit-def: $vgpr2
	s_and_saveexec_b64 s[0:1], s[4:5]
	s_cbranch_execnz .LBB399_15
	s_branch .LBB399_16
	.section	.rodata,"a",@progbits
	.p2align	6, 0x0
	.amdhsa_kernel _ZN7rocprim17ROCPRIM_400000_NS6detail17trampoline_kernelINS0_14default_configENS1_25transform_config_selectorIjLb0EEEZNS1_14transform_implILb0ES3_S5_NS0_18transform_iteratorINS0_17counting_iteratorImlEEZNS1_24adjacent_difference_implIS3_Lb1ELb0EPjSB_N6thrust23THRUST_200600_302600_NS4plusIjEEEE10hipError_tPvRmT2_T3_mT4_P12ihipStream_tbEUlmE_jEESB_NS0_8identityIvEEEESG_SJ_SK_mSL_SN_bEUlT_E_NS1_11comp_targetILNS1_3genE5ELNS1_11target_archE942ELNS1_3gpuE9ELNS1_3repE0EEENS1_30default_config_static_selectorELNS0_4arch9wavefront6targetE1EEEvT1_
		.amdhsa_group_segment_fixed_size 0
		.amdhsa_private_segment_fixed_size 0
		.amdhsa_kernarg_size 312
		.amdhsa_user_sgpr_count 2
		.amdhsa_user_sgpr_dispatch_ptr 0
		.amdhsa_user_sgpr_queue_ptr 0
		.amdhsa_user_sgpr_kernarg_segment_ptr 1
		.amdhsa_user_sgpr_dispatch_id 0
		.amdhsa_user_sgpr_kernarg_preload_length 0
		.amdhsa_user_sgpr_kernarg_preload_offset 0
		.amdhsa_user_sgpr_private_segment_size 0
		.amdhsa_uses_dynamic_stack 0
		.amdhsa_enable_private_segment 0
		.amdhsa_system_sgpr_workgroup_id_x 1
		.amdhsa_system_sgpr_workgroup_id_y 0
		.amdhsa_system_sgpr_workgroup_id_z 0
		.amdhsa_system_sgpr_workgroup_info 0
		.amdhsa_system_vgpr_workitem_id 0
		.amdhsa_next_free_vgpr 13
		.amdhsa_next_free_sgpr 22
		.amdhsa_accum_offset 16
		.amdhsa_reserve_vcc 1
		.amdhsa_float_round_mode_32 0
		.amdhsa_float_round_mode_16_64 0
		.amdhsa_float_denorm_mode_32 3
		.amdhsa_float_denorm_mode_16_64 3
		.amdhsa_dx10_clamp 1
		.amdhsa_ieee_mode 1
		.amdhsa_fp16_overflow 0
		.amdhsa_tg_split 0
		.amdhsa_exception_fp_ieee_invalid_op 0
		.amdhsa_exception_fp_denorm_src 0
		.amdhsa_exception_fp_ieee_div_zero 0
		.amdhsa_exception_fp_ieee_overflow 0
		.amdhsa_exception_fp_ieee_underflow 0
		.amdhsa_exception_fp_ieee_inexact 0
		.amdhsa_exception_int_div_zero 0
	.end_amdhsa_kernel
	.section	.text._ZN7rocprim17ROCPRIM_400000_NS6detail17trampoline_kernelINS0_14default_configENS1_25transform_config_selectorIjLb0EEEZNS1_14transform_implILb0ES3_S5_NS0_18transform_iteratorINS0_17counting_iteratorImlEEZNS1_24adjacent_difference_implIS3_Lb1ELb0EPjSB_N6thrust23THRUST_200600_302600_NS4plusIjEEEE10hipError_tPvRmT2_T3_mT4_P12ihipStream_tbEUlmE_jEESB_NS0_8identityIvEEEESG_SJ_SK_mSL_SN_bEUlT_E_NS1_11comp_targetILNS1_3genE5ELNS1_11target_archE942ELNS1_3gpuE9ELNS1_3repE0EEENS1_30default_config_static_selectorELNS0_4arch9wavefront6targetE1EEEvT1_,"axG",@progbits,_ZN7rocprim17ROCPRIM_400000_NS6detail17trampoline_kernelINS0_14default_configENS1_25transform_config_selectorIjLb0EEEZNS1_14transform_implILb0ES3_S5_NS0_18transform_iteratorINS0_17counting_iteratorImlEEZNS1_24adjacent_difference_implIS3_Lb1ELb0EPjSB_N6thrust23THRUST_200600_302600_NS4plusIjEEEE10hipError_tPvRmT2_T3_mT4_P12ihipStream_tbEUlmE_jEESB_NS0_8identityIvEEEESG_SJ_SK_mSL_SN_bEUlT_E_NS1_11comp_targetILNS1_3genE5ELNS1_11target_archE942ELNS1_3gpuE9ELNS1_3repE0EEENS1_30default_config_static_selectorELNS0_4arch9wavefront6targetE1EEEvT1_,comdat
.Lfunc_end399:
	.size	_ZN7rocprim17ROCPRIM_400000_NS6detail17trampoline_kernelINS0_14default_configENS1_25transform_config_selectorIjLb0EEEZNS1_14transform_implILb0ES3_S5_NS0_18transform_iteratorINS0_17counting_iteratorImlEEZNS1_24adjacent_difference_implIS3_Lb1ELb0EPjSB_N6thrust23THRUST_200600_302600_NS4plusIjEEEE10hipError_tPvRmT2_T3_mT4_P12ihipStream_tbEUlmE_jEESB_NS0_8identityIvEEEESG_SJ_SK_mSL_SN_bEUlT_E_NS1_11comp_targetILNS1_3genE5ELNS1_11target_archE942ELNS1_3gpuE9ELNS1_3repE0EEENS1_30default_config_static_selectorELNS0_4arch9wavefront6targetE1EEEvT1_, .Lfunc_end399-_ZN7rocprim17ROCPRIM_400000_NS6detail17trampoline_kernelINS0_14default_configENS1_25transform_config_selectorIjLb0EEEZNS1_14transform_implILb0ES3_S5_NS0_18transform_iteratorINS0_17counting_iteratorImlEEZNS1_24adjacent_difference_implIS3_Lb1ELb0EPjSB_N6thrust23THRUST_200600_302600_NS4plusIjEEEE10hipError_tPvRmT2_T3_mT4_P12ihipStream_tbEUlmE_jEESB_NS0_8identityIvEEEESG_SJ_SK_mSL_SN_bEUlT_E_NS1_11comp_targetILNS1_3genE5ELNS1_11target_archE942ELNS1_3gpuE9ELNS1_3repE0EEENS1_30default_config_static_selectorELNS0_4arch9wavefront6targetE1EEEvT1_
                                        ; -- End function
	.section	.AMDGPU.csdata,"",@progbits
; Kernel info:
; codeLenInByte = 840
; NumSgprs: 28
; NumVgprs: 13
; NumAgprs: 0
; TotalNumVgprs: 13
; ScratchSize: 0
; MemoryBound: 0
; FloatMode: 240
; IeeeMode: 1
; LDSByteSize: 0 bytes/workgroup (compile time only)
; SGPRBlocks: 3
; VGPRBlocks: 1
; NumSGPRsForWavesPerEU: 28
; NumVGPRsForWavesPerEU: 13
; AccumOffset: 16
; Occupancy: 8
; WaveLimiterHint : 1
; COMPUTE_PGM_RSRC2:SCRATCH_EN: 0
; COMPUTE_PGM_RSRC2:USER_SGPR: 2
; COMPUTE_PGM_RSRC2:TRAP_HANDLER: 0
; COMPUTE_PGM_RSRC2:TGID_X_EN: 1
; COMPUTE_PGM_RSRC2:TGID_Y_EN: 0
; COMPUTE_PGM_RSRC2:TGID_Z_EN: 0
; COMPUTE_PGM_RSRC2:TIDIG_COMP_CNT: 0
; COMPUTE_PGM_RSRC3_GFX90A:ACCUM_OFFSET: 3
; COMPUTE_PGM_RSRC3_GFX90A:TG_SPLIT: 0
	.section	.text._ZN7rocprim17ROCPRIM_400000_NS6detail17trampoline_kernelINS0_14default_configENS1_25transform_config_selectorIjLb0EEEZNS1_14transform_implILb0ES3_S5_NS0_18transform_iteratorINS0_17counting_iteratorImlEEZNS1_24adjacent_difference_implIS3_Lb1ELb0EPjSB_N6thrust23THRUST_200600_302600_NS4plusIjEEEE10hipError_tPvRmT2_T3_mT4_P12ihipStream_tbEUlmE_jEESB_NS0_8identityIvEEEESG_SJ_SK_mSL_SN_bEUlT_E_NS1_11comp_targetILNS1_3genE4ELNS1_11target_archE910ELNS1_3gpuE8ELNS1_3repE0EEENS1_30default_config_static_selectorELNS0_4arch9wavefront6targetE1EEEvT1_,"axG",@progbits,_ZN7rocprim17ROCPRIM_400000_NS6detail17trampoline_kernelINS0_14default_configENS1_25transform_config_selectorIjLb0EEEZNS1_14transform_implILb0ES3_S5_NS0_18transform_iteratorINS0_17counting_iteratorImlEEZNS1_24adjacent_difference_implIS3_Lb1ELb0EPjSB_N6thrust23THRUST_200600_302600_NS4plusIjEEEE10hipError_tPvRmT2_T3_mT4_P12ihipStream_tbEUlmE_jEESB_NS0_8identityIvEEEESG_SJ_SK_mSL_SN_bEUlT_E_NS1_11comp_targetILNS1_3genE4ELNS1_11target_archE910ELNS1_3gpuE8ELNS1_3repE0EEENS1_30default_config_static_selectorELNS0_4arch9wavefront6targetE1EEEvT1_,comdat
	.protected	_ZN7rocprim17ROCPRIM_400000_NS6detail17trampoline_kernelINS0_14default_configENS1_25transform_config_selectorIjLb0EEEZNS1_14transform_implILb0ES3_S5_NS0_18transform_iteratorINS0_17counting_iteratorImlEEZNS1_24adjacent_difference_implIS3_Lb1ELb0EPjSB_N6thrust23THRUST_200600_302600_NS4plusIjEEEE10hipError_tPvRmT2_T3_mT4_P12ihipStream_tbEUlmE_jEESB_NS0_8identityIvEEEESG_SJ_SK_mSL_SN_bEUlT_E_NS1_11comp_targetILNS1_3genE4ELNS1_11target_archE910ELNS1_3gpuE8ELNS1_3repE0EEENS1_30default_config_static_selectorELNS0_4arch9wavefront6targetE1EEEvT1_ ; -- Begin function _ZN7rocprim17ROCPRIM_400000_NS6detail17trampoline_kernelINS0_14default_configENS1_25transform_config_selectorIjLb0EEEZNS1_14transform_implILb0ES3_S5_NS0_18transform_iteratorINS0_17counting_iteratorImlEEZNS1_24adjacent_difference_implIS3_Lb1ELb0EPjSB_N6thrust23THRUST_200600_302600_NS4plusIjEEEE10hipError_tPvRmT2_T3_mT4_P12ihipStream_tbEUlmE_jEESB_NS0_8identityIvEEEESG_SJ_SK_mSL_SN_bEUlT_E_NS1_11comp_targetILNS1_3genE4ELNS1_11target_archE910ELNS1_3gpuE8ELNS1_3repE0EEENS1_30default_config_static_selectorELNS0_4arch9wavefront6targetE1EEEvT1_
	.globl	_ZN7rocprim17ROCPRIM_400000_NS6detail17trampoline_kernelINS0_14default_configENS1_25transform_config_selectorIjLb0EEEZNS1_14transform_implILb0ES3_S5_NS0_18transform_iteratorINS0_17counting_iteratorImlEEZNS1_24adjacent_difference_implIS3_Lb1ELb0EPjSB_N6thrust23THRUST_200600_302600_NS4plusIjEEEE10hipError_tPvRmT2_T3_mT4_P12ihipStream_tbEUlmE_jEESB_NS0_8identityIvEEEESG_SJ_SK_mSL_SN_bEUlT_E_NS1_11comp_targetILNS1_3genE4ELNS1_11target_archE910ELNS1_3gpuE8ELNS1_3repE0EEENS1_30default_config_static_selectorELNS0_4arch9wavefront6targetE1EEEvT1_
	.p2align	8
	.type	_ZN7rocprim17ROCPRIM_400000_NS6detail17trampoline_kernelINS0_14default_configENS1_25transform_config_selectorIjLb0EEEZNS1_14transform_implILb0ES3_S5_NS0_18transform_iteratorINS0_17counting_iteratorImlEEZNS1_24adjacent_difference_implIS3_Lb1ELb0EPjSB_N6thrust23THRUST_200600_302600_NS4plusIjEEEE10hipError_tPvRmT2_T3_mT4_P12ihipStream_tbEUlmE_jEESB_NS0_8identityIvEEEESG_SJ_SK_mSL_SN_bEUlT_E_NS1_11comp_targetILNS1_3genE4ELNS1_11target_archE910ELNS1_3gpuE8ELNS1_3repE0EEENS1_30default_config_static_selectorELNS0_4arch9wavefront6targetE1EEEvT1_,@function
_ZN7rocprim17ROCPRIM_400000_NS6detail17trampoline_kernelINS0_14default_configENS1_25transform_config_selectorIjLb0EEEZNS1_14transform_implILb0ES3_S5_NS0_18transform_iteratorINS0_17counting_iteratorImlEEZNS1_24adjacent_difference_implIS3_Lb1ELb0EPjSB_N6thrust23THRUST_200600_302600_NS4plusIjEEEE10hipError_tPvRmT2_T3_mT4_P12ihipStream_tbEUlmE_jEESB_NS0_8identityIvEEEESG_SJ_SK_mSL_SN_bEUlT_E_NS1_11comp_targetILNS1_3genE4ELNS1_11target_archE910ELNS1_3gpuE8ELNS1_3repE0EEENS1_30default_config_static_selectorELNS0_4arch9wavefront6targetE1EEEvT1_: ; @_ZN7rocprim17ROCPRIM_400000_NS6detail17trampoline_kernelINS0_14default_configENS1_25transform_config_selectorIjLb0EEEZNS1_14transform_implILb0ES3_S5_NS0_18transform_iteratorINS0_17counting_iteratorImlEEZNS1_24adjacent_difference_implIS3_Lb1ELb0EPjSB_N6thrust23THRUST_200600_302600_NS4plusIjEEEE10hipError_tPvRmT2_T3_mT4_P12ihipStream_tbEUlmE_jEESB_NS0_8identityIvEEEESG_SJ_SK_mSL_SN_bEUlT_E_NS1_11comp_targetILNS1_3genE4ELNS1_11target_archE910ELNS1_3gpuE8ELNS1_3repE0EEENS1_30default_config_static_selectorELNS0_4arch9wavefront6targetE1EEEvT1_
; %bb.0:
	.section	.rodata,"a",@progbits
	.p2align	6, 0x0
	.amdhsa_kernel _ZN7rocprim17ROCPRIM_400000_NS6detail17trampoline_kernelINS0_14default_configENS1_25transform_config_selectorIjLb0EEEZNS1_14transform_implILb0ES3_S5_NS0_18transform_iteratorINS0_17counting_iteratorImlEEZNS1_24adjacent_difference_implIS3_Lb1ELb0EPjSB_N6thrust23THRUST_200600_302600_NS4plusIjEEEE10hipError_tPvRmT2_T3_mT4_P12ihipStream_tbEUlmE_jEESB_NS0_8identityIvEEEESG_SJ_SK_mSL_SN_bEUlT_E_NS1_11comp_targetILNS1_3genE4ELNS1_11target_archE910ELNS1_3gpuE8ELNS1_3repE0EEENS1_30default_config_static_selectorELNS0_4arch9wavefront6targetE1EEEvT1_
		.amdhsa_group_segment_fixed_size 0
		.amdhsa_private_segment_fixed_size 0
		.amdhsa_kernarg_size 56
		.amdhsa_user_sgpr_count 2
		.amdhsa_user_sgpr_dispatch_ptr 0
		.amdhsa_user_sgpr_queue_ptr 0
		.amdhsa_user_sgpr_kernarg_segment_ptr 1
		.amdhsa_user_sgpr_dispatch_id 0
		.amdhsa_user_sgpr_kernarg_preload_length 0
		.amdhsa_user_sgpr_kernarg_preload_offset 0
		.amdhsa_user_sgpr_private_segment_size 0
		.amdhsa_uses_dynamic_stack 0
		.amdhsa_enable_private_segment 0
		.amdhsa_system_sgpr_workgroup_id_x 1
		.amdhsa_system_sgpr_workgroup_id_y 0
		.amdhsa_system_sgpr_workgroup_id_z 0
		.amdhsa_system_sgpr_workgroup_info 0
		.amdhsa_system_vgpr_workitem_id 0
		.amdhsa_next_free_vgpr 1
		.amdhsa_next_free_sgpr 0
		.amdhsa_accum_offset 4
		.amdhsa_reserve_vcc 0
		.amdhsa_float_round_mode_32 0
		.amdhsa_float_round_mode_16_64 0
		.amdhsa_float_denorm_mode_32 3
		.amdhsa_float_denorm_mode_16_64 3
		.amdhsa_dx10_clamp 1
		.amdhsa_ieee_mode 1
		.amdhsa_fp16_overflow 0
		.amdhsa_tg_split 0
		.amdhsa_exception_fp_ieee_invalid_op 0
		.amdhsa_exception_fp_denorm_src 0
		.amdhsa_exception_fp_ieee_div_zero 0
		.amdhsa_exception_fp_ieee_overflow 0
		.amdhsa_exception_fp_ieee_underflow 0
		.amdhsa_exception_fp_ieee_inexact 0
		.amdhsa_exception_int_div_zero 0
	.end_amdhsa_kernel
	.section	.text._ZN7rocprim17ROCPRIM_400000_NS6detail17trampoline_kernelINS0_14default_configENS1_25transform_config_selectorIjLb0EEEZNS1_14transform_implILb0ES3_S5_NS0_18transform_iteratorINS0_17counting_iteratorImlEEZNS1_24adjacent_difference_implIS3_Lb1ELb0EPjSB_N6thrust23THRUST_200600_302600_NS4plusIjEEEE10hipError_tPvRmT2_T3_mT4_P12ihipStream_tbEUlmE_jEESB_NS0_8identityIvEEEESG_SJ_SK_mSL_SN_bEUlT_E_NS1_11comp_targetILNS1_3genE4ELNS1_11target_archE910ELNS1_3gpuE8ELNS1_3repE0EEENS1_30default_config_static_selectorELNS0_4arch9wavefront6targetE1EEEvT1_,"axG",@progbits,_ZN7rocprim17ROCPRIM_400000_NS6detail17trampoline_kernelINS0_14default_configENS1_25transform_config_selectorIjLb0EEEZNS1_14transform_implILb0ES3_S5_NS0_18transform_iteratorINS0_17counting_iteratorImlEEZNS1_24adjacent_difference_implIS3_Lb1ELb0EPjSB_N6thrust23THRUST_200600_302600_NS4plusIjEEEE10hipError_tPvRmT2_T3_mT4_P12ihipStream_tbEUlmE_jEESB_NS0_8identityIvEEEESG_SJ_SK_mSL_SN_bEUlT_E_NS1_11comp_targetILNS1_3genE4ELNS1_11target_archE910ELNS1_3gpuE8ELNS1_3repE0EEENS1_30default_config_static_selectorELNS0_4arch9wavefront6targetE1EEEvT1_,comdat
.Lfunc_end400:
	.size	_ZN7rocprim17ROCPRIM_400000_NS6detail17trampoline_kernelINS0_14default_configENS1_25transform_config_selectorIjLb0EEEZNS1_14transform_implILb0ES3_S5_NS0_18transform_iteratorINS0_17counting_iteratorImlEEZNS1_24adjacent_difference_implIS3_Lb1ELb0EPjSB_N6thrust23THRUST_200600_302600_NS4plusIjEEEE10hipError_tPvRmT2_T3_mT4_P12ihipStream_tbEUlmE_jEESB_NS0_8identityIvEEEESG_SJ_SK_mSL_SN_bEUlT_E_NS1_11comp_targetILNS1_3genE4ELNS1_11target_archE910ELNS1_3gpuE8ELNS1_3repE0EEENS1_30default_config_static_selectorELNS0_4arch9wavefront6targetE1EEEvT1_, .Lfunc_end400-_ZN7rocprim17ROCPRIM_400000_NS6detail17trampoline_kernelINS0_14default_configENS1_25transform_config_selectorIjLb0EEEZNS1_14transform_implILb0ES3_S5_NS0_18transform_iteratorINS0_17counting_iteratorImlEEZNS1_24adjacent_difference_implIS3_Lb1ELb0EPjSB_N6thrust23THRUST_200600_302600_NS4plusIjEEEE10hipError_tPvRmT2_T3_mT4_P12ihipStream_tbEUlmE_jEESB_NS0_8identityIvEEEESG_SJ_SK_mSL_SN_bEUlT_E_NS1_11comp_targetILNS1_3genE4ELNS1_11target_archE910ELNS1_3gpuE8ELNS1_3repE0EEENS1_30default_config_static_selectorELNS0_4arch9wavefront6targetE1EEEvT1_
                                        ; -- End function
	.section	.AMDGPU.csdata,"",@progbits
; Kernel info:
; codeLenInByte = 0
; NumSgprs: 6
; NumVgprs: 0
; NumAgprs: 0
; TotalNumVgprs: 0
; ScratchSize: 0
; MemoryBound: 0
; FloatMode: 240
; IeeeMode: 1
; LDSByteSize: 0 bytes/workgroup (compile time only)
; SGPRBlocks: 0
; VGPRBlocks: 0
; NumSGPRsForWavesPerEU: 6
; NumVGPRsForWavesPerEU: 1
; AccumOffset: 4
; Occupancy: 8
; WaveLimiterHint : 0
; COMPUTE_PGM_RSRC2:SCRATCH_EN: 0
; COMPUTE_PGM_RSRC2:USER_SGPR: 2
; COMPUTE_PGM_RSRC2:TRAP_HANDLER: 0
; COMPUTE_PGM_RSRC2:TGID_X_EN: 1
; COMPUTE_PGM_RSRC2:TGID_Y_EN: 0
; COMPUTE_PGM_RSRC2:TGID_Z_EN: 0
; COMPUTE_PGM_RSRC2:TIDIG_COMP_CNT: 0
; COMPUTE_PGM_RSRC3_GFX90A:ACCUM_OFFSET: 0
; COMPUTE_PGM_RSRC3_GFX90A:TG_SPLIT: 0
	.section	.text._ZN7rocprim17ROCPRIM_400000_NS6detail17trampoline_kernelINS0_14default_configENS1_25transform_config_selectorIjLb0EEEZNS1_14transform_implILb0ES3_S5_NS0_18transform_iteratorINS0_17counting_iteratorImlEEZNS1_24adjacent_difference_implIS3_Lb1ELb0EPjSB_N6thrust23THRUST_200600_302600_NS4plusIjEEEE10hipError_tPvRmT2_T3_mT4_P12ihipStream_tbEUlmE_jEESB_NS0_8identityIvEEEESG_SJ_SK_mSL_SN_bEUlT_E_NS1_11comp_targetILNS1_3genE3ELNS1_11target_archE908ELNS1_3gpuE7ELNS1_3repE0EEENS1_30default_config_static_selectorELNS0_4arch9wavefront6targetE1EEEvT1_,"axG",@progbits,_ZN7rocprim17ROCPRIM_400000_NS6detail17trampoline_kernelINS0_14default_configENS1_25transform_config_selectorIjLb0EEEZNS1_14transform_implILb0ES3_S5_NS0_18transform_iteratorINS0_17counting_iteratorImlEEZNS1_24adjacent_difference_implIS3_Lb1ELb0EPjSB_N6thrust23THRUST_200600_302600_NS4plusIjEEEE10hipError_tPvRmT2_T3_mT4_P12ihipStream_tbEUlmE_jEESB_NS0_8identityIvEEEESG_SJ_SK_mSL_SN_bEUlT_E_NS1_11comp_targetILNS1_3genE3ELNS1_11target_archE908ELNS1_3gpuE7ELNS1_3repE0EEENS1_30default_config_static_selectorELNS0_4arch9wavefront6targetE1EEEvT1_,comdat
	.protected	_ZN7rocprim17ROCPRIM_400000_NS6detail17trampoline_kernelINS0_14default_configENS1_25transform_config_selectorIjLb0EEEZNS1_14transform_implILb0ES3_S5_NS0_18transform_iteratorINS0_17counting_iteratorImlEEZNS1_24adjacent_difference_implIS3_Lb1ELb0EPjSB_N6thrust23THRUST_200600_302600_NS4plusIjEEEE10hipError_tPvRmT2_T3_mT4_P12ihipStream_tbEUlmE_jEESB_NS0_8identityIvEEEESG_SJ_SK_mSL_SN_bEUlT_E_NS1_11comp_targetILNS1_3genE3ELNS1_11target_archE908ELNS1_3gpuE7ELNS1_3repE0EEENS1_30default_config_static_selectorELNS0_4arch9wavefront6targetE1EEEvT1_ ; -- Begin function _ZN7rocprim17ROCPRIM_400000_NS6detail17trampoline_kernelINS0_14default_configENS1_25transform_config_selectorIjLb0EEEZNS1_14transform_implILb0ES3_S5_NS0_18transform_iteratorINS0_17counting_iteratorImlEEZNS1_24adjacent_difference_implIS3_Lb1ELb0EPjSB_N6thrust23THRUST_200600_302600_NS4plusIjEEEE10hipError_tPvRmT2_T3_mT4_P12ihipStream_tbEUlmE_jEESB_NS0_8identityIvEEEESG_SJ_SK_mSL_SN_bEUlT_E_NS1_11comp_targetILNS1_3genE3ELNS1_11target_archE908ELNS1_3gpuE7ELNS1_3repE0EEENS1_30default_config_static_selectorELNS0_4arch9wavefront6targetE1EEEvT1_
	.globl	_ZN7rocprim17ROCPRIM_400000_NS6detail17trampoline_kernelINS0_14default_configENS1_25transform_config_selectorIjLb0EEEZNS1_14transform_implILb0ES3_S5_NS0_18transform_iteratorINS0_17counting_iteratorImlEEZNS1_24adjacent_difference_implIS3_Lb1ELb0EPjSB_N6thrust23THRUST_200600_302600_NS4plusIjEEEE10hipError_tPvRmT2_T3_mT4_P12ihipStream_tbEUlmE_jEESB_NS0_8identityIvEEEESG_SJ_SK_mSL_SN_bEUlT_E_NS1_11comp_targetILNS1_3genE3ELNS1_11target_archE908ELNS1_3gpuE7ELNS1_3repE0EEENS1_30default_config_static_selectorELNS0_4arch9wavefront6targetE1EEEvT1_
	.p2align	8
	.type	_ZN7rocprim17ROCPRIM_400000_NS6detail17trampoline_kernelINS0_14default_configENS1_25transform_config_selectorIjLb0EEEZNS1_14transform_implILb0ES3_S5_NS0_18transform_iteratorINS0_17counting_iteratorImlEEZNS1_24adjacent_difference_implIS3_Lb1ELb0EPjSB_N6thrust23THRUST_200600_302600_NS4plusIjEEEE10hipError_tPvRmT2_T3_mT4_P12ihipStream_tbEUlmE_jEESB_NS0_8identityIvEEEESG_SJ_SK_mSL_SN_bEUlT_E_NS1_11comp_targetILNS1_3genE3ELNS1_11target_archE908ELNS1_3gpuE7ELNS1_3repE0EEENS1_30default_config_static_selectorELNS0_4arch9wavefront6targetE1EEEvT1_,@function
_ZN7rocprim17ROCPRIM_400000_NS6detail17trampoline_kernelINS0_14default_configENS1_25transform_config_selectorIjLb0EEEZNS1_14transform_implILb0ES3_S5_NS0_18transform_iteratorINS0_17counting_iteratorImlEEZNS1_24adjacent_difference_implIS3_Lb1ELb0EPjSB_N6thrust23THRUST_200600_302600_NS4plusIjEEEE10hipError_tPvRmT2_T3_mT4_P12ihipStream_tbEUlmE_jEESB_NS0_8identityIvEEEESG_SJ_SK_mSL_SN_bEUlT_E_NS1_11comp_targetILNS1_3genE3ELNS1_11target_archE908ELNS1_3gpuE7ELNS1_3repE0EEENS1_30default_config_static_selectorELNS0_4arch9wavefront6targetE1EEEvT1_: ; @_ZN7rocprim17ROCPRIM_400000_NS6detail17trampoline_kernelINS0_14default_configENS1_25transform_config_selectorIjLb0EEEZNS1_14transform_implILb0ES3_S5_NS0_18transform_iteratorINS0_17counting_iteratorImlEEZNS1_24adjacent_difference_implIS3_Lb1ELb0EPjSB_N6thrust23THRUST_200600_302600_NS4plusIjEEEE10hipError_tPvRmT2_T3_mT4_P12ihipStream_tbEUlmE_jEESB_NS0_8identityIvEEEESG_SJ_SK_mSL_SN_bEUlT_E_NS1_11comp_targetILNS1_3genE3ELNS1_11target_archE908ELNS1_3gpuE7ELNS1_3repE0EEENS1_30default_config_static_selectorELNS0_4arch9wavefront6targetE1EEEvT1_
; %bb.0:
	.section	.rodata,"a",@progbits
	.p2align	6, 0x0
	.amdhsa_kernel _ZN7rocprim17ROCPRIM_400000_NS6detail17trampoline_kernelINS0_14default_configENS1_25transform_config_selectorIjLb0EEEZNS1_14transform_implILb0ES3_S5_NS0_18transform_iteratorINS0_17counting_iteratorImlEEZNS1_24adjacent_difference_implIS3_Lb1ELb0EPjSB_N6thrust23THRUST_200600_302600_NS4plusIjEEEE10hipError_tPvRmT2_T3_mT4_P12ihipStream_tbEUlmE_jEESB_NS0_8identityIvEEEESG_SJ_SK_mSL_SN_bEUlT_E_NS1_11comp_targetILNS1_3genE3ELNS1_11target_archE908ELNS1_3gpuE7ELNS1_3repE0EEENS1_30default_config_static_selectorELNS0_4arch9wavefront6targetE1EEEvT1_
		.amdhsa_group_segment_fixed_size 0
		.amdhsa_private_segment_fixed_size 0
		.amdhsa_kernarg_size 56
		.amdhsa_user_sgpr_count 2
		.amdhsa_user_sgpr_dispatch_ptr 0
		.amdhsa_user_sgpr_queue_ptr 0
		.amdhsa_user_sgpr_kernarg_segment_ptr 1
		.amdhsa_user_sgpr_dispatch_id 0
		.amdhsa_user_sgpr_kernarg_preload_length 0
		.amdhsa_user_sgpr_kernarg_preload_offset 0
		.amdhsa_user_sgpr_private_segment_size 0
		.amdhsa_uses_dynamic_stack 0
		.amdhsa_enable_private_segment 0
		.amdhsa_system_sgpr_workgroup_id_x 1
		.amdhsa_system_sgpr_workgroup_id_y 0
		.amdhsa_system_sgpr_workgroup_id_z 0
		.amdhsa_system_sgpr_workgroup_info 0
		.amdhsa_system_vgpr_workitem_id 0
		.amdhsa_next_free_vgpr 1
		.amdhsa_next_free_sgpr 0
		.amdhsa_accum_offset 4
		.amdhsa_reserve_vcc 0
		.amdhsa_float_round_mode_32 0
		.amdhsa_float_round_mode_16_64 0
		.amdhsa_float_denorm_mode_32 3
		.amdhsa_float_denorm_mode_16_64 3
		.amdhsa_dx10_clamp 1
		.amdhsa_ieee_mode 1
		.amdhsa_fp16_overflow 0
		.amdhsa_tg_split 0
		.amdhsa_exception_fp_ieee_invalid_op 0
		.amdhsa_exception_fp_denorm_src 0
		.amdhsa_exception_fp_ieee_div_zero 0
		.amdhsa_exception_fp_ieee_overflow 0
		.amdhsa_exception_fp_ieee_underflow 0
		.amdhsa_exception_fp_ieee_inexact 0
		.amdhsa_exception_int_div_zero 0
	.end_amdhsa_kernel
	.section	.text._ZN7rocprim17ROCPRIM_400000_NS6detail17trampoline_kernelINS0_14default_configENS1_25transform_config_selectorIjLb0EEEZNS1_14transform_implILb0ES3_S5_NS0_18transform_iteratorINS0_17counting_iteratorImlEEZNS1_24adjacent_difference_implIS3_Lb1ELb0EPjSB_N6thrust23THRUST_200600_302600_NS4plusIjEEEE10hipError_tPvRmT2_T3_mT4_P12ihipStream_tbEUlmE_jEESB_NS0_8identityIvEEEESG_SJ_SK_mSL_SN_bEUlT_E_NS1_11comp_targetILNS1_3genE3ELNS1_11target_archE908ELNS1_3gpuE7ELNS1_3repE0EEENS1_30default_config_static_selectorELNS0_4arch9wavefront6targetE1EEEvT1_,"axG",@progbits,_ZN7rocprim17ROCPRIM_400000_NS6detail17trampoline_kernelINS0_14default_configENS1_25transform_config_selectorIjLb0EEEZNS1_14transform_implILb0ES3_S5_NS0_18transform_iteratorINS0_17counting_iteratorImlEEZNS1_24adjacent_difference_implIS3_Lb1ELb0EPjSB_N6thrust23THRUST_200600_302600_NS4plusIjEEEE10hipError_tPvRmT2_T3_mT4_P12ihipStream_tbEUlmE_jEESB_NS0_8identityIvEEEESG_SJ_SK_mSL_SN_bEUlT_E_NS1_11comp_targetILNS1_3genE3ELNS1_11target_archE908ELNS1_3gpuE7ELNS1_3repE0EEENS1_30default_config_static_selectorELNS0_4arch9wavefront6targetE1EEEvT1_,comdat
.Lfunc_end401:
	.size	_ZN7rocprim17ROCPRIM_400000_NS6detail17trampoline_kernelINS0_14default_configENS1_25transform_config_selectorIjLb0EEEZNS1_14transform_implILb0ES3_S5_NS0_18transform_iteratorINS0_17counting_iteratorImlEEZNS1_24adjacent_difference_implIS3_Lb1ELb0EPjSB_N6thrust23THRUST_200600_302600_NS4plusIjEEEE10hipError_tPvRmT2_T3_mT4_P12ihipStream_tbEUlmE_jEESB_NS0_8identityIvEEEESG_SJ_SK_mSL_SN_bEUlT_E_NS1_11comp_targetILNS1_3genE3ELNS1_11target_archE908ELNS1_3gpuE7ELNS1_3repE0EEENS1_30default_config_static_selectorELNS0_4arch9wavefront6targetE1EEEvT1_, .Lfunc_end401-_ZN7rocprim17ROCPRIM_400000_NS6detail17trampoline_kernelINS0_14default_configENS1_25transform_config_selectorIjLb0EEEZNS1_14transform_implILb0ES3_S5_NS0_18transform_iteratorINS0_17counting_iteratorImlEEZNS1_24adjacent_difference_implIS3_Lb1ELb0EPjSB_N6thrust23THRUST_200600_302600_NS4plusIjEEEE10hipError_tPvRmT2_T3_mT4_P12ihipStream_tbEUlmE_jEESB_NS0_8identityIvEEEESG_SJ_SK_mSL_SN_bEUlT_E_NS1_11comp_targetILNS1_3genE3ELNS1_11target_archE908ELNS1_3gpuE7ELNS1_3repE0EEENS1_30default_config_static_selectorELNS0_4arch9wavefront6targetE1EEEvT1_
                                        ; -- End function
	.section	.AMDGPU.csdata,"",@progbits
; Kernel info:
; codeLenInByte = 0
; NumSgprs: 6
; NumVgprs: 0
; NumAgprs: 0
; TotalNumVgprs: 0
; ScratchSize: 0
; MemoryBound: 0
; FloatMode: 240
; IeeeMode: 1
; LDSByteSize: 0 bytes/workgroup (compile time only)
; SGPRBlocks: 0
; VGPRBlocks: 0
; NumSGPRsForWavesPerEU: 6
; NumVGPRsForWavesPerEU: 1
; AccumOffset: 4
; Occupancy: 8
; WaveLimiterHint : 0
; COMPUTE_PGM_RSRC2:SCRATCH_EN: 0
; COMPUTE_PGM_RSRC2:USER_SGPR: 2
; COMPUTE_PGM_RSRC2:TRAP_HANDLER: 0
; COMPUTE_PGM_RSRC2:TGID_X_EN: 1
; COMPUTE_PGM_RSRC2:TGID_Y_EN: 0
; COMPUTE_PGM_RSRC2:TGID_Z_EN: 0
; COMPUTE_PGM_RSRC2:TIDIG_COMP_CNT: 0
; COMPUTE_PGM_RSRC3_GFX90A:ACCUM_OFFSET: 0
; COMPUTE_PGM_RSRC3_GFX90A:TG_SPLIT: 0
	.section	.text._ZN7rocprim17ROCPRIM_400000_NS6detail17trampoline_kernelINS0_14default_configENS1_25transform_config_selectorIjLb0EEEZNS1_14transform_implILb0ES3_S5_NS0_18transform_iteratorINS0_17counting_iteratorImlEEZNS1_24adjacent_difference_implIS3_Lb1ELb0EPjSB_N6thrust23THRUST_200600_302600_NS4plusIjEEEE10hipError_tPvRmT2_T3_mT4_P12ihipStream_tbEUlmE_jEESB_NS0_8identityIvEEEESG_SJ_SK_mSL_SN_bEUlT_E_NS1_11comp_targetILNS1_3genE2ELNS1_11target_archE906ELNS1_3gpuE6ELNS1_3repE0EEENS1_30default_config_static_selectorELNS0_4arch9wavefront6targetE1EEEvT1_,"axG",@progbits,_ZN7rocprim17ROCPRIM_400000_NS6detail17trampoline_kernelINS0_14default_configENS1_25transform_config_selectorIjLb0EEEZNS1_14transform_implILb0ES3_S5_NS0_18transform_iteratorINS0_17counting_iteratorImlEEZNS1_24adjacent_difference_implIS3_Lb1ELb0EPjSB_N6thrust23THRUST_200600_302600_NS4plusIjEEEE10hipError_tPvRmT2_T3_mT4_P12ihipStream_tbEUlmE_jEESB_NS0_8identityIvEEEESG_SJ_SK_mSL_SN_bEUlT_E_NS1_11comp_targetILNS1_3genE2ELNS1_11target_archE906ELNS1_3gpuE6ELNS1_3repE0EEENS1_30default_config_static_selectorELNS0_4arch9wavefront6targetE1EEEvT1_,comdat
	.protected	_ZN7rocprim17ROCPRIM_400000_NS6detail17trampoline_kernelINS0_14default_configENS1_25transform_config_selectorIjLb0EEEZNS1_14transform_implILb0ES3_S5_NS0_18transform_iteratorINS0_17counting_iteratorImlEEZNS1_24adjacent_difference_implIS3_Lb1ELb0EPjSB_N6thrust23THRUST_200600_302600_NS4plusIjEEEE10hipError_tPvRmT2_T3_mT4_P12ihipStream_tbEUlmE_jEESB_NS0_8identityIvEEEESG_SJ_SK_mSL_SN_bEUlT_E_NS1_11comp_targetILNS1_3genE2ELNS1_11target_archE906ELNS1_3gpuE6ELNS1_3repE0EEENS1_30default_config_static_selectorELNS0_4arch9wavefront6targetE1EEEvT1_ ; -- Begin function _ZN7rocprim17ROCPRIM_400000_NS6detail17trampoline_kernelINS0_14default_configENS1_25transform_config_selectorIjLb0EEEZNS1_14transform_implILb0ES3_S5_NS0_18transform_iteratorINS0_17counting_iteratorImlEEZNS1_24adjacent_difference_implIS3_Lb1ELb0EPjSB_N6thrust23THRUST_200600_302600_NS4plusIjEEEE10hipError_tPvRmT2_T3_mT4_P12ihipStream_tbEUlmE_jEESB_NS0_8identityIvEEEESG_SJ_SK_mSL_SN_bEUlT_E_NS1_11comp_targetILNS1_3genE2ELNS1_11target_archE906ELNS1_3gpuE6ELNS1_3repE0EEENS1_30default_config_static_selectorELNS0_4arch9wavefront6targetE1EEEvT1_
	.globl	_ZN7rocprim17ROCPRIM_400000_NS6detail17trampoline_kernelINS0_14default_configENS1_25transform_config_selectorIjLb0EEEZNS1_14transform_implILb0ES3_S5_NS0_18transform_iteratorINS0_17counting_iteratorImlEEZNS1_24adjacent_difference_implIS3_Lb1ELb0EPjSB_N6thrust23THRUST_200600_302600_NS4plusIjEEEE10hipError_tPvRmT2_T3_mT4_P12ihipStream_tbEUlmE_jEESB_NS0_8identityIvEEEESG_SJ_SK_mSL_SN_bEUlT_E_NS1_11comp_targetILNS1_3genE2ELNS1_11target_archE906ELNS1_3gpuE6ELNS1_3repE0EEENS1_30default_config_static_selectorELNS0_4arch9wavefront6targetE1EEEvT1_
	.p2align	8
	.type	_ZN7rocprim17ROCPRIM_400000_NS6detail17trampoline_kernelINS0_14default_configENS1_25transform_config_selectorIjLb0EEEZNS1_14transform_implILb0ES3_S5_NS0_18transform_iteratorINS0_17counting_iteratorImlEEZNS1_24adjacent_difference_implIS3_Lb1ELb0EPjSB_N6thrust23THRUST_200600_302600_NS4plusIjEEEE10hipError_tPvRmT2_T3_mT4_P12ihipStream_tbEUlmE_jEESB_NS0_8identityIvEEEESG_SJ_SK_mSL_SN_bEUlT_E_NS1_11comp_targetILNS1_3genE2ELNS1_11target_archE906ELNS1_3gpuE6ELNS1_3repE0EEENS1_30default_config_static_selectorELNS0_4arch9wavefront6targetE1EEEvT1_,@function
_ZN7rocprim17ROCPRIM_400000_NS6detail17trampoline_kernelINS0_14default_configENS1_25transform_config_selectorIjLb0EEEZNS1_14transform_implILb0ES3_S5_NS0_18transform_iteratorINS0_17counting_iteratorImlEEZNS1_24adjacent_difference_implIS3_Lb1ELb0EPjSB_N6thrust23THRUST_200600_302600_NS4plusIjEEEE10hipError_tPvRmT2_T3_mT4_P12ihipStream_tbEUlmE_jEESB_NS0_8identityIvEEEESG_SJ_SK_mSL_SN_bEUlT_E_NS1_11comp_targetILNS1_3genE2ELNS1_11target_archE906ELNS1_3gpuE6ELNS1_3repE0EEENS1_30default_config_static_selectorELNS0_4arch9wavefront6targetE1EEEvT1_: ; @_ZN7rocprim17ROCPRIM_400000_NS6detail17trampoline_kernelINS0_14default_configENS1_25transform_config_selectorIjLb0EEEZNS1_14transform_implILb0ES3_S5_NS0_18transform_iteratorINS0_17counting_iteratorImlEEZNS1_24adjacent_difference_implIS3_Lb1ELb0EPjSB_N6thrust23THRUST_200600_302600_NS4plusIjEEEE10hipError_tPvRmT2_T3_mT4_P12ihipStream_tbEUlmE_jEESB_NS0_8identityIvEEEESG_SJ_SK_mSL_SN_bEUlT_E_NS1_11comp_targetILNS1_3genE2ELNS1_11target_archE906ELNS1_3gpuE6ELNS1_3repE0EEENS1_30default_config_static_selectorELNS0_4arch9wavefront6targetE1EEEvT1_
; %bb.0:
	.section	.rodata,"a",@progbits
	.p2align	6, 0x0
	.amdhsa_kernel _ZN7rocprim17ROCPRIM_400000_NS6detail17trampoline_kernelINS0_14default_configENS1_25transform_config_selectorIjLb0EEEZNS1_14transform_implILb0ES3_S5_NS0_18transform_iteratorINS0_17counting_iteratorImlEEZNS1_24adjacent_difference_implIS3_Lb1ELb0EPjSB_N6thrust23THRUST_200600_302600_NS4plusIjEEEE10hipError_tPvRmT2_T3_mT4_P12ihipStream_tbEUlmE_jEESB_NS0_8identityIvEEEESG_SJ_SK_mSL_SN_bEUlT_E_NS1_11comp_targetILNS1_3genE2ELNS1_11target_archE906ELNS1_3gpuE6ELNS1_3repE0EEENS1_30default_config_static_selectorELNS0_4arch9wavefront6targetE1EEEvT1_
		.amdhsa_group_segment_fixed_size 0
		.amdhsa_private_segment_fixed_size 0
		.amdhsa_kernarg_size 56
		.amdhsa_user_sgpr_count 2
		.amdhsa_user_sgpr_dispatch_ptr 0
		.amdhsa_user_sgpr_queue_ptr 0
		.amdhsa_user_sgpr_kernarg_segment_ptr 1
		.amdhsa_user_sgpr_dispatch_id 0
		.amdhsa_user_sgpr_kernarg_preload_length 0
		.amdhsa_user_sgpr_kernarg_preload_offset 0
		.amdhsa_user_sgpr_private_segment_size 0
		.amdhsa_uses_dynamic_stack 0
		.amdhsa_enable_private_segment 0
		.amdhsa_system_sgpr_workgroup_id_x 1
		.amdhsa_system_sgpr_workgroup_id_y 0
		.amdhsa_system_sgpr_workgroup_id_z 0
		.amdhsa_system_sgpr_workgroup_info 0
		.amdhsa_system_vgpr_workitem_id 0
		.amdhsa_next_free_vgpr 1
		.amdhsa_next_free_sgpr 0
		.amdhsa_accum_offset 4
		.amdhsa_reserve_vcc 0
		.amdhsa_float_round_mode_32 0
		.amdhsa_float_round_mode_16_64 0
		.amdhsa_float_denorm_mode_32 3
		.amdhsa_float_denorm_mode_16_64 3
		.amdhsa_dx10_clamp 1
		.amdhsa_ieee_mode 1
		.amdhsa_fp16_overflow 0
		.amdhsa_tg_split 0
		.amdhsa_exception_fp_ieee_invalid_op 0
		.amdhsa_exception_fp_denorm_src 0
		.amdhsa_exception_fp_ieee_div_zero 0
		.amdhsa_exception_fp_ieee_overflow 0
		.amdhsa_exception_fp_ieee_underflow 0
		.amdhsa_exception_fp_ieee_inexact 0
		.amdhsa_exception_int_div_zero 0
	.end_amdhsa_kernel
	.section	.text._ZN7rocprim17ROCPRIM_400000_NS6detail17trampoline_kernelINS0_14default_configENS1_25transform_config_selectorIjLb0EEEZNS1_14transform_implILb0ES3_S5_NS0_18transform_iteratorINS0_17counting_iteratorImlEEZNS1_24adjacent_difference_implIS3_Lb1ELb0EPjSB_N6thrust23THRUST_200600_302600_NS4plusIjEEEE10hipError_tPvRmT2_T3_mT4_P12ihipStream_tbEUlmE_jEESB_NS0_8identityIvEEEESG_SJ_SK_mSL_SN_bEUlT_E_NS1_11comp_targetILNS1_3genE2ELNS1_11target_archE906ELNS1_3gpuE6ELNS1_3repE0EEENS1_30default_config_static_selectorELNS0_4arch9wavefront6targetE1EEEvT1_,"axG",@progbits,_ZN7rocprim17ROCPRIM_400000_NS6detail17trampoline_kernelINS0_14default_configENS1_25transform_config_selectorIjLb0EEEZNS1_14transform_implILb0ES3_S5_NS0_18transform_iteratorINS0_17counting_iteratorImlEEZNS1_24adjacent_difference_implIS3_Lb1ELb0EPjSB_N6thrust23THRUST_200600_302600_NS4plusIjEEEE10hipError_tPvRmT2_T3_mT4_P12ihipStream_tbEUlmE_jEESB_NS0_8identityIvEEEESG_SJ_SK_mSL_SN_bEUlT_E_NS1_11comp_targetILNS1_3genE2ELNS1_11target_archE906ELNS1_3gpuE6ELNS1_3repE0EEENS1_30default_config_static_selectorELNS0_4arch9wavefront6targetE1EEEvT1_,comdat
.Lfunc_end402:
	.size	_ZN7rocprim17ROCPRIM_400000_NS6detail17trampoline_kernelINS0_14default_configENS1_25transform_config_selectorIjLb0EEEZNS1_14transform_implILb0ES3_S5_NS0_18transform_iteratorINS0_17counting_iteratorImlEEZNS1_24adjacent_difference_implIS3_Lb1ELb0EPjSB_N6thrust23THRUST_200600_302600_NS4plusIjEEEE10hipError_tPvRmT2_T3_mT4_P12ihipStream_tbEUlmE_jEESB_NS0_8identityIvEEEESG_SJ_SK_mSL_SN_bEUlT_E_NS1_11comp_targetILNS1_3genE2ELNS1_11target_archE906ELNS1_3gpuE6ELNS1_3repE0EEENS1_30default_config_static_selectorELNS0_4arch9wavefront6targetE1EEEvT1_, .Lfunc_end402-_ZN7rocprim17ROCPRIM_400000_NS6detail17trampoline_kernelINS0_14default_configENS1_25transform_config_selectorIjLb0EEEZNS1_14transform_implILb0ES3_S5_NS0_18transform_iteratorINS0_17counting_iteratorImlEEZNS1_24adjacent_difference_implIS3_Lb1ELb0EPjSB_N6thrust23THRUST_200600_302600_NS4plusIjEEEE10hipError_tPvRmT2_T3_mT4_P12ihipStream_tbEUlmE_jEESB_NS0_8identityIvEEEESG_SJ_SK_mSL_SN_bEUlT_E_NS1_11comp_targetILNS1_3genE2ELNS1_11target_archE906ELNS1_3gpuE6ELNS1_3repE0EEENS1_30default_config_static_selectorELNS0_4arch9wavefront6targetE1EEEvT1_
                                        ; -- End function
	.section	.AMDGPU.csdata,"",@progbits
; Kernel info:
; codeLenInByte = 0
; NumSgprs: 6
; NumVgprs: 0
; NumAgprs: 0
; TotalNumVgprs: 0
; ScratchSize: 0
; MemoryBound: 0
; FloatMode: 240
; IeeeMode: 1
; LDSByteSize: 0 bytes/workgroup (compile time only)
; SGPRBlocks: 0
; VGPRBlocks: 0
; NumSGPRsForWavesPerEU: 6
; NumVGPRsForWavesPerEU: 1
; AccumOffset: 4
; Occupancy: 8
; WaveLimiterHint : 0
; COMPUTE_PGM_RSRC2:SCRATCH_EN: 0
; COMPUTE_PGM_RSRC2:USER_SGPR: 2
; COMPUTE_PGM_RSRC2:TRAP_HANDLER: 0
; COMPUTE_PGM_RSRC2:TGID_X_EN: 1
; COMPUTE_PGM_RSRC2:TGID_Y_EN: 0
; COMPUTE_PGM_RSRC2:TGID_Z_EN: 0
; COMPUTE_PGM_RSRC2:TIDIG_COMP_CNT: 0
; COMPUTE_PGM_RSRC3_GFX90A:ACCUM_OFFSET: 0
; COMPUTE_PGM_RSRC3_GFX90A:TG_SPLIT: 0
	.section	.text._ZN7rocprim17ROCPRIM_400000_NS6detail17trampoline_kernelINS0_14default_configENS1_25transform_config_selectorIjLb0EEEZNS1_14transform_implILb0ES3_S5_NS0_18transform_iteratorINS0_17counting_iteratorImlEEZNS1_24adjacent_difference_implIS3_Lb1ELb0EPjSB_N6thrust23THRUST_200600_302600_NS4plusIjEEEE10hipError_tPvRmT2_T3_mT4_P12ihipStream_tbEUlmE_jEESB_NS0_8identityIvEEEESG_SJ_SK_mSL_SN_bEUlT_E_NS1_11comp_targetILNS1_3genE10ELNS1_11target_archE1201ELNS1_3gpuE5ELNS1_3repE0EEENS1_30default_config_static_selectorELNS0_4arch9wavefront6targetE1EEEvT1_,"axG",@progbits,_ZN7rocprim17ROCPRIM_400000_NS6detail17trampoline_kernelINS0_14default_configENS1_25transform_config_selectorIjLb0EEEZNS1_14transform_implILb0ES3_S5_NS0_18transform_iteratorINS0_17counting_iteratorImlEEZNS1_24adjacent_difference_implIS3_Lb1ELb0EPjSB_N6thrust23THRUST_200600_302600_NS4plusIjEEEE10hipError_tPvRmT2_T3_mT4_P12ihipStream_tbEUlmE_jEESB_NS0_8identityIvEEEESG_SJ_SK_mSL_SN_bEUlT_E_NS1_11comp_targetILNS1_3genE10ELNS1_11target_archE1201ELNS1_3gpuE5ELNS1_3repE0EEENS1_30default_config_static_selectorELNS0_4arch9wavefront6targetE1EEEvT1_,comdat
	.protected	_ZN7rocprim17ROCPRIM_400000_NS6detail17trampoline_kernelINS0_14default_configENS1_25transform_config_selectorIjLb0EEEZNS1_14transform_implILb0ES3_S5_NS0_18transform_iteratorINS0_17counting_iteratorImlEEZNS1_24adjacent_difference_implIS3_Lb1ELb0EPjSB_N6thrust23THRUST_200600_302600_NS4plusIjEEEE10hipError_tPvRmT2_T3_mT4_P12ihipStream_tbEUlmE_jEESB_NS0_8identityIvEEEESG_SJ_SK_mSL_SN_bEUlT_E_NS1_11comp_targetILNS1_3genE10ELNS1_11target_archE1201ELNS1_3gpuE5ELNS1_3repE0EEENS1_30default_config_static_selectorELNS0_4arch9wavefront6targetE1EEEvT1_ ; -- Begin function _ZN7rocprim17ROCPRIM_400000_NS6detail17trampoline_kernelINS0_14default_configENS1_25transform_config_selectorIjLb0EEEZNS1_14transform_implILb0ES3_S5_NS0_18transform_iteratorINS0_17counting_iteratorImlEEZNS1_24adjacent_difference_implIS3_Lb1ELb0EPjSB_N6thrust23THRUST_200600_302600_NS4plusIjEEEE10hipError_tPvRmT2_T3_mT4_P12ihipStream_tbEUlmE_jEESB_NS0_8identityIvEEEESG_SJ_SK_mSL_SN_bEUlT_E_NS1_11comp_targetILNS1_3genE10ELNS1_11target_archE1201ELNS1_3gpuE5ELNS1_3repE0EEENS1_30default_config_static_selectorELNS0_4arch9wavefront6targetE1EEEvT1_
	.globl	_ZN7rocprim17ROCPRIM_400000_NS6detail17trampoline_kernelINS0_14default_configENS1_25transform_config_selectorIjLb0EEEZNS1_14transform_implILb0ES3_S5_NS0_18transform_iteratorINS0_17counting_iteratorImlEEZNS1_24adjacent_difference_implIS3_Lb1ELb0EPjSB_N6thrust23THRUST_200600_302600_NS4plusIjEEEE10hipError_tPvRmT2_T3_mT4_P12ihipStream_tbEUlmE_jEESB_NS0_8identityIvEEEESG_SJ_SK_mSL_SN_bEUlT_E_NS1_11comp_targetILNS1_3genE10ELNS1_11target_archE1201ELNS1_3gpuE5ELNS1_3repE0EEENS1_30default_config_static_selectorELNS0_4arch9wavefront6targetE1EEEvT1_
	.p2align	8
	.type	_ZN7rocprim17ROCPRIM_400000_NS6detail17trampoline_kernelINS0_14default_configENS1_25transform_config_selectorIjLb0EEEZNS1_14transform_implILb0ES3_S5_NS0_18transform_iteratorINS0_17counting_iteratorImlEEZNS1_24adjacent_difference_implIS3_Lb1ELb0EPjSB_N6thrust23THRUST_200600_302600_NS4plusIjEEEE10hipError_tPvRmT2_T3_mT4_P12ihipStream_tbEUlmE_jEESB_NS0_8identityIvEEEESG_SJ_SK_mSL_SN_bEUlT_E_NS1_11comp_targetILNS1_3genE10ELNS1_11target_archE1201ELNS1_3gpuE5ELNS1_3repE0EEENS1_30default_config_static_selectorELNS0_4arch9wavefront6targetE1EEEvT1_,@function
_ZN7rocprim17ROCPRIM_400000_NS6detail17trampoline_kernelINS0_14default_configENS1_25transform_config_selectorIjLb0EEEZNS1_14transform_implILb0ES3_S5_NS0_18transform_iteratorINS0_17counting_iteratorImlEEZNS1_24adjacent_difference_implIS3_Lb1ELb0EPjSB_N6thrust23THRUST_200600_302600_NS4plusIjEEEE10hipError_tPvRmT2_T3_mT4_P12ihipStream_tbEUlmE_jEESB_NS0_8identityIvEEEESG_SJ_SK_mSL_SN_bEUlT_E_NS1_11comp_targetILNS1_3genE10ELNS1_11target_archE1201ELNS1_3gpuE5ELNS1_3repE0EEENS1_30default_config_static_selectorELNS0_4arch9wavefront6targetE1EEEvT1_: ; @_ZN7rocprim17ROCPRIM_400000_NS6detail17trampoline_kernelINS0_14default_configENS1_25transform_config_selectorIjLb0EEEZNS1_14transform_implILb0ES3_S5_NS0_18transform_iteratorINS0_17counting_iteratorImlEEZNS1_24adjacent_difference_implIS3_Lb1ELb0EPjSB_N6thrust23THRUST_200600_302600_NS4plusIjEEEE10hipError_tPvRmT2_T3_mT4_P12ihipStream_tbEUlmE_jEESB_NS0_8identityIvEEEESG_SJ_SK_mSL_SN_bEUlT_E_NS1_11comp_targetILNS1_3genE10ELNS1_11target_archE1201ELNS1_3gpuE5ELNS1_3repE0EEENS1_30default_config_static_selectorELNS0_4arch9wavefront6targetE1EEEvT1_
; %bb.0:
	.section	.rodata,"a",@progbits
	.p2align	6, 0x0
	.amdhsa_kernel _ZN7rocprim17ROCPRIM_400000_NS6detail17trampoline_kernelINS0_14default_configENS1_25transform_config_selectorIjLb0EEEZNS1_14transform_implILb0ES3_S5_NS0_18transform_iteratorINS0_17counting_iteratorImlEEZNS1_24adjacent_difference_implIS3_Lb1ELb0EPjSB_N6thrust23THRUST_200600_302600_NS4plusIjEEEE10hipError_tPvRmT2_T3_mT4_P12ihipStream_tbEUlmE_jEESB_NS0_8identityIvEEEESG_SJ_SK_mSL_SN_bEUlT_E_NS1_11comp_targetILNS1_3genE10ELNS1_11target_archE1201ELNS1_3gpuE5ELNS1_3repE0EEENS1_30default_config_static_selectorELNS0_4arch9wavefront6targetE1EEEvT1_
		.amdhsa_group_segment_fixed_size 0
		.amdhsa_private_segment_fixed_size 0
		.amdhsa_kernarg_size 56
		.amdhsa_user_sgpr_count 2
		.amdhsa_user_sgpr_dispatch_ptr 0
		.amdhsa_user_sgpr_queue_ptr 0
		.amdhsa_user_sgpr_kernarg_segment_ptr 1
		.amdhsa_user_sgpr_dispatch_id 0
		.amdhsa_user_sgpr_kernarg_preload_length 0
		.amdhsa_user_sgpr_kernarg_preload_offset 0
		.amdhsa_user_sgpr_private_segment_size 0
		.amdhsa_uses_dynamic_stack 0
		.amdhsa_enable_private_segment 0
		.amdhsa_system_sgpr_workgroup_id_x 1
		.amdhsa_system_sgpr_workgroup_id_y 0
		.amdhsa_system_sgpr_workgroup_id_z 0
		.amdhsa_system_sgpr_workgroup_info 0
		.amdhsa_system_vgpr_workitem_id 0
		.amdhsa_next_free_vgpr 1
		.amdhsa_next_free_sgpr 0
		.amdhsa_accum_offset 4
		.amdhsa_reserve_vcc 0
		.amdhsa_float_round_mode_32 0
		.amdhsa_float_round_mode_16_64 0
		.amdhsa_float_denorm_mode_32 3
		.amdhsa_float_denorm_mode_16_64 3
		.amdhsa_dx10_clamp 1
		.amdhsa_ieee_mode 1
		.amdhsa_fp16_overflow 0
		.amdhsa_tg_split 0
		.amdhsa_exception_fp_ieee_invalid_op 0
		.amdhsa_exception_fp_denorm_src 0
		.amdhsa_exception_fp_ieee_div_zero 0
		.amdhsa_exception_fp_ieee_overflow 0
		.amdhsa_exception_fp_ieee_underflow 0
		.amdhsa_exception_fp_ieee_inexact 0
		.amdhsa_exception_int_div_zero 0
	.end_amdhsa_kernel
	.section	.text._ZN7rocprim17ROCPRIM_400000_NS6detail17trampoline_kernelINS0_14default_configENS1_25transform_config_selectorIjLb0EEEZNS1_14transform_implILb0ES3_S5_NS0_18transform_iteratorINS0_17counting_iteratorImlEEZNS1_24adjacent_difference_implIS3_Lb1ELb0EPjSB_N6thrust23THRUST_200600_302600_NS4plusIjEEEE10hipError_tPvRmT2_T3_mT4_P12ihipStream_tbEUlmE_jEESB_NS0_8identityIvEEEESG_SJ_SK_mSL_SN_bEUlT_E_NS1_11comp_targetILNS1_3genE10ELNS1_11target_archE1201ELNS1_3gpuE5ELNS1_3repE0EEENS1_30default_config_static_selectorELNS0_4arch9wavefront6targetE1EEEvT1_,"axG",@progbits,_ZN7rocprim17ROCPRIM_400000_NS6detail17trampoline_kernelINS0_14default_configENS1_25transform_config_selectorIjLb0EEEZNS1_14transform_implILb0ES3_S5_NS0_18transform_iteratorINS0_17counting_iteratorImlEEZNS1_24adjacent_difference_implIS3_Lb1ELb0EPjSB_N6thrust23THRUST_200600_302600_NS4plusIjEEEE10hipError_tPvRmT2_T3_mT4_P12ihipStream_tbEUlmE_jEESB_NS0_8identityIvEEEESG_SJ_SK_mSL_SN_bEUlT_E_NS1_11comp_targetILNS1_3genE10ELNS1_11target_archE1201ELNS1_3gpuE5ELNS1_3repE0EEENS1_30default_config_static_selectorELNS0_4arch9wavefront6targetE1EEEvT1_,comdat
.Lfunc_end403:
	.size	_ZN7rocprim17ROCPRIM_400000_NS6detail17trampoline_kernelINS0_14default_configENS1_25transform_config_selectorIjLb0EEEZNS1_14transform_implILb0ES3_S5_NS0_18transform_iteratorINS0_17counting_iteratorImlEEZNS1_24adjacent_difference_implIS3_Lb1ELb0EPjSB_N6thrust23THRUST_200600_302600_NS4plusIjEEEE10hipError_tPvRmT2_T3_mT4_P12ihipStream_tbEUlmE_jEESB_NS0_8identityIvEEEESG_SJ_SK_mSL_SN_bEUlT_E_NS1_11comp_targetILNS1_3genE10ELNS1_11target_archE1201ELNS1_3gpuE5ELNS1_3repE0EEENS1_30default_config_static_selectorELNS0_4arch9wavefront6targetE1EEEvT1_, .Lfunc_end403-_ZN7rocprim17ROCPRIM_400000_NS6detail17trampoline_kernelINS0_14default_configENS1_25transform_config_selectorIjLb0EEEZNS1_14transform_implILb0ES3_S5_NS0_18transform_iteratorINS0_17counting_iteratorImlEEZNS1_24adjacent_difference_implIS3_Lb1ELb0EPjSB_N6thrust23THRUST_200600_302600_NS4plusIjEEEE10hipError_tPvRmT2_T3_mT4_P12ihipStream_tbEUlmE_jEESB_NS0_8identityIvEEEESG_SJ_SK_mSL_SN_bEUlT_E_NS1_11comp_targetILNS1_3genE10ELNS1_11target_archE1201ELNS1_3gpuE5ELNS1_3repE0EEENS1_30default_config_static_selectorELNS0_4arch9wavefront6targetE1EEEvT1_
                                        ; -- End function
	.section	.AMDGPU.csdata,"",@progbits
; Kernel info:
; codeLenInByte = 0
; NumSgprs: 6
; NumVgprs: 0
; NumAgprs: 0
; TotalNumVgprs: 0
; ScratchSize: 0
; MemoryBound: 0
; FloatMode: 240
; IeeeMode: 1
; LDSByteSize: 0 bytes/workgroup (compile time only)
; SGPRBlocks: 0
; VGPRBlocks: 0
; NumSGPRsForWavesPerEU: 6
; NumVGPRsForWavesPerEU: 1
; AccumOffset: 4
; Occupancy: 8
; WaveLimiterHint : 0
; COMPUTE_PGM_RSRC2:SCRATCH_EN: 0
; COMPUTE_PGM_RSRC2:USER_SGPR: 2
; COMPUTE_PGM_RSRC2:TRAP_HANDLER: 0
; COMPUTE_PGM_RSRC2:TGID_X_EN: 1
; COMPUTE_PGM_RSRC2:TGID_Y_EN: 0
; COMPUTE_PGM_RSRC2:TGID_Z_EN: 0
; COMPUTE_PGM_RSRC2:TIDIG_COMP_CNT: 0
; COMPUTE_PGM_RSRC3_GFX90A:ACCUM_OFFSET: 0
; COMPUTE_PGM_RSRC3_GFX90A:TG_SPLIT: 0
	.section	.text._ZN7rocprim17ROCPRIM_400000_NS6detail17trampoline_kernelINS0_14default_configENS1_25transform_config_selectorIjLb0EEEZNS1_14transform_implILb0ES3_S5_NS0_18transform_iteratorINS0_17counting_iteratorImlEEZNS1_24adjacent_difference_implIS3_Lb1ELb0EPjSB_N6thrust23THRUST_200600_302600_NS4plusIjEEEE10hipError_tPvRmT2_T3_mT4_P12ihipStream_tbEUlmE_jEESB_NS0_8identityIvEEEESG_SJ_SK_mSL_SN_bEUlT_E_NS1_11comp_targetILNS1_3genE10ELNS1_11target_archE1200ELNS1_3gpuE4ELNS1_3repE0EEENS1_30default_config_static_selectorELNS0_4arch9wavefront6targetE1EEEvT1_,"axG",@progbits,_ZN7rocprim17ROCPRIM_400000_NS6detail17trampoline_kernelINS0_14default_configENS1_25transform_config_selectorIjLb0EEEZNS1_14transform_implILb0ES3_S5_NS0_18transform_iteratorINS0_17counting_iteratorImlEEZNS1_24adjacent_difference_implIS3_Lb1ELb0EPjSB_N6thrust23THRUST_200600_302600_NS4plusIjEEEE10hipError_tPvRmT2_T3_mT4_P12ihipStream_tbEUlmE_jEESB_NS0_8identityIvEEEESG_SJ_SK_mSL_SN_bEUlT_E_NS1_11comp_targetILNS1_3genE10ELNS1_11target_archE1200ELNS1_3gpuE4ELNS1_3repE0EEENS1_30default_config_static_selectorELNS0_4arch9wavefront6targetE1EEEvT1_,comdat
	.protected	_ZN7rocprim17ROCPRIM_400000_NS6detail17trampoline_kernelINS0_14default_configENS1_25transform_config_selectorIjLb0EEEZNS1_14transform_implILb0ES3_S5_NS0_18transform_iteratorINS0_17counting_iteratorImlEEZNS1_24adjacent_difference_implIS3_Lb1ELb0EPjSB_N6thrust23THRUST_200600_302600_NS4plusIjEEEE10hipError_tPvRmT2_T3_mT4_P12ihipStream_tbEUlmE_jEESB_NS0_8identityIvEEEESG_SJ_SK_mSL_SN_bEUlT_E_NS1_11comp_targetILNS1_3genE10ELNS1_11target_archE1200ELNS1_3gpuE4ELNS1_3repE0EEENS1_30default_config_static_selectorELNS0_4arch9wavefront6targetE1EEEvT1_ ; -- Begin function _ZN7rocprim17ROCPRIM_400000_NS6detail17trampoline_kernelINS0_14default_configENS1_25transform_config_selectorIjLb0EEEZNS1_14transform_implILb0ES3_S5_NS0_18transform_iteratorINS0_17counting_iteratorImlEEZNS1_24adjacent_difference_implIS3_Lb1ELb0EPjSB_N6thrust23THRUST_200600_302600_NS4plusIjEEEE10hipError_tPvRmT2_T3_mT4_P12ihipStream_tbEUlmE_jEESB_NS0_8identityIvEEEESG_SJ_SK_mSL_SN_bEUlT_E_NS1_11comp_targetILNS1_3genE10ELNS1_11target_archE1200ELNS1_3gpuE4ELNS1_3repE0EEENS1_30default_config_static_selectorELNS0_4arch9wavefront6targetE1EEEvT1_
	.globl	_ZN7rocprim17ROCPRIM_400000_NS6detail17trampoline_kernelINS0_14default_configENS1_25transform_config_selectorIjLb0EEEZNS1_14transform_implILb0ES3_S5_NS0_18transform_iteratorINS0_17counting_iteratorImlEEZNS1_24adjacent_difference_implIS3_Lb1ELb0EPjSB_N6thrust23THRUST_200600_302600_NS4plusIjEEEE10hipError_tPvRmT2_T3_mT4_P12ihipStream_tbEUlmE_jEESB_NS0_8identityIvEEEESG_SJ_SK_mSL_SN_bEUlT_E_NS1_11comp_targetILNS1_3genE10ELNS1_11target_archE1200ELNS1_3gpuE4ELNS1_3repE0EEENS1_30default_config_static_selectorELNS0_4arch9wavefront6targetE1EEEvT1_
	.p2align	8
	.type	_ZN7rocprim17ROCPRIM_400000_NS6detail17trampoline_kernelINS0_14default_configENS1_25transform_config_selectorIjLb0EEEZNS1_14transform_implILb0ES3_S5_NS0_18transform_iteratorINS0_17counting_iteratorImlEEZNS1_24adjacent_difference_implIS3_Lb1ELb0EPjSB_N6thrust23THRUST_200600_302600_NS4plusIjEEEE10hipError_tPvRmT2_T3_mT4_P12ihipStream_tbEUlmE_jEESB_NS0_8identityIvEEEESG_SJ_SK_mSL_SN_bEUlT_E_NS1_11comp_targetILNS1_3genE10ELNS1_11target_archE1200ELNS1_3gpuE4ELNS1_3repE0EEENS1_30default_config_static_selectorELNS0_4arch9wavefront6targetE1EEEvT1_,@function
_ZN7rocprim17ROCPRIM_400000_NS6detail17trampoline_kernelINS0_14default_configENS1_25transform_config_selectorIjLb0EEEZNS1_14transform_implILb0ES3_S5_NS0_18transform_iteratorINS0_17counting_iteratorImlEEZNS1_24adjacent_difference_implIS3_Lb1ELb0EPjSB_N6thrust23THRUST_200600_302600_NS4plusIjEEEE10hipError_tPvRmT2_T3_mT4_P12ihipStream_tbEUlmE_jEESB_NS0_8identityIvEEEESG_SJ_SK_mSL_SN_bEUlT_E_NS1_11comp_targetILNS1_3genE10ELNS1_11target_archE1200ELNS1_3gpuE4ELNS1_3repE0EEENS1_30default_config_static_selectorELNS0_4arch9wavefront6targetE1EEEvT1_: ; @_ZN7rocprim17ROCPRIM_400000_NS6detail17trampoline_kernelINS0_14default_configENS1_25transform_config_selectorIjLb0EEEZNS1_14transform_implILb0ES3_S5_NS0_18transform_iteratorINS0_17counting_iteratorImlEEZNS1_24adjacent_difference_implIS3_Lb1ELb0EPjSB_N6thrust23THRUST_200600_302600_NS4plusIjEEEE10hipError_tPvRmT2_T3_mT4_P12ihipStream_tbEUlmE_jEESB_NS0_8identityIvEEEESG_SJ_SK_mSL_SN_bEUlT_E_NS1_11comp_targetILNS1_3genE10ELNS1_11target_archE1200ELNS1_3gpuE4ELNS1_3repE0EEENS1_30default_config_static_selectorELNS0_4arch9wavefront6targetE1EEEvT1_
; %bb.0:
	.section	.rodata,"a",@progbits
	.p2align	6, 0x0
	.amdhsa_kernel _ZN7rocprim17ROCPRIM_400000_NS6detail17trampoline_kernelINS0_14default_configENS1_25transform_config_selectorIjLb0EEEZNS1_14transform_implILb0ES3_S5_NS0_18transform_iteratorINS0_17counting_iteratorImlEEZNS1_24adjacent_difference_implIS3_Lb1ELb0EPjSB_N6thrust23THRUST_200600_302600_NS4plusIjEEEE10hipError_tPvRmT2_T3_mT4_P12ihipStream_tbEUlmE_jEESB_NS0_8identityIvEEEESG_SJ_SK_mSL_SN_bEUlT_E_NS1_11comp_targetILNS1_3genE10ELNS1_11target_archE1200ELNS1_3gpuE4ELNS1_3repE0EEENS1_30default_config_static_selectorELNS0_4arch9wavefront6targetE1EEEvT1_
		.amdhsa_group_segment_fixed_size 0
		.amdhsa_private_segment_fixed_size 0
		.amdhsa_kernarg_size 56
		.amdhsa_user_sgpr_count 2
		.amdhsa_user_sgpr_dispatch_ptr 0
		.amdhsa_user_sgpr_queue_ptr 0
		.amdhsa_user_sgpr_kernarg_segment_ptr 1
		.amdhsa_user_sgpr_dispatch_id 0
		.amdhsa_user_sgpr_kernarg_preload_length 0
		.amdhsa_user_sgpr_kernarg_preload_offset 0
		.amdhsa_user_sgpr_private_segment_size 0
		.amdhsa_uses_dynamic_stack 0
		.amdhsa_enable_private_segment 0
		.amdhsa_system_sgpr_workgroup_id_x 1
		.amdhsa_system_sgpr_workgroup_id_y 0
		.amdhsa_system_sgpr_workgroup_id_z 0
		.amdhsa_system_sgpr_workgroup_info 0
		.amdhsa_system_vgpr_workitem_id 0
		.amdhsa_next_free_vgpr 1
		.amdhsa_next_free_sgpr 0
		.amdhsa_accum_offset 4
		.amdhsa_reserve_vcc 0
		.amdhsa_float_round_mode_32 0
		.amdhsa_float_round_mode_16_64 0
		.amdhsa_float_denorm_mode_32 3
		.amdhsa_float_denorm_mode_16_64 3
		.amdhsa_dx10_clamp 1
		.amdhsa_ieee_mode 1
		.amdhsa_fp16_overflow 0
		.amdhsa_tg_split 0
		.amdhsa_exception_fp_ieee_invalid_op 0
		.amdhsa_exception_fp_denorm_src 0
		.amdhsa_exception_fp_ieee_div_zero 0
		.amdhsa_exception_fp_ieee_overflow 0
		.amdhsa_exception_fp_ieee_underflow 0
		.amdhsa_exception_fp_ieee_inexact 0
		.amdhsa_exception_int_div_zero 0
	.end_amdhsa_kernel
	.section	.text._ZN7rocprim17ROCPRIM_400000_NS6detail17trampoline_kernelINS0_14default_configENS1_25transform_config_selectorIjLb0EEEZNS1_14transform_implILb0ES3_S5_NS0_18transform_iteratorINS0_17counting_iteratorImlEEZNS1_24adjacent_difference_implIS3_Lb1ELb0EPjSB_N6thrust23THRUST_200600_302600_NS4plusIjEEEE10hipError_tPvRmT2_T3_mT4_P12ihipStream_tbEUlmE_jEESB_NS0_8identityIvEEEESG_SJ_SK_mSL_SN_bEUlT_E_NS1_11comp_targetILNS1_3genE10ELNS1_11target_archE1200ELNS1_3gpuE4ELNS1_3repE0EEENS1_30default_config_static_selectorELNS0_4arch9wavefront6targetE1EEEvT1_,"axG",@progbits,_ZN7rocprim17ROCPRIM_400000_NS6detail17trampoline_kernelINS0_14default_configENS1_25transform_config_selectorIjLb0EEEZNS1_14transform_implILb0ES3_S5_NS0_18transform_iteratorINS0_17counting_iteratorImlEEZNS1_24adjacent_difference_implIS3_Lb1ELb0EPjSB_N6thrust23THRUST_200600_302600_NS4plusIjEEEE10hipError_tPvRmT2_T3_mT4_P12ihipStream_tbEUlmE_jEESB_NS0_8identityIvEEEESG_SJ_SK_mSL_SN_bEUlT_E_NS1_11comp_targetILNS1_3genE10ELNS1_11target_archE1200ELNS1_3gpuE4ELNS1_3repE0EEENS1_30default_config_static_selectorELNS0_4arch9wavefront6targetE1EEEvT1_,comdat
.Lfunc_end404:
	.size	_ZN7rocprim17ROCPRIM_400000_NS6detail17trampoline_kernelINS0_14default_configENS1_25transform_config_selectorIjLb0EEEZNS1_14transform_implILb0ES3_S5_NS0_18transform_iteratorINS0_17counting_iteratorImlEEZNS1_24adjacent_difference_implIS3_Lb1ELb0EPjSB_N6thrust23THRUST_200600_302600_NS4plusIjEEEE10hipError_tPvRmT2_T3_mT4_P12ihipStream_tbEUlmE_jEESB_NS0_8identityIvEEEESG_SJ_SK_mSL_SN_bEUlT_E_NS1_11comp_targetILNS1_3genE10ELNS1_11target_archE1200ELNS1_3gpuE4ELNS1_3repE0EEENS1_30default_config_static_selectorELNS0_4arch9wavefront6targetE1EEEvT1_, .Lfunc_end404-_ZN7rocprim17ROCPRIM_400000_NS6detail17trampoline_kernelINS0_14default_configENS1_25transform_config_selectorIjLb0EEEZNS1_14transform_implILb0ES3_S5_NS0_18transform_iteratorINS0_17counting_iteratorImlEEZNS1_24adjacent_difference_implIS3_Lb1ELb0EPjSB_N6thrust23THRUST_200600_302600_NS4plusIjEEEE10hipError_tPvRmT2_T3_mT4_P12ihipStream_tbEUlmE_jEESB_NS0_8identityIvEEEESG_SJ_SK_mSL_SN_bEUlT_E_NS1_11comp_targetILNS1_3genE10ELNS1_11target_archE1200ELNS1_3gpuE4ELNS1_3repE0EEENS1_30default_config_static_selectorELNS0_4arch9wavefront6targetE1EEEvT1_
                                        ; -- End function
	.section	.AMDGPU.csdata,"",@progbits
; Kernel info:
; codeLenInByte = 0
; NumSgprs: 6
; NumVgprs: 0
; NumAgprs: 0
; TotalNumVgprs: 0
; ScratchSize: 0
; MemoryBound: 0
; FloatMode: 240
; IeeeMode: 1
; LDSByteSize: 0 bytes/workgroup (compile time only)
; SGPRBlocks: 0
; VGPRBlocks: 0
; NumSGPRsForWavesPerEU: 6
; NumVGPRsForWavesPerEU: 1
; AccumOffset: 4
; Occupancy: 8
; WaveLimiterHint : 0
; COMPUTE_PGM_RSRC2:SCRATCH_EN: 0
; COMPUTE_PGM_RSRC2:USER_SGPR: 2
; COMPUTE_PGM_RSRC2:TRAP_HANDLER: 0
; COMPUTE_PGM_RSRC2:TGID_X_EN: 1
; COMPUTE_PGM_RSRC2:TGID_Y_EN: 0
; COMPUTE_PGM_RSRC2:TGID_Z_EN: 0
; COMPUTE_PGM_RSRC2:TIDIG_COMP_CNT: 0
; COMPUTE_PGM_RSRC3_GFX90A:ACCUM_OFFSET: 0
; COMPUTE_PGM_RSRC3_GFX90A:TG_SPLIT: 0
	.section	.text._ZN7rocprim17ROCPRIM_400000_NS6detail17trampoline_kernelINS0_14default_configENS1_25transform_config_selectorIjLb0EEEZNS1_14transform_implILb0ES3_S5_NS0_18transform_iteratorINS0_17counting_iteratorImlEEZNS1_24adjacent_difference_implIS3_Lb1ELb0EPjSB_N6thrust23THRUST_200600_302600_NS4plusIjEEEE10hipError_tPvRmT2_T3_mT4_P12ihipStream_tbEUlmE_jEESB_NS0_8identityIvEEEESG_SJ_SK_mSL_SN_bEUlT_E_NS1_11comp_targetILNS1_3genE9ELNS1_11target_archE1100ELNS1_3gpuE3ELNS1_3repE0EEENS1_30default_config_static_selectorELNS0_4arch9wavefront6targetE1EEEvT1_,"axG",@progbits,_ZN7rocprim17ROCPRIM_400000_NS6detail17trampoline_kernelINS0_14default_configENS1_25transform_config_selectorIjLb0EEEZNS1_14transform_implILb0ES3_S5_NS0_18transform_iteratorINS0_17counting_iteratorImlEEZNS1_24adjacent_difference_implIS3_Lb1ELb0EPjSB_N6thrust23THRUST_200600_302600_NS4plusIjEEEE10hipError_tPvRmT2_T3_mT4_P12ihipStream_tbEUlmE_jEESB_NS0_8identityIvEEEESG_SJ_SK_mSL_SN_bEUlT_E_NS1_11comp_targetILNS1_3genE9ELNS1_11target_archE1100ELNS1_3gpuE3ELNS1_3repE0EEENS1_30default_config_static_selectorELNS0_4arch9wavefront6targetE1EEEvT1_,comdat
	.protected	_ZN7rocprim17ROCPRIM_400000_NS6detail17trampoline_kernelINS0_14default_configENS1_25transform_config_selectorIjLb0EEEZNS1_14transform_implILb0ES3_S5_NS0_18transform_iteratorINS0_17counting_iteratorImlEEZNS1_24adjacent_difference_implIS3_Lb1ELb0EPjSB_N6thrust23THRUST_200600_302600_NS4plusIjEEEE10hipError_tPvRmT2_T3_mT4_P12ihipStream_tbEUlmE_jEESB_NS0_8identityIvEEEESG_SJ_SK_mSL_SN_bEUlT_E_NS1_11comp_targetILNS1_3genE9ELNS1_11target_archE1100ELNS1_3gpuE3ELNS1_3repE0EEENS1_30default_config_static_selectorELNS0_4arch9wavefront6targetE1EEEvT1_ ; -- Begin function _ZN7rocprim17ROCPRIM_400000_NS6detail17trampoline_kernelINS0_14default_configENS1_25transform_config_selectorIjLb0EEEZNS1_14transform_implILb0ES3_S5_NS0_18transform_iteratorINS0_17counting_iteratorImlEEZNS1_24adjacent_difference_implIS3_Lb1ELb0EPjSB_N6thrust23THRUST_200600_302600_NS4plusIjEEEE10hipError_tPvRmT2_T3_mT4_P12ihipStream_tbEUlmE_jEESB_NS0_8identityIvEEEESG_SJ_SK_mSL_SN_bEUlT_E_NS1_11comp_targetILNS1_3genE9ELNS1_11target_archE1100ELNS1_3gpuE3ELNS1_3repE0EEENS1_30default_config_static_selectorELNS0_4arch9wavefront6targetE1EEEvT1_
	.globl	_ZN7rocprim17ROCPRIM_400000_NS6detail17trampoline_kernelINS0_14default_configENS1_25transform_config_selectorIjLb0EEEZNS1_14transform_implILb0ES3_S5_NS0_18transform_iteratorINS0_17counting_iteratorImlEEZNS1_24adjacent_difference_implIS3_Lb1ELb0EPjSB_N6thrust23THRUST_200600_302600_NS4plusIjEEEE10hipError_tPvRmT2_T3_mT4_P12ihipStream_tbEUlmE_jEESB_NS0_8identityIvEEEESG_SJ_SK_mSL_SN_bEUlT_E_NS1_11comp_targetILNS1_3genE9ELNS1_11target_archE1100ELNS1_3gpuE3ELNS1_3repE0EEENS1_30default_config_static_selectorELNS0_4arch9wavefront6targetE1EEEvT1_
	.p2align	8
	.type	_ZN7rocprim17ROCPRIM_400000_NS6detail17trampoline_kernelINS0_14default_configENS1_25transform_config_selectorIjLb0EEEZNS1_14transform_implILb0ES3_S5_NS0_18transform_iteratorINS0_17counting_iteratorImlEEZNS1_24adjacent_difference_implIS3_Lb1ELb0EPjSB_N6thrust23THRUST_200600_302600_NS4plusIjEEEE10hipError_tPvRmT2_T3_mT4_P12ihipStream_tbEUlmE_jEESB_NS0_8identityIvEEEESG_SJ_SK_mSL_SN_bEUlT_E_NS1_11comp_targetILNS1_3genE9ELNS1_11target_archE1100ELNS1_3gpuE3ELNS1_3repE0EEENS1_30default_config_static_selectorELNS0_4arch9wavefront6targetE1EEEvT1_,@function
_ZN7rocprim17ROCPRIM_400000_NS6detail17trampoline_kernelINS0_14default_configENS1_25transform_config_selectorIjLb0EEEZNS1_14transform_implILb0ES3_S5_NS0_18transform_iteratorINS0_17counting_iteratorImlEEZNS1_24adjacent_difference_implIS3_Lb1ELb0EPjSB_N6thrust23THRUST_200600_302600_NS4plusIjEEEE10hipError_tPvRmT2_T3_mT4_P12ihipStream_tbEUlmE_jEESB_NS0_8identityIvEEEESG_SJ_SK_mSL_SN_bEUlT_E_NS1_11comp_targetILNS1_3genE9ELNS1_11target_archE1100ELNS1_3gpuE3ELNS1_3repE0EEENS1_30default_config_static_selectorELNS0_4arch9wavefront6targetE1EEEvT1_: ; @_ZN7rocprim17ROCPRIM_400000_NS6detail17trampoline_kernelINS0_14default_configENS1_25transform_config_selectorIjLb0EEEZNS1_14transform_implILb0ES3_S5_NS0_18transform_iteratorINS0_17counting_iteratorImlEEZNS1_24adjacent_difference_implIS3_Lb1ELb0EPjSB_N6thrust23THRUST_200600_302600_NS4plusIjEEEE10hipError_tPvRmT2_T3_mT4_P12ihipStream_tbEUlmE_jEESB_NS0_8identityIvEEEESG_SJ_SK_mSL_SN_bEUlT_E_NS1_11comp_targetILNS1_3genE9ELNS1_11target_archE1100ELNS1_3gpuE3ELNS1_3repE0EEENS1_30default_config_static_selectorELNS0_4arch9wavefront6targetE1EEEvT1_
; %bb.0:
	.section	.rodata,"a",@progbits
	.p2align	6, 0x0
	.amdhsa_kernel _ZN7rocprim17ROCPRIM_400000_NS6detail17trampoline_kernelINS0_14default_configENS1_25transform_config_selectorIjLb0EEEZNS1_14transform_implILb0ES3_S5_NS0_18transform_iteratorINS0_17counting_iteratorImlEEZNS1_24adjacent_difference_implIS3_Lb1ELb0EPjSB_N6thrust23THRUST_200600_302600_NS4plusIjEEEE10hipError_tPvRmT2_T3_mT4_P12ihipStream_tbEUlmE_jEESB_NS0_8identityIvEEEESG_SJ_SK_mSL_SN_bEUlT_E_NS1_11comp_targetILNS1_3genE9ELNS1_11target_archE1100ELNS1_3gpuE3ELNS1_3repE0EEENS1_30default_config_static_selectorELNS0_4arch9wavefront6targetE1EEEvT1_
		.amdhsa_group_segment_fixed_size 0
		.amdhsa_private_segment_fixed_size 0
		.amdhsa_kernarg_size 56
		.amdhsa_user_sgpr_count 2
		.amdhsa_user_sgpr_dispatch_ptr 0
		.amdhsa_user_sgpr_queue_ptr 0
		.amdhsa_user_sgpr_kernarg_segment_ptr 1
		.amdhsa_user_sgpr_dispatch_id 0
		.amdhsa_user_sgpr_kernarg_preload_length 0
		.amdhsa_user_sgpr_kernarg_preload_offset 0
		.amdhsa_user_sgpr_private_segment_size 0
		.amdhsa_uses_dynamic_stack 0
		.amdhsa_enable_private_segment 0
		.amdhsa_system_sgpr_workgroup_id_x 1
		.amdhsa_system_sgpr_workgroup_id_y 0
		.amdhsa_system_sgpr_workgroup_id_z 0
		.amdhsa_system_sgpr_workgroup_info 0
		.amdhsa_system_vgpr_workitem_id 0
		.amdhsa_next_free_vgpr 1
		.amdhsa_next_free_sgpr 0
		.amdhsa_accum_offset 4
		.amdhsa_reserve_vcc 0
		.amdhsa_float_round_mode_32 0
		.amdhsa_float_round_mode_16_64 0
		.amdhsa_float_denorm_mode_32 3
		.amdhsa_float_denorm_mode_16_64 3
		.amdhsa_dx10_clamp 1
		.amdhsa_ieee_mode 1
		.amdhsa_fp16_overflow 0
		.amdhsa_tg_split 0
		.amdhsa_exception_fp_ieee_invalid_op 0
		.amdhsa_exception_fp_denorm_src 0
		.amdhsa_exception_fp_ieee_div_zero 0
		.amdhsa_exception_fp_ieee_overflow 0
		.amdhsa_exception_fp_ieee_underflow 0
		.amdhsa_exception_fp_ieee_inexact 0
		.amdhsa_exception_int_div_zero 0
	.end_amdhsa_kernel
	.section	.text._ZN7rocprim17ROCPRIM_400000_NS6detail17trampoline_kernelINS0_14default_configENS1_25transform_config_selectorIjLb0EEEZNS1_14transform_implILb0ES3_S5_NS0_18transform_iteratorINS0_17counting_iteratorImlEEZNS1_24adjacent_difference_implIS3_Lb1ELb0EPjSB_N6thrust23THRUST_200600_302600_NS4plusIjEEEE10hipError_tPvRmT2_T3_mT4_P12ihipStream_tbEUlmE_jEESB_NS0_8identityIvEEEESG_SJ_SK_mSL_SN_bEUlT_E_NS1_11comp_targetILNS1_3genE9ELNS1_11target_archE1100ELNS1_3gpuE3ELNS1_3repE0EEENS1_30default_config_static_selectorELNS0_4arch9wavefront6targetE1EEEvT1_,"axG",@progbits,_ZN7rocprim17ROCPRIM_400000_NS6detail17trampoline_kernelINS0_14default_configENS1_25transform_config_selectorIjLb0EEEZNS1_14transform_implILb0ES3_S5_NS0_18transform_iteratorINS0_17counting_iteratorImlEEZNS1_24adjacent_difference_implIS3_Lb1ELb0EPjSB_N6thrust23THRUST_200600_302600_NS4plusIjEEEE10hipError_tPvRmT2_T3_mT4_P12ihipStream_tbEUlmE_jEESB_NS0_8identityIvEEEESG_SJ_SK_mSL_SN_bEUlT_E_NS1_11comp_targetILNS1_3genE9ELNS1_11target_archE1100ELNS1_3gpuE3ELNS1_3repE0EEENS1_30default_config_static_selectorELNS0_4arch9wavefront6targetE1EEEvT1_,comdat
.Lfunc_end405:
	.size	_ZN7rocprim17ROCPRIM_400000_NS6detail17trampoline_kernelINS0_14default_configENS1_25transform_config_selectorIjLb0EEEZNS1_14transform_implILb0ES3_S5_NS0_18transform_iteratorINS0_17counting_iteratorImlEEZNS1_24adjacent_difference_implIS3_Lb1ELb0EPjSB_N6thrust23THRUST_200600_302600_NS4plusIjEEEE10hipError_tPvRmT2_T3_mT4_P12ihipStream_tbEUlmE_jEESB_NS0_8identityIvEEEESG_SJ_SK_mSL_SN_bEUlT_E_NS1_11comp_targetILNS1_3genE9ELNS1_11target_archE1100ELNS1_3gpuE3ELNS1_3repE0EEENS1_30default_config_static_selectorELNS0_4arch9wavefront6targetE1EEEvT1_, .Lfunc_end405-_ZN7rocprim17ROCPRIM_400000_NS6detail17trampoline_kernelINS0_14default_configENS1_25transform_config_selectorIjLb0EEEZNS1_14transform_implILb0ES3_S5_NS0_18transform_iteratorINS0_17counting_iteratorImlEEZNS1_24adjacent_difference_implIS3_Lb1ELb0EPjSB_N6thrust23THRUST_200600_302600_NS4plusIjEEEE10hipError_tPvRmT2_T3_mT4_P12ihipStream_tbEUlmE_jEESB_NS0_8identityIvEEEESG_SJ_SK_mSL_SN_bEUlT_E_NS1_11comp_targetILNS1_3genE9ELNS1_11target_archE1100ELNS1_3gpuE3ELNS1_3repE0EEENS1_30default_config_static_selectorELNS0_4arch9wavefront6targetE1EEEvT1_
                                        ; -- End function
	.section	.AMDGPU.csdata,"",@progbits
; Kernel info:
; codeLenInByte = 0
; NumSgprs: 6
; NumVgprs: 0
; NumAgprs: 0
; TotalNumVgprs: 0
; ScratchSize: 0
; MemoryBound: 0
; FloatMode: 240
; IeeeMode: 1
; LDSByteSize: 0 bytes/workgroup (compile time only)
; SGPRBlocks: 0
; VGPRBlocks: 0
; NumSGPRsForWavesPerEU: 6
; NumVGPRsForWavesPerEU: 1
; AccumOffset: 4
; Occupancy: 8
; WaveLimiterHint : 0
; COMPUTE_PGM_RSRC2:SCRATCH_EN: 0
; COMPUTE_PGM_RSRC2:USER_SGPR: 2
; COMPUTE_PGM_RSRC2:TRAP_HANDLER: 0
; COMPUTE_PGM_RSRC2:TGID_X_EN: 1
; COMPUTE_PGM_RSRC2:TGID_Y_EN: 0
; COMPUTE_PGM_RSRC2:TGID_Z_EN: 0
; COMPUTE_PGM_RSRC2:TIDIG_COMP_CNT: 0
; COMPUTE_PGM_RSRC3_GFX90A:ACCUM_OFFSET: 0
; COMPUTE_PGM_RSRC3_GFX90A:TG_SPLIT: 0
	.section	.text._ZN7rocprim17ROCPRIM_400000_NS6detail17trampoline_kernelINS0_14default_configENS1_25transform_config_selectorIjLb0EEEZNS1_14transform_implILb0ES3_S5_NS0_18transform_iteratorINS0_17counting_iteratorImlEEZNS1_24adjacent_difference_implIS3_Lb1ELb0EPjSB_N6thrust23THRUST_200600_302600_NS4plusIjEEEE10hipError_tPvRmT2_T3_mT4_P12ihipStream_tbEUlmE_jEESB_NS0_8identityIvEEEESG_SJ_SK_mSL_SN_bEUlT_E_NS1_11comp_targetILNS1_3genE8ELNS1_11target_archE1030ELNS1_3gpuE2ELNS1_3repE0EEENS1_30default_config_static_selectorELNS0_4arch9wavefront6targetE1EEEvT1_,"axG",@progbits,_ZN7rocprim17ROCPRIM_400000_NS6detail17trampoline_kernelINS0_14default_configENS1_25transform_config_selectorIjLb0EEEZNS1_14transform_implILb0ES3_S5_NS0_18transform_iteratorINS0_17counting_iteratorImlEEZNS1_24adjacent_difference_implIS3_Lb1ELb0EPjSB_N6thrust23THRUST_200600_302600_NS4plusIjEEEE10hipError_tPvRmT2_T3_mT4_P12ihipStream_tbEUlmE_jEESB_NS0_8identityIvEEEESG_SJ_SK_mSL_SN_bEUlT_E_NS1_11comp_targetILNS1_3genE8ELNS1_11target_archE1030ELNS1_3gpuE2ELNS1_3repE0EEENS1_30default_config_static_selectorELNS0_4arch9wavefront6targetE1EEEvT1_,comdat
	.protected	_ZN7rocprim17ROCPRIM_400000_NS6detail17trampoline_kernelINS0_14default_configENS1_25transform_config_selectorIjLb0EEEZNS1_14transform_implILb0ES3_S5_NS0_18transform_iteratorINS0_17counting_iteratorImlEEZNS1_24adjacent_difference_implIS3_Lb1ELb0EPjSB_N6thrust23THRUST_200600_302600_NS4plusIjEEEE10hipError_tPvRmT2_T3_mT4_P12ihipStream_tbEUlmE_jEESB_NS0_8identityIvEEEESG_SJ_SK_mSL_SN_bEUlT_E_NS1_11comp_targetILNS1_3genE8ELNS1_11target_archE1030ELNS1_3gpuE2ELNS1_3repE0EEENS1_30default_config_static_selectorELNS0_4arch9wavefront6targetE1EEEvT1_ ; -- Begin function _ZN7rocprim17ROCPRIM_400000_NS6detail17trampoline_kernelINS0_14default_configENS1_25transform_config_selectorIjLb0EEEZNS1_14transform_implILb0ES3_S5_NS0_18transform_iteratorINS0_17counting_iteratorImlEEZNS1_24adjacent_difference_implIS3_Lb1ELb0EPjSB_N6thrust23THRUST_200600_302600_NS4plusIjEEEE10hipError_tPvRmT2_T3_mT4_P12ihipStream_tbEUlmE_jEESB_NS0_8identityIvEEEESG_SJ_SK_mSL_SN_bEUlT_E_NS1_11comp_targetILNS1_3genE8ELNS1_11target_archE1030ELNS1_3gpuE2ELNS1_3repE0EEENS1_30default_config_static_selectorELNS0_4arch9wavefront6targetE1EEEvT1_
	.globl	_ZN7rocprim17ROCPRIM_400000_NS6detail17trampoline_kernelINS0_14default_configENS1_25transform_config_selectorIjLb0EEEZNS1_14transform_implILb0ES3_S5_NS0_18transform_iteratorINS0_17counting_iteratorImlEEZNS1_24adjacent_difference_implIS3_Lb1ELb0EPjSB_N6thrust23THRUST_200600_302600_NS4plusIjEEEE10hipError_tPvRmT2_T3_mT4_P12ihipStream_tbEUlmE_jEESB_NS0_8identityIvEEEESG_SJ_SK_mSL_SN_bEUlT_E_NS1_11comp_targetILNS1_3genE8ELNS1_11target_archE1030ELNS1_3gpuE2ELNS1_3repE0EEENS1_30default_config_static_selectorELNS0_4arch9wavefront6targetE1EEEvT1_
	.p2align	8
	.type	_ZN7rocprim17ROCPRIM_400000_NS6detail17trampoline_kernelINS0_14default_configENS1_25transform_config_selectorIjLb0EEEZNS1_14transform_implILb0ES3_S5_NS0_18transform_iteratorINS0_17counting_iteratorImlEEZNS1_24adjacent_difference_implIS3_Lb1ELb0EPjSB_N6thrust23THRUST_200600_302600_NS4plusIjEEEE10hipError_tPvRmT2_T3_mT4_P12ihipStream_tbEUlmE_jEESB_NS0_8identityIvEEEESG_SJ_SK_mSL_SN_bEUlT_E_NS1_11comp_targetILNS1_3genE8ELNS1_11target_archE1030ELNS1_3gpuE2ELNS1_3repE0EEENS1_30default_config_static_selectorELNS0_4arch9wavefront6targetE1EEEvT1_,@function
_ZN7rocprim17ROCPRIM_400000_NS6detail17trampoline_kernelINS0_14default_configENS1_25transform_config_selectorIjLb0EEEZNS1_14transform_implILb0ES3_S5_NS0_18transform_iteratorINS0_17counting_iteratorImlEEZNS1_24adjacent_difference_implIS3_Lb1ELb0EPjSB_N6thrust23THRUST_200600_302600_NS4plusIjEEEE10hipError_tPvRmT2_T3_mT4_P12ihipStream_tbEUlmE_jEESB_NS0_8identityIvEEEESG_SJ_SK_mSL_SN_bEUlT_E_NS1_11comp_targetILNS1_3genE8ELNS1_11target_archE1030ELNS1_3gpuE2ELNS1_3repE0EEENS1_30default_config_static_selectorELNS0_4arch9wavefront6targetE1EEEvT1_: ; @_ZN7rocprim17ROCPRIM_400000_NS6detail17trampoline_kernelINS0_14default_configENS1_25transform_config_selectorIjLb0EEEZNS1_14transform_implILb0ES3_S5_NS0_18transform_iteratorINS0_17counting_iteratorImlEEZNS1_24adjacent_difference_implIS3_Lb1ELb0EPjSB_N6thrust23THRUST_200600_302600_NS4plusIjEEEE10hipError_tPvRmT2_T3_mT4_P12ihipStream_tbEUlmE_jEESB_NS0_8identityIvEEEESG_SJ_SK_mSL_SN_bEUlT_E_NS1_11comp_targetILNS1_3genE8ELNS1_11target_archE1030ELNS1_3gpuE2ELNS1_3repE0EEENS1_30default_config_static_selectorELNS0_4arch9wavefront6targetE1EEEvT1_
; %bb.0:
	.section	.rodata,"a",@progbits
	.p2align	6, 0x0
	.amdhsa_kernel _ZN7rocprim17ROCPRIM_400000_NS6detail17trampoline_kernelINS0_14default_configENS1_25transform_config_selectorIjLb0EEEZNS1_14transform_implILb0ES3_S5_NS0_18transform_iteratorINS0_17counting_iteratorImlEEZNS1_24adjacent_difference_implIS3_Lb1ELb0EPjSB_N6thrust23THRUST_200600_302600_NS4plusIjEEEE10hipError_tPvRmT2_T3_mT4_P12ihipStream_tbEUlmE_jEESB_NS0_8identityIvEEEESG_SJ_SK_mSL_SN_bEUlT_E_NS1_11comp_targetILNS1_3genE8ELNS1_11target_archE1030ELNS1_3gpuE2ELNS1_3repE0EEENS1_30default_config_static_selectorELNS0_4arch9wavefront6targetE1EEEvT1_
		.amdhsa_group_segment_fixed_size 0
		.amdhsa_private_segment_fixed_size 0
		.amdhsa_kernarg_size 56
		.amdhsa_user_sgpr_count 2
		.amdhsa_user_sgpr_dispatch_ptr 0
		.amdhsa_user_sgpr_queue_ptr 0
		.amdhsa_user_sgpr_kernarg_segment_ptr 1
		.amdhsa_user_sgpr_dispatch_id 0
		.amdhsa_user_sgpr_kernarg_preload_length 0
		.amdhsa_user_sgpr_kernarg_preload_offset 0
		.amdhsa_user_sgpr_private_segment_size 0
		.amdhsa_uses_dynamic_stack 0
		.amdhsa_enable_private_segment 0
		.amdhsa_system_sgpr_workgroup_id_x 1
		.amdhsa_system_sgpr_workgroup_id_y 0
		.amdhsa_system_sgpr_workgroup_id_z 0
		.amdhsa_system_sgpr_workgroup_info 0
		.amdhsa_system_vgpr_workitem_id 0
		.amdhsa_next_free_vgpr 1
		.amdhsa_next_free_sgpr 0
		.amdhsa_accum_offset 4
		.amdhsa_reserve_vcc 0
		.amdhsa_float_round_mode_32 0
		.amdhsa_float_round_mode_16_64 0
		.amdhsa_float_denorm_mode_32 3
		.amdhsa_float_denorm_mode_16_64 3
		.amdhsa_dx10_clamp 1
		.amdhsa_ieee_mode 1
		.amdhsa_fp16_overflow 0
		.amdhsa_tg_split 0
		.amdhsa_exception_fp_ieee_invalid_op 0
		.amdhsa_exception_fp_denorm_src 0
		.amdhsa_exception_fp_ieee_div_zero 0
		.amdhsa_exception_fp_ieee_overflow 0
		.amdhsa_exception_fp_ieee_underflow 0
		.amdhsa_exception_fp_ieee_inexact 0
		.amdhsa_exception_int_div_zero 0
	.end_amdhsa_kernel
	.section	.text._ZN7rocprim17ROCPRIM_400000_NS6detail17trampoline_kernelINS0_14default_configENS1_25transform_config_selectorIjLb0EEEZNS1_14transform_implILb0ES3_S5_NS0_18transform_iteratorINS0_17counting_iteratorImlEEZNS1_24adjacent_difference_implIS3_Lb1ELb0EPjSB_N6thrust23THRUST_200600_302600_NS4plusIjEEEE10hipError_tPvRmT2_T3_mT4_P12ihipStream_tbEUlmE_jEESB_NS0_8identityIvEEEESG_SJ_SK_mSL_SN_bEUlT_E_NS1_11comp_targetILNS1_3genE8ELNS1_11target_archE1030ELNS1_3gpuE2ELNS1_3repE0EEENS1_30default_config_static_selectorELNS0_4arch9wavefront6targetE1EEEvT1_,"axG",@progbits,_ZN7rocprim17ROCPRIM_400000_NS6detail17trampoline_kernelINS0_14default_configENS1_25transform_config_selectorIjLb0EEEZNS1_14transform_implILb0ES3_S5_NS0_18transform_iteratorINS0_17counting_iteratorImlEEZNS1_24adjacent_difference_implIS3_Lb1ELb0EPjSB_N6thrust23THRUST_200600_302600_NS4plusIjEEEE10hipError_tPvRmT2_T3_mT4_P12ihipStream_tbEUlmE_jEESB_NS0_8identityIvEEEESG_SJ_SK_mSL_SN_bEUlT_E_NS1_11comp_targetILNS1_3genE8ELNS1_11target_archE1030ELNS1_3gpuE2ELNS1_3repE0EEENS1_30default_config_static_selectorELNS0_4arch9wavefront6targetE1EEEvT1_,comdat
.Lfunc_end406:
	.size	_ZN7rocprim17ROCPRIM_400000_NS6detail17trampoline_kernelINS0_14default_configENS1_25transform_config_selectorIjLb0EEEZNS1_14transform_implILb0ES3_S5_NS0_18transform_iteratorINS0_17counting_iteratorImlEEZNS1_24adjacent_difference_implIS3_Lb1ELb0EPjSB_N6thrust23THRUST_200600_302600_NS4plusIjEEEE10hipError_tPvRmT2_T3_mT4_P12ihipStream_tbEUlmE_jEESB_NS0_8identityIvEEEESG_SJ_SK_mSL_SN_bEUlT_E_NS1_11comp_targetILNS1_3genE8ELNS1_11target_archE1030ELNS1_3gpuE2ELNS1_3repE0EEENS1_30default_config_static_selectorELNS0_4arch9wavefront6targetE1EEEvT1_, .Lfunc_end406-_ZN7rocprim17ROCPRIM_400000_NS6detail17trampoline_kernelINS0_14default_configENS1_25transform_config_selectorIjLb0EEEZNS1_14transform_implILb0ES3_S5_NS0_18transform_iteratorINS0_17counting_iteratorImlEEZNS1_24adjacent_difference_implIS3_Lb1ELb0EPjSB_N6thrust23THRUST_200600_302600_NS4plusIjEEEE10hipError_tPvRmT2_T3_mT4_P12ihipStream_tbEUlmE_jEESB_NS0_8identityIvEEEESG_SJ_SK_mSL_SN_bEUlT_E_NS1_11comp_targetILNS1_3genE8ELNS1_11target_archE1030ELNS1_3gpuE2ELNS1_3repE0EEENS1_30default_config_static_selectorELNS0_4arch9wavefront6targetE1EEEvT1_
                                        ; -- End function
	.section	.AMDGPU.csdata,"",@progbits
; Kernel info:
; codeLenInByte = 0
; NumSgprs: 6
; NumVgprs: 0
; NumAgprs: 0
; TotalNumVgprs: 0
; ScratchSize: 0
; MemoryBound: 0
; FloatMode: 240
; IeeeMode: 1
; LDSByteSize: 0 bytes/workgroup (compile time only)
; SGPRBlocks: 0
; VGPRBlocks: 0
; NumSGPRsForWavesPerEU: 6
; NumVGPRsForWavesPerEU: 1
; AccumOffset: 4
; Occupancy: 8
; WaveLimiterHint : 0
; COMPUTE_PGM_RSRC2:SCRATCH_EN: 0
; COMPUTE_PGM_RSRC2:USER_SGPR: 2
; COMPUTE_PGM_RSRC2:TRAP_HANDLER: 0
; COMPUTE_PGM_RSRC2:TGID_X_EN: 1
; COMPUTE_PGM_RSRC2:TGID_Y_EN: 0
; COMPUTE_PGM_RSRC2:TGID_Z_EN: 0
; COMPUTE_PGM_RSRC2:TIDIG_COMP_CNT: 0
; COMPUTE_PGM_RSRC3_GFX90A:ACCUM_OFFSET: 0
; COMPUTE_PGM_RSRC3_GFX90A:TG_SPLIT: 0
	.section	.text._ZN7rocprim17ROCPRIM_400000_NS6detail17trampoline_kernelINS0_14default_configENS1_35adjacent_difference_config_selectorILb1EjEEZNS1_24adjacent_difference_implIS3_Lb1ELb0EPjS7_N6thrust23THRUST_200600_302600_NS4plusIjEEEE10hipError_tPvRmT2_T3_mT4_P12ihipStream_tbEUlT_E_NS1_11comp_targetILNS1_3genE0ELNS1_11target_archE4294967295ELNS1_3gpuE0ELNS1_3repE0EEENS1_30default_config_static_selectorELNS0_4arch9wavefront6targetE1EEEvT1_,"axG",@progbits,_ZN7rocprim17ROCPRIM_400000_NS6detail17trampoline_kernelINS0_14default_configENS1_35adjacent_difference_config_selectorILb1EjEEZNS1_24adjacent_difference_implIS3_Lb1ELb0EPjS7_N6thrust23THRUST_200600_302600_NS4plusIjEEEE10hipError_tPvRmT2_T3_mT4_P12ihipStream_tbEUlT_E_NS1_11comp_targetILNS1_3genE0ELNS1_11target_archE4294967295ELNS1_3gpuE0ELNS1_3repE0EEENS1_30default_config_static_selectorELNS0_4arch9wavefront6targetE1EEEvT1_,comdat
	.protected	_ZN7rocprim17ROCPRIM_400000_NS6detail17trampoline_kernelINS0_14default_configENS1_35adjacent_difference_config_selectorILb1EjEEZNS1_24adjacent_difference_implIS3_Lb1ELb0EPjS7_N6thrust23THRUST_200600_302600_NS4plusIjEEEE10hipError_tPvRmT2_T3_mT4_P12ihipStream_tbEUlT_E_NS1_11comp_targetILNS1_3genE0ELNS1_11target_archE4294967295ELNS1_3gpuE0ELNS1_3repE0EEENS1_30default_config_static_selectorELNS0_4arch9wavefront6targetE1EEEvT1_ ; -- Begin function _ZN7rocprim17ROCPRIM_400000_NS6detail17trampoline_kernelINS0_14default_configENS1_35adjacent_difference_config_selectorILb1EjEEZNS1_24adjacent_difference_implIS3_Lb1ELb0EPjS7_N6thrust23THRUST_200600_302600_NS4plusIjEEEE10hipError_tPvRmT2_T3_mT4_P12ihipStream_tbEUlT_E_NS1_11comp_targetILNS1_3genE0ELNS1_11target_archE4294967295ELNS1_3gpuE0ELNS1_3repE0EEENS1_30default_config_static_selectorELNS0_4arch9wavefront6targetE1EEEvT1_
	.globl	_ZN7rocprim17ROCPRIM_400000_NS6detail17trampoline_kernelINS0_14default_configENS1_35adjacent_difference_config_selectorILb1EjEEZNS1_24adjacent_difference_implIS3_Lb1ELb0EPjS7_N6thrust23THRUST_200600_302600_NS4plusIjEEEE10hipError_tPvRmT2_T3_mT4_P12ihipStream_tbEUlT_E_NS1_11comp_targetILNS1_3genE0ELNS1_11target_archE4294967295ELNS1_3gpuE0ELNS1_3repE0EEENS1_30default_config_static_selectorELNS0_4arch9wavefront6targetE1EEEvT1_
	.p2align	8
	.type	_ZN7rocprim17ROCPRIM_400000_NS6detail17trampoline_kernelINS0_14default_configENS1_35adjacent_difference_config_selectorILb1EjEEZNS1_24adjacent_difference_implIS3_Lb1ELb0EPjS7_N6thrust23THRUST_200600_302600_NS4plusIjEEEE10hipError_tPvRmT2_T3_mT4_P12ihipStream_tbEUlT_E_NS1_11comp_targetILNS1_3genE0ELNS1_11target_archE4294967295ELNS1_3gpuE0ELNS1_3repE0EEENS1_30default_config_static_selectorELNS0_4arch9wavefront6targetE1EEEvT1_,@function
_ZN7rocprim17ROCPRIM_400000_NS6detail17trampoline_kernelINS0_14default_configENS1_35adjacent_difference_config_selectorILb1EjEEZNS1_24adjacent_difference_implIS3_Lb1ELb0EPjS7_N6thrust23THRUST_200600_302600_NS4plusIjEEEE10hipError_tPvRmT2_T3_mT4_P12ihipStream_tbEUlT_E_NS1_11comp_targetILNS1_3genE0ELNS1_11target_archE4294967295ELNS1_3gpuE0ELNS1_3repE0EEENS1_30default_config_static_selectorELNS0_4arch9wavefront6targetE1EEEvT1_: ; @_ZN7rocprim17ROCPRIM_400000_NS6detail17trampoline_kernelINS0_14default_configENS1_35adjacent_difference_config_selectorILb1EjEEZNS1_24adjacent_difference_implIS3_Lb1ELb0EPjS7_N6thrust23THRUST_200600_302600_NS4plusIjEEEE10hipError_tPvRmT2_T3_mT4_P12ihipStream_tbEUlT_E_NS1_11comp_targetILNS1_3genE0ELNS1_11target_archE4294967295ELNS1_3gpuE0ELNS1_3repE0EEENS1_30default_config_static_selectorELNS0_4arch9wavefront6targetE1EEEvT1_
; %bb.0:
	.section	.rodata,"a",@progbits
	.p2align	6, 0x0
	.amdhsa_kernel _ZN7rocprim17ROCPRIM_400000_NS6detail17trampoline_kernelINS0_14default_configENS1_35adjacent_difference_config_selectorILb1EjEEZNS1_24adjacent_difference_implIS3_Lb1ELb0EPjS7_N6thrust23THRUST_200600_302600_NS4plusIjEEEE10hipError_tPvRmT2_T3_mT4_P12ihipStream_tbEUlT_E_NS1_11comp_targetILNS1_3genE0ELNS1_11target_archE4294967295ELNS1_3gpuE0ELNS1_3repE0EEENS1_30default_config_static_selectorELNS0_4arch9wavefront6targetE1EEEvT1_
		.amdhsa_group_segment_fixed_size 0
		.amdhsa_private_segment_fixed_size 0
		.amdhsa_kernarg_size 56
		.amdhsa_user_sgpr_count 2
		.amdhsa_user_sgpr_dispatch_ptr 0
		.amdhsa_user_sgpr_queue_ptr 0
		.amdhsa_user_sgpr_kernarg_segment_ptr 1
		.amdhsa_user_sgpr_dispatch_id 0
		.amdhsa_user_sgpr_kernarg_preload_length 0
		.amdhsa_user_sgpr_kernarg_preload_offset 0
		.amdhsa_user_sgpr_private_segment_size 0
		.amdhsa_uses_dynamic_stack 0
		.amdhsa_enable_private_segment 0
		.amdhsa_system_sgpr_workgroup_id_x 1
		.amdhsa_system_sgpr_workgroup_id_y 0
		.amdhsa_system_sgpr_workgroup_id_z 0
		.amdhsa_system_sgpr_workgroup_info 0
		.amdhsa_system_vgpr_workitem_id 0
		.amdhsa_next_free_vgpr 1
		.amdhsa_next_free_sgpr 0
		.amdhsa_accum_offset 4
		.amdhsa_reserve_vcc 0
		.amdhsa_float_round_mode_32 0
		.amdhsa_float_round_mode_16_64 0
		.amdhsa_float_denorm_mode_32 3
		.amdhsa_float_denorm_mode_16_64 3
		.amdhsa_dx10_clamp 1
		.amdhsa_ieee_mode 1
		.amdhsa_fp16_overflow 0
		.amdhsa_tg_split 0
		.amdhsa_exception_fp_ieee_invalid_op 0
		.amdhsa_exception_fp_denorm_src 0
		.amdhsa_exception_fp_ieee_div_zero 0
		.amdhsa_exception_fp_ieee_overflow 0
		.amdhsa_exception_fp_ieee_underflow 0
		.amdhsa_exception_fp_ieee_inexact 0
		.amdhsa_exception_int_div_zero 0
	.end_amdhsa_kernel
	.section	.text._ZN7rocprim17ROCPRIM_400000_NS6detail17trampoline_kernelINS0_14default_configENS1_35adjacent_difference_config_selectorILb1EjEEZNS1_24adjacent_difference_implIS3_Lb1ELb0EPjS7_N6thrust23THRUST_200600_302600_NS4plusIjEEEE10hipError_tPvRmT2_T3_mT4_P12ihipStream_tbEUlT_E_NS1_11comp_targetILNS1_3genE0ELNS1_11target_archE4294967295ELNS1_3gpuE0ELNS1_3repE0EEENS1_30default_config_static_selectorELNS0_4arch9wavefront6targetE1EEEvT1_,"axG",@progbits,_ZN7rocprim17ROCPRIM_400000_NS6detail17trampoline_kernelINS0_14default_configENS1_35adjacent_difference_config_selectorILb1EjEEZNS1_24adjacent_difference_implIS3_Lb1ELb0EPjS7_N6thrust23THRUST_200600_302600_NS4plusIjEEEE10hipError_tPvRmT2_T3_mT4_P12ihipStream_tbEUlT_E_NS1_11comp_targetILNS1_3genE0ELNS1_11target_archE4294967295ELNS1_3gpuE0ELNS1_3repE0EEENS1_30default_config_static_selectorELNS0_4arch9wavefront6targetE1EEEvT1_,comdat
.Lfunc_end407:
	.size	_ZN7rocprim17ROCPRIM_400000_NS6detail17trampoline_kernelINS0_14default_configENS1_35adjacent_difference_config_selectorILb1EjEEZNS1_24adjacent_difference_implIS3_Lb1ELb0EPjS7_N6thrust23THRUST_200600_302600_NS4plusIjEEEE10hipError_tPvRmT2_T3_mT4_P12ihipStream_tbEUlT_E_NS1_11comp_targetILNS1_3genE0ELNS1_11target_archE4294967295ELNS1_3gpuE0ELNS1_3repE0EEENS1_30default_config_static_selectorELNS0_4arch9wavefront6targetE1EEEvT1_, .Lfunc_end407-_ZN7rocprim17ROCPRIM_400000_NS6detail17trampoline_kernelINS0_14default_configENS1_35adjacent_difference_config_selectorILb1EjEEZNS1_24adjacent_difference_implIS3_Lb1ELb0EPjS7_N6thrust23THRUST_200600_302600_NS4plusIjEEEE10hipError_tPvRmT2_T3_mT4_P12ihipStream_tbEUlT_E_NS1_11comp_targetILNS1_3genE0ELNS1_11target_archE4294967295ELNS1_3gpuE0ELNS1_3repE0EEENS1_30default_config_static_selectorELNS0_4arch9wavefront6targetE1EEEvT1_
                                        ; -- End function
	.section	.AMDGPU.csdata,"",@progbits
; Kernel info:
; codeLenInByte = 0
; NumSgprs: 6
; NumVgprs: 0
; NumAgprs: 0
; TotalNumVgprs: 0
; ScratchSize: 0
; MemoryBound: 0
; FloatMode: 240
; IeeeMode: 1
; LDSByteSize: 0 bytes/workgroup (compile time only)
; SGPRBlocks: 0
; VGPRBlocks: 0
; NumSGPRsForWavesPerEU: 6
; NumVGPRsForWavesPerEU: 1
; AccumOffset: 4
; Occupancy: 8
; WaveLimiterHint : 0
; COMPUTE_PGM_RSRC2:SCRATCH_EN: 0
; COMPUTE_PGM_RSRC2:USER_SGPR: 2
; COMPUTE_PGM_RSRC2:TRAP_HANDLER: 0
; COMPUTE_PGM_RSRC2:TGID_X_EN: 1
; COMPUTE_PGM_RSRC2:TGID_Y_EN: 0
; COMPUTE_PGM_RSRC2:TGID_Z_EN: 0
; COMPUTE_PGM_RSRC2:TIDIG_COMP_CNT: 0
; COMPUTE_PGM_RSRC3_GFX90A:ACCUM_OFFSET: 0
; COMPUTE_PGM_RSRC3_GFX90A:TG_SPLIT: 0
	.section	.text._ZN7rocprim17ROCPRIM_400000_NS6detail17trampoline_kernelINS0_14default_configENS1_35adjacent_difference_config_selectorILb1EjEEZNS1_24adjacent_difference_implIS3_Lb1ELb0EPjS7_N6thrust23THRUST_200600_302600_NS4plusIjEEEE10hipError_tPvRmT2_T3_mT4_P12ihipStream_tbEUlT_E_NS1_11comp_targetILNS1_3genE10ELNS1_11target_archE1201ELNS1_3gpuE5ELNS1_3repE0EEENS1_30default_config_static_selectorELNS0_4arch9wavefront6targetE1EEEvT1_,"axG",@progbits,_ZN7rocprim17ROCPRIM_400000_NS6detail17trampoline_kernelINS0_14default_configENS1_35adjacent_difference_config_selectorILb1EjEEZNS1_24adjacent_difference_implIS3_Lb1ELb0EPjS7_N6thrust23THRUST_200600_302600_NS4plusIjEEEE10hipError_tPvRmT2_T3_mT4_P12ihipStream_tbEUlT_E_NS1_11comp_targetILNS1_3genE10ELNS1_11target_archE1201ELNS1_3gpuE5ELNS1_3repE0EEENS1_30default_config_static_selectorELNS0_4arch9wavefront6targetE1EEEvT1_,comdat
	.protected	_ZN7rocprim17ROCPRIM_400000_NS6detail17trampoline_kernelINS0_14default_configENS1_35adjacent_difference_config_selectorILb1EjEEZNS1_24adjacent_difference_implIS3_Lb1ELb0EPjS7_N6thrust23THRUST_200600_302600_NS4plusIjEEEE10hipError_tPvRmT2_T3_mT4_P12ihipStream_tbEUlT_E_NS1_11comp_targetILNS1_3genE10ELNS1_11target_archE1201ELNS1_3gpuE5ELNS1_3repE0EEENS1_30default_config_static_selectorELNS0_4arch9wavefront6targetE1EEEvT1_ ; -- Begin function _ZN7rocprim17ROCPRIM_400000_NS6detail17trampoline_kernelINS0_14default_configENS1_35adjacent_difference_config_selectorILb1EjEEZNS1_24adjacent_difference_implIS3_Lb1ELb0EPjS7_N6thrust23THRUST_200600_302600_NS4plusIjEEEE10hipError_tPvRmT2_T3_mT4_P12ihipStream_tbEUlT_E_NS1_11comp_targetILNS1_3genE10ELNS1_11target_archE1201ELNS1_3gpuE5ELNS1_3repE0EEENS1_30default_config_static_selectorELNS0_4arch9wavefront6targetE1EEEvT1_
	.globl	_ZN7rocprim17ROCPRIM_400000_NS6detail17trampoline_kernelINS0_14default_configENS1_35adjacent_difference_config_selectorILb1EjEEZNS1_24adjacent_difference_implIS3_Lb1ELb0EPjS7_N6thrust23THRUST_200600_302600_NS4plusIjEEEE10hipError_tPvRmT2_T3_mT4_P12ihipStream_tbEUlT_E_NS1_11comp_targetILNS1_3genE10ELNS1_11target_archE1201ELNS1_3gpuE5ELNS1_3repE0EEENS1_30default_config_static_selectorELNS0_4arch9wavefront6targetE1EEEvT1_
	.p2align	8
	.type	_ZN7rocprim17ROCPRIM_400000_NS6detail17trampoline_kernelINS0_14default_configENS1_35adjacent_difference_config_selectorILb1EjEEZNS1_24adjacent_difference_implIS3_Lb1ELb0EPjS7_N6thrust23THRUST_200600_302600_NS4plusIjEEEE10hipError_tPvRmT2_T3_mT4_P12ihipStream_tbEUlT_E_NS1_11comp_targetILNS1_3genE10ELNS1_11target_archE1201ELNS1_3gpuE5ELNS1_3repE0EEENS1_30default_config_static_selectorELNS0_4arch9wavefront6targetE1EEEvT1_,@function
_ZN7rocprim17ROCPRIM_400000_NS6detail17trampoline_kernelINS0_14default_configENS1_35adjacent_difference_config_selectorILb1EjEEZNS1_24adjacent_difference_implIS3_Lb1ELb0EPjS7_N6thrust23THRUST_200600_302600_NS4plusIjEEEE10hipError_tPvRmT2_T3_mT4_P12ihipStream_tbEUlT_E_NS1_11comp_targetILNS1_3genE10ELNS1_11target_archE1201ELNS1_3gpuE5ELNS1_3repE0EEENS1_30default_config_static_selectorELNS0_4arch9wavefront6targetE1EEEvT1_: ; @_ZN7rocprim17ROCPRIM_400000_NS6detail17trampoline_kernelINS0_14default_configENS1_35adjacent_difference_config_selectorILb1EjEEZNS1_24adjacent_difference_implIS3_Lb1ELb0EPjS7_N6thrust23THRUST_200600_302600_NS4plusIjEEEE10hipError_tPvRmT2_T3_mT4_P12ihipStream_tbEUlT_E_NS1_11comp_targetILNS1_3genE10ELNS1_11target_archE1201ELNS1_3gpuE5ELNS1_3repE0EEENS1_30default_config_static_selectorELNS0_4arch9wavefront6targetE1EEEvT1_
; %bb.0:
	.section	.rodata,"a",@progbits
	.p2align	6, 0x0
	.amdhsa_kernel _ZN7rocprim17ROCPRIM_400000_NS6detail17trampoline_kernelINS0_14default_configENS1_35adjacent_difference_config_selectorILb1EjEEZNS1_24adjacent_difference_implIS3_Lb1ELb0EPjS7_N6thrust23THRUST_200600_302600_NS4plusIjEEEE10hipError_tPvRmT2_T3_mT4_P12ihipStream_tbEUlT_E_NS1_11comp_targetILNS1_3genE10ELNS1_11target_archE1201ELNS1_3gpuE5ELNS1_3repE0EEENS1_30default_config_static_selectorELNS0_4arch9wavefront6targetE1EEEvT1_
		.amdhsa_group_segment_fixed_size 0
		.amdhsa_private_segment_fixed_size 0
		.amdhsa_kernarg_size 56
		.amdhsa_user_sgpr_count 2
		.amdhsa_user_sgpr_dispatch_ptr 0
		.amdhsa_user_sgpr_queue_ptr 0
		.amdhsa_user_sgpr_kernarg_segment_ptr 1
		.amdhsa_user_sgpr_dispatch_id 0
		.amdhsa_user_sgpr_kernarg_preload_length 0
		.amdhsa_user_sgpr_kernarg_preload_offset 0
		.amdhsa_user_sgpr_private_segment_size 0
		.amdhsa_uses_dynamic_stack 0
		.amdhsa_enable_private_segment 0
		.amdhsa_system_sgpr_workgroup_id_x 1
		.amdhsa_system_sgpr_workgroup_id_y 0
		.amdhsa_system_sgpr_workgroup_id_z 0
		.amdhsa_system_sgpr_workgroup_info 0
		.amdhsa_system_vgpr_workitem_id 0
		.amdhsa_next_free_vgpr 1
		.amdhsa_next_free_sgpr 0
		.amdhsa_accum_offset 4
		.amdhsa_reserve_vcc 0
		.amdhsa_float_round_mode_32 0
		.amdhsa_float_round_mode_16_64 0
		.amdhsa_float_denorm_mode_32 3
		.amdhsa_float_denorm_mode_16_64 3
		.amdhsa_dx10_clamp 1
		.amdhsa_ieee_mode 1
		.amdhsa_fp16_overflow 0
		.amdhsa_tg_split 0
		.amdhsa_exception_fp_ieee_invalid_op 0
		.amdhsa_exception_fp_denorm_src 0
		.amdhsa_exception_fp_ieee_div_zero 0
		.amdhsa_exception_fp_ieee_overflow 0
		.amdhsa_exception_fp_ieee_underflow 0
		.amdhsa_exception_fp_ieee_inexact 0
		.amdhsa_exception_int_div_zero 0
	.end_amdhsa_kernel
	.section	.text._ZN7rocprim17ROCPRIM_400000_NS6detail17trampoline_kernelINS0_14default_configENS1_35adjacent_difference_config_selectorILb1EjEEZNS1_24adjacent_difference_implIS3_Lb1ELb0EPjS7_N6thrust23THRUST_200600_302600_NS4plusIjEEEE10hipError_tPvRmT2_T3_mT4_P12ihipStream_tbEUlT_E_NS1_11comp_targetILNS1_3genE10ELNS1_11target_archE1201ELNS1_3gpuE5ELNS1_3repE0EEENS1_30default_config_static_selectorELNS0_4arch9wavefront6targetE1EEEvT1_,"axG",@progbits,_ZN7rocprim17ROCPRIM_400000_NS6detail17trampoline_kernelINS0_14default_configENS1_35adjacent_difference_config_selectorILb1EjEEZNS1_24adjacent_difference_implIS3_Lb1ELb0EPjS7_N6thrust23THRUST_200600_302600_NS4plusIjEEEE10hipError_tPvRmT2_T3_mT4_P12ihipStream_tbEUlT_E_NS1_11comp_targetILNS1_3genE10ELNS1_11target_archE1201ELNS1_3gpuE5ELNS1_3repE0EEENS1_30default_config_static_selectorELNS0_4arch9wavefront6targetE1EEEvT1_,comdat
.Lfunc_end408:
	.size	_ZN7rocprim17ROCPRIM_400000_NS6detail17trampoline_kernelINS0_14default_configENS1_35adjacent_difference_config_selectorILb1EjEEZNS1_24adjacent_difference_implIS3_Lb1ELb0EPjS7_N6thrust23THRUST_200600_302600_NS4plusIjEEEE10hipError_tPvRmT2_T3_mT4_P12ihipStream_tbEUlT_E_NS1_11comp_targetILNS1_3genE10ELNS1_11target_archE1201ELNS1_3gpuE5ELNS1_3repE0EEENS1_30default_config_static_selectorELNS0_4arch9wavefront6targetE1EEEvT1_, .Lfunc_end408-_ZN7rocprim17ROCPRIM_400000_NS6detail17trampoline_kernelINS0_14default_configENS1_35adjacent_difference_config_selectorILb1EjEEZNS1_24adjacent_difference_implIS3_Lb1ELb0EPjS7_N6thrust23THRUST_200600_302600_NS4plusIjEEEE10hipError_tPvRmT2_T3_mT4_P12ihipStream_tbEUlT_E_NS1_11comp_targetILNS1_3genE10ELNS1_11target_archE1201ELNS1_3gpuE5ELNS1_3repE0EEENS1_30default_config_static_selectorELNS0_4arch9wavefront6targetE1EEEvT1_
                                        ; -- End function
	.section	.AMDGPU.csdata,"",@progbits
; Kernel info:
; codeLenInByte = 0
; NumSgprs: 6
; NumVgprs: 0
; NumAgprs: 0
; TotalNumVgprs: 0
; ScratchSize: 0
; MemoryBound: 0
; FloatMode: 240
; IeeeMode: 1
; LDSByteSize: 0 bytes/workgroup (compile time only)
; SGPRBlocks: 0
; VGPRBlocks: 0
; NumSGPRsForWavesPerEU: 6
; NumVGPRsForWavesPerEU: 1
; AccumOffset: 4
; Occupancy: 8
; WaveLimiterHint : 0
; COMPUTE_PGM_RSRC2:SCRATCH_EN: 0
; COMPUTE_PGM_RSRC2:USER_SGPR: 2
; COMPUTE_PGM_RSRC2:TRAP_HANDLER: 0
; COMPUTE_PGM_RSRC2:TGID_X_EN: 1
; COMPUTE_PGM_RSRC2:TGID_Y_EN: 0
; COMPUTE_PGM_RSRC2:TGID_Z_EN: 0
; COMPUTE_PGM_RSRC2:TIDIG_COMP_CNT: 0
; COMPUTE_PGM_RSRC3_GFX90A:ACCUM_OFFSET: 0
; COMPUTE_PGM_RSRC3_GFX90A:TG_SPLIT: 0
	.section	.text._ZN7rocprim17ROCPRIM_400000_NS6detail17trampoline_kernelINS0_14default_configENS1_35adjacent_difference_config_selectorILb1EjEEZNS1_24adjacent_difference_implIS3_Lb1ELb0EPjS7_N6thrust23THRUST_200600_302600_NS4plusIjEEEE10hipError_tPvRmT2_T3_mT4_P12ihipStream_tbEUlT_E_NS1_11comp_targetILNS1_3genE5ELNS1_11target_archE942ELNS1_3gpuE9ELNS1_3repE0EEENS1_30default_config_static_selectorELNS0_4arch9wavefront6targetE1EEEvT1_,"axG",@progbits,_ZN7rocprim17ROCPRIM_400000_NS6detail17trampoline_kernelINS0_14default_configENS1_35adjacent_difference_config_selectorILb1EjEEZNS1_24adjacent_difference_implIS3_Lb1ELb0EPjS7_N6thrust23THRUST_200600_302600_NS4plusIjEEEE10hipError_tPvRmT2_T3_mT4_P12ihipStream_tbEUlT_E_NS1_11comp_targetILNS1_3genE5ELNS1_11target_archE942ELNS1_3gpuE9ELNS1_3repE0EEENS1_30default_config_static_selectorELNS0_4arch9wavefront6targetE1EEEvT1_,comdat
	.protected	_ZN7rocprim17ROCPRIM_400000_NS6detail17trampoline_kernelINS0_14default_configENS1_35adjacent_difference_config_selectorILb1EjEEZNS1_24adjacent_difference_implIS3_Lb1ELb0EPjS7_N6thrust23THRUST_200600_302600_NS4plusIjEEEE10hipError_tPvRmT2_T3_mT4_P12ihipStream_tbEUlT_E_NS1_11comp_targetILNS1_3genE5ELNS1_11target_archE942ELNS1_3gpuE9ELNS1_3repE0EEENS1_30default_config_static_selectorELNS0_4arch9wavefront6targetE1EEEvT1_ ; -- Begin function _ZN7rocprim17ROCPRIM_400000_NS6detail17trampoline_kernelINS0_14default_configENS1_35adjacent_difference_config_selectorILb1EjEEZNS1_24adjacent_difference_implIS3_Lb1ELb0EPjS7_N6thrust23THRUST_200600_302600_NS4plusIjEEEE10hipError_tPvRmT2_T3_mT4_P12ihipStream_tbEUlT_E_NS1_11comp_targetILNS1_3genE5ELNS1_11target_archE942ELNS1_3gpuE9ELNS1_3repE0EEENS1_30default_config_static_selectorELNS0_4arch9wavefront6targetE1EEEvT1_
	.globl	_ZN7rocprim17ROCPRIM_400000_NS6detail17trampoline_kernelINS0_14default_configENS1_35adjacent_difference_config_selectorILb1EjEEZNS1_24adjacent_difference_implIS3_Lb1ELb0EPjS7_N6thrust23THRUST_200600_302600_NS4plusIjEEEE10hipError_tPvRmT2_T3_mT4_P12ihipStream_tbEUlT_E_NS1_11comp_targetILNS1_3genE5ELNS1_11target_archE942ELNS1_3gpuE9ELNS1_3repE0EEENS1_30default_config_static_selectorELNS0_4arch9wavefront6targetE1EEEvT1_
	.p2align	8
	.type	_ZN7rocprim17ROCPRIM_400000_NS6detail17trampoline_kernelINS0_14default_configENS1_35adjacent_difference_config_selectorILb1EjEEZNS1_24adjacent_difference_implIS3_Lb1ELb0EPjS7_N6thrust23THRUST_200600_302600_NS4plusIjEEEE10hipError_tPvRmT2_T3_mT4_P12ihipStream_tbEUlT_E_NS1_11comp_targetILNS1_3genE5ELNS1_11target_archE942ELNS1_3gpuE9ELNS1_3repE0EEENS1_30default_config_static_selectorELNS0_4arch9wavefront6targetE1EEEvT1_,@function
_ZN7rocprim17ROCPRIM_400000_NS6detail17trampoline_kernelINS0_14default_configENS1_35adjacent_difference_config_selectorILb1EjEEZNS1_24adjacent_difference_implIS3_Lb1ELb0EPjS7_N6thrust23THRUST_200600_302600_NS4plusIjEEEE10hipError_tPvRmT2_T3_mT4_P12ihipStream_tbEUlT_E_NS1_11comp_targetILNS1_3genE5ELNS1_11target_archE942ELNS1_3gpuE9ELNS1_3repE0EEENS1_30default_config_static_selectorELNS0_4arch9wavefront6targetE1EEEvT1_: ; @_ZN7rocprim17ROCPRIM_400000_NS6detail17trampoline_kernelINS0_14default_configENS1_35adjacent_difference_config_selectorILb1EjEEZNS1_24adjacent_difference_implIS3_Lb1ELb0EPjS7_N6thrust23THRUST_200600_302600_NS4plusIjEEEE10hipError_tPvRmT2_T3_mT4_P12ihipStream_tbEUlT_E_NS1_11comp_targetILNS1_3genE5ELNS1_11target_archE942ELNS1_3gpuE9ELNS1_3repE0EEENS1_30default_config_static_selectorELNS0_4arch9wavefront6targetE1EEEvT1_
; %bb.0:
	s_load_dwordx8 s[4:11], s[0:1], 0x0
	s_load_dwordx4 s[12:15], s[0:1], 0x28
	s_mov_b32 s0, 0x59999780
	s_movk_i32 s16, 0xa00
	s_mov_b32 s3, 0
	s_waitcnt lgkmcnt(0)
	s_lshl_b64 s[6:7], s[6:7], 2
	s_add_u32 s26, s4, s6
	s_addc_u32 s27, s5, s7
	s_add_u32 s0, 0xe0, s0
	s_addc_u32 s5, 0, 0
	v_add_co_u32_e64 v1, s[0:1], s0, 2.0
	s_cmp_lg_u64 s[0:1], 0
	s_addc_u32 s0, s5, 0x199999
	v_readfirstlane_b32 s5, v1
	s_mul_hi_u32 s17, s5, 0xfffff600
	s_mul_i32 s1, s0, 0xfffff600
	s_sub_i32 s17, s17, s5
	s_add_i32 s17, s17, s1
	s_mul_i32 s19, s5, 0xfffff600
	s_mul_hi_u32 s1, s5, s17
	s_mul_i32 s18, s5, s17
	s_mul_hi_u32 s5, s5, s19
	s_add_u32 s5, s5, s18
	s_addc_u32 s1, 0, s1
	s_mul_hi_u32 s20, s0, s19
	s_mul_i32 s19, s0, s19
	s_add_u32 s5, s5, s19
	s_mul_hi_u32 s18, s0, s17
	s_addc_u32 s1, s1, s20
	s_addc_u32 s5, s18, 0
	s_mul_i32 s17, s0, s17
	s_add_u32 s1, s1, s17
	s_addc_u32 s5, 0, s5
	v_add_co_u32_e32 v1, vcc, s1, v1
	s_cmp_lg_u64 vcc, 0
	s_addc_u32 s0, s0, s5
	v_readfirstlane_b32 s17, v1
	s_mul_i32 s5, s10, s0
	s_mul_hi_u32 s18, s10, s17
	s_mul_hi_u32 s1, s10, s0
	s_add_u32 s5, s18, s5
	s_addc_u32 s1, 0, s1
	s_mul_hi_u32 s19, s11, s17
	s_mul_i32 s17, s11, s17
	s_add_u32 s5, s5, s17
	s_mul_hi_u32 s18, s11, s0
	s_addc_u32 s1, s1, s19
	s_addc_u32 s5, s18, 0
	s_mul_i32 s0, s11, s0
	s_add_u32 s0, s1, s0
	s_addc_u32 s1, 0, s5
	s_add_u32 s5, s0, 1
	s_addc_u32 s17, s1, 0
	s_add_u32 s18, s0, 2
	s_mul_i32 s20, s1, 0xa00
	s_mul_hi_u32 s21, s0, 0xa00
	s_addc_u32 s19, s1, 0
	s_add_i32 s21, s21, s20
	s_mul_i32 s20, s0, 0xa00
	v_mov_b32_e32 v1, s20
	v_sub_co_u32_e32 v1, vcc, s10, v1
	s_cmp_lg_u64 vcc, 0
	s_subb_u32 s20, s11, s21
	v_subrev_co_u32_e32 v2, vcc, s16, v1
	s_cmp_lg_u64 vcc, 0
	s_subb_u32 s16, s20, 0
	v_readfirstlane_b32 s21, v2
	s_cmpk_gt_u32 s21, 0x9ff
	s_cselect_b32 s21, -1, 0
	s_cmp_eq_u32 s16, 0
	s_cselect_b32 s16, s21, -1
	s_cmp_lg_u32 s16, 0
	s_cselect_b32 s16, s19, s17
	v_readfirstlane_b32 s17, v1
	s_cselect_b32 s5, s18, s5
	s_cmpk_gt_u32 s17, 0x9ff
	s_cselect_b32 s17, -1, 0
	s_cmp_eq_u32 s20, 0
	s_cselect_b32 s17, s17, -1
	s_cmp_lg_u32 s17, 0
	s_cselect_b32 s17, s16, s1
	s_cselect_b32 s5, s5, s0
	s_mul_i32 s0, s17, 0xa00
	s_mul_hi_u32 s1, s5, 0xa00
	s_add_i32 s1, s1, s0
	s_mul_i32 s0, s5, 0xa00
	s_sub_u32 s0, s10, s0
	s_subb_u32 s1, s11, s1
	s_cmp_lg_u64 s[0:1], 0
	s_cselect_b64 s[0:1], -1, 0
	v_cndmask_b32_e64 v1, 0, 1, s[0:1]
	s_mul_i32 s4, s2, 0xa00
	v_readfirstlane_b32 s0, v1
	s_add_u32 s16, s5, s0
	s_addc_u32 s17, s17, 0
	s_add_u32 s18, s14, s2
	s_addc_u32 s19, s15, 0
	s_add_u32 s20, s16, -1
	s_addc_u32 s21, s17, -1
	v_mov_b64_e32 v[2:3], s[20:21]
	v_cmp_ge_u64_e64 s[0:1], s[18:19], v[2:3]
	s_mov_b64 s[22:23], -1
	s_and_b64 vcc, exec, s[0:1]
	s_mul_i32 s11, s20, 0xfffff600
	s_cbranch_vccz .LBB409_12
; %bb.1:
	s_mov_b32 s5, s3
	s_add_i32 s28, s11, s10
	s_lshl_b64 s[22:23], s[4:5], 2
	s_add_u32 s22, s26, s22
	s_addc_u32 s23, s27, s23
	v_cmp_gt_u32_e32 vcc, s28, v0
                                        ; implicit-def: $vgpr2_vgpr3_vgpr4_vgpr5_vgpr6
	s_and_saveexec_b64 s[24:25], vcc
	s_cbranch_execz .LBB409_3
; %bb.2:
	v_lshlrev_b32_e32 v1, 2, v0
	global_load_dword v2, v1, s[22:23]
.LBB409_3:
	s_or_b64 exec, exec, s[24:25]
	v_or_b32_e32 v1, 0x200, v0
	v_cmp_gt_u32_e32 vcc, s28, v1
	s_and_saveexec_b64 s[24:25], vcc
	s_cbranch_execz .LBB409_5
; %bb.4:
	v_lshlrev_b32_e32 v1, 2, v0
	global_load_dword v3, v1, s[22:23] offset:2048
.LBB409_5:
	s_or_b64 exec, exec, s[24:25]
	v_or_b32_e32 v1, 0x400, v0
	v_cmp_gt_u32_e32 vcc, s28, v1
	s_and_saveexec_b64 s[24:25], vcc
	s_cbranch_execz .LBB409_7
; %bb.6:
	v_lshlrev_b32_e32 v1, 2, v1
	global_load_dword v4, v1, s[22:23]
.LBB409_7:
	s_or_b64 exec, exec, s[24:25]
	v_or_b32_e32 v1, 0x600, v0
	v_cmp_gt_u32_e32 vcc, s28, v1
	s_and_saveexec_b64 s[24:25], vcc
	s_cbranch_execz .LBB409_9
; %bb.8:
	v_lshlrev_b32_e32 v1, 2, v1
	global_load_dword v5, v1, s[22:23]
.LBB409_9:
	;; [unrolled: 9-line block ×3, first 2 shown]
	s_or_b64 exec, exec, s[24:25]
	v_lshlrev_b32_e32 v1, 2, v0
	s_mov_b64 s[22:23], 0
	s_waitcnt vmcnt(0)
	ds_write2st64_b32 v1, v2, v3 offset1:8
	ds_write2st64_b32 v1, v4, v5 offset0:16 offset1:24
	ds_write_b32 v1, v6 offset:8192
	s_waitcnt lgkmcnt(0)
	s_barrier
.LBB409_12:
	s_and_b64 vcc, exec, s[22:23]
	v_lshlrev_b32_e32 v20, 2, v0
	s_cbranch_vccz .LBB409_14
; %bb.13:
	s_mov_b32 s5, 0
	s_lshl_b64 s[22:23], s[4:5], 2
	s_add_u32 s22, s26, s22
	s_addc_u32 s23, s27, s23
	v_mov_b32_e32 v21, 0
	v_lshl_add_u64 v[2:3], s[22:23], 0, v[20:21]
	v_add_co_u32_e32 v4, vcc, 0x1000, v2
	global_load_dword v1, v20, s[22:23]
	global_load_dword v6, v20, s[22:23] offset:2048
	v_addc_co_u32_e32 v5, vcc, 0, v3, vcc
	global_load_dword v7, v[4:5], off
	global_load_dword v8, v[4:5], off offset:2048
	v_add_co_u32_e32 v2, vcc, 0x2000, v2
	s_nop 1
	v_addc_co_u32_e32 v3, vcc, 0, v3, vcc
	global_load_dword v2, v[2:3], off
	s_waitcnt vmcnt(3)
	ds_write2st64_b32 v20, v1, v6 offset1:8
	s_waitcnt vmcnt(1)
	ds_write2st64_b32 v20, v7, v8 offset0:16 offset1:24
	s_waitcnt vmcnt(0)
	ds_write_b32 v20, v2 offset:8192
	s_waitcnt lgkmcnt(0)
	s_barrier
.LBB409_14:
	v_mul_u32_u24_e32 v1, 5, v0
	v_lshlrev_b32_e32 v1, 2, v1
	ds_read_b32 v2, v1
	ds_read2_b32 v[22:23], v1 offset0:1 offset1:2
	ds_read2_b32 v[24:25], v1 offset0:3 offset1:4
	s_cmp_eq_u64 s[18:19], 0
	s_waitcnt lgkmcnt(0)
	s_barrier
	s_cbranch_scc1 .LBB409_19
; %bb.15:
	s_lshl_b64 s[14:15], s[14:15], 2
	s_add_u32 s5, s12, s14
	s_addc_u32 s12, s13, s15
	s_lshl_b64 s[2:3], s[2:3], 2
	s_add_u32 s2, s5, s2
	s_addc_u32 s3, s12, s3
	s_add_u32 s2, s2, -4
	s_addc_u32 s3, s3, -1
	s_load_dword s5, s[2:3], 0x0
	s_cmp_eq_u64 s[18:19], s[20:21]
	s_cbranch_scc1 .LBB409_20
; %bb.16:
	v_cmp_ne_u32_e32 vcc, 0, v0
	s_waitcnt lgkmcnt(0)
	v_mov_b32_e32 v1, s5
	ds_write_b32 v20, v25
	s_waitcnt lgkmcnt(0)
	s_barrier
	s_and_saveexec_b64 s[2:3], vcc
	s_cbranch_execz .LBB409_18
; %bb.17:
	v_add_u32_e32 v1, -4, v20
	ds_read_b32 v1, v1
.LBB409_18:
	s_or_b64 exec, exec, s[2:3]
	v_add_u32_e32 v8, v25, v24
	v_add_u32_e32 v9, v24, v23
	;; [unrolled: 1-line block ×4, first 2 shown]
	s_cbranch_execz .LBB409_21
	s_branch .LBB409_24
.LBB409_19:
                                        ; implicit-def: $vgpr14_vgpr15_vgpr16_vgpr17_vgpr18
                                        ; implicit-def: $vgpr10_vgpr11_vgpr12_vgpr13_vgpr14
	s_mov_b64 s[12:13], 0
                                        ; implicit-def: $vgpr6_vgpr7_vgpr8_vgpr9_vgpr10
                                        ; implicit-def: $vgpr1
                                        ; implicit-def: $vgpr4_vgpr5_vgpr6_vgpr7_vgpr8
	s_branch .LBB409_25
.LBB409_20:
                                        ; implicit-def: $vgpr14_vgpr15_vgpr16_vgpr17_vgpr18
                                        ; implicit-def: $vgpr10_vgpr11_vgpr12_vgpr13_vgpr14
                                        ; implicit-def: $vgpr1
                                        ; implicit-def: $vgpr6_vgpr7_vgpr8_vgpr9_vgpr10
                                        ; implicit-def: $vgpr4_vgpr5_vgpr6_vgpr7_vgpr8
.LBB409_21:
	s_waitcnt lgkmcnt(0)
	v_mul_u32_u24_e32 v1, 5, v0
	v_cmp_ne_u32_e32 vcc, 0, v0
	v_mov_b32_e32 v3, s5
	ds_write_b32 v20, v25
	s_waitcnt lgkmcnt(0)
	s_barrier
	s_and_saveexec_b64 s[2:3], vcc
	s_cbranch_execz .LBB409_23
; %bb.22:
	v_add_u32_e32 v3, -4, v20
	ds_read_b32 v3, v3
.LBB409_23:
	s_or_b64 exec, exec, s[2:3]
	s_mul_i32 s2, s18, 0xfffff600
	s_add_i32 s2, s2, s10
	v_add_u32_e32 v4, 4, v1
	v_add_u32_e32 v5, v25, v24
	v_cmp_gt_u32_e32 vcc, s2, v4
	v_add_u32_e32 v4, 3, v1
	s_nop 0
	v_cndmask_b32_e32 v8, v25, v5, vcc
	v_add_u32_e32 v5, v24, v23
	v_cmp_gt_u32_e32 vcc, s2, v4
	v_add_u32_e32 v4, 2, v1
	s_nop 0
	v_cndmask_b32_e32 v9, v24, v5, vcc
	v_add_u32_e32 v5, v23, v22
	v_cmp_gt_u32_e32 vcc, s2, v4
	v_add_u32_e32 v4, 1, v1
	s_nop 0
	v_cndmask_b32_e32 v12, v23, v5, vcc
	v_add_u32_e32 v5, v22, v2
	v_cmp_gt_u32_e32 vcc, s2, v4
	s_nop 1
	v_cndmask_b32_e32 v15, v22, v5, vcc
	v_cmp_gt_u32_e32 vcc, s2, v1
	s_waitcnt lgkmcnt(0)
	s_nop 0
	v_cndmask_b32_e32 v1, 0, v3, vcc
.LBB409_24:
	s_mov_b64 s[12:13], -1
	s_cbranch_execnz .LBB409_33
.LBB409_25:
	s_cmp_lg_u64 s[16:17], 1
	v_add_u32_e32 v9, v24, v23
	v_add_u32_e32 v8, v25, v24
	;; [unrolled: 1-line block ×4, first 2 shown]
	v_cmp_ne_u32_e32 vcc, 0, v0
	s_cbranch_scc0 .LBB409_29
; %bb.26:
	ds_write_b32 v20, v25
	s_waitcnt lgkmcnt(0)
	s_barrier
	s_waitcnt lgkmcnt(0)
                                        ; implicit-def: $vgpr1
	s_and_saveexec_b64 s[2:3], vcc
	s_cbranch_execz .LBB409_28
; %bb.27:
	v_add_u32_e32 v1, -4, v20
	ds_read_b32 v1, v1
	s_or_b64 s[12:13], s[12:13], exec
.LBB409_28:
	s_or_b64 exec, exec, s[2:3]
	s_branch .LBB409_33
.LBB409_29:
                                        ; implicit-def: $vgpr1
	s_cbranch_execz .LBB409_33
; %bb.30:
	v_mad_u32_u24 v3, v0, 5, 4
	v_cmp_gt_u32_e32 vcc, s10, v3
	v_mad_u32_u24 v3, v0, 5, 3
	s_waitcnt lgkmcnt(0)
	v_mul_u32_u24_e32 v1, 5, v0
	v_cndmask_b32_e32 v8, v25, v8, vcc
	v_cmp_gt_u32_e32 vcc, s10, v3
	v_mad_u32_u24 v3, v0, 5, 2
	v_cmp_gt_u32_e64 s[2:3], s10, v1
	v_cndmask_b32_e32 v9, v24, v9, vcc
	v_cmp_gt_u32_e32 vcc, s10, v3
	v_mad_u32_u24 v3, v0, 5, 1
	ds_write_b32 v20, v25
	v_cndmask_b32_e32 v12, v23, v12, vcc
	v_cmp_gt_u32_e32 vcc, s10, v3
	s_waitcnt lgkmcnt(0)
	s_barrier
	v_cndmask_b32_e32 v15, v22, v15, vcc
	v_cmp_ne_u32_e32 vcc, 0, v0
	s_and_b64 s[14:15], vcc, s[2:3]
	s_waitcnt lgkmcnt(0)
                                        ; implicit-def: $vgpr1
	s_and_saveexec_b64 s[2:3], s[14:15]
	s_cbranch_execz .LBB409_32
; %bb.31:
	v_add_u32_e32 v1, -4, v20
	ds_read_b32 v1, v1
	s_or_b64 s[12:13], s[12:13], exec
.LBB409_32:
	s_or_b64 exec, exec, s[2:3]
.LBB409_33:
	s_and_saveexec_b64 s[2:3], s[12:13]
	s_cbranch_execz .LBB409_35
; %bb.34:
	s_waitcnt lgkmcnt(0)
	v_add_u32_e32 v2, v1, v2
.LBB409_35:
	s_or_b64 exec, exec, s[2:3]
	s_add_u32 s6, s8, s6
	s_addc_u32 s7, s9, s7
	s_and_b64 vcc, exec, s[0:1]
	s_waitcnt lgkmcnt(0)
	v_mul_u32_u24_e32 v1, 20, v0
	v_lshlrev_b32_e32 v3, 4, v0
	s_barrier
	s_cbranch_vccz .LBB409_45
; %bb.36:
	v_sub_u32_e32 v4, v1, v3
	s_mov_b32 s5, 0
	ds_write2_b32 v1, v2, v15 offset1:1
	ds_write2_b32 v1, v12, v9 offset0:2 offset1:3
	ds_write_b32 v1, v8 offset:16
	s_waitcnt lgkmcnt(0)
	s_barrier
	ds_read2st64_b32 v[10:11], v4 offset0:8 offset1:16
	ds_read2st64_b32 v[4:5], v4 offset0:24 offset1:32
	s_add_i32 s11, s11, s10
	s_lshl_b64 s[0:1], s[4:5], 2
	s_add_u32 s0, s6, s0
	s_addc_u32 s1, s7, s1
	v_mov_b32_e32 v21, 0
	v_lshl_add_u64 v[6:7], s[0:1], 0, v[20:21]
	v_cmp_gt_u32_e32 vcc, s11, v0
	s_and_saveexec_b64 s[0:1], vcc
	s_cbranch_execz .LBB409_38
; %bb.37:
	v_sub_u32_e32 v13, 0, v3
	v_add_u32_e32 v13, v1, v13
	ds_read_b32 v13, v13
	s_waitcnt lgkmcnt(0)
	global_store_dword v[6:7], v13, off
.LBB409_38:
	s_or_b64 exec, exec, s[0:1]
	v_or_b32_e32 v13, 0x200, v0
	v_cmp_gt_u32_e32 vcc, s11, v13
	s_and_saveexec_b64 s[0:1], vcc
	s_cbranch_execz .LBB409_40
; %bb.39:
	s_waitcnt lgkmcnt(1)
	global_store_dword v[6:7], v10, off offset:2048
.LBB409_40:
	s_or_b64 exec, exec, s[0:1]
	s_waitcnt lgkmcnt(1)
	v_or_b32_e32 v10, 0x400, v0
	v_cmp_gt_u32_e32 vcc, s11, v10
	s_and_saveexec_b64 s[0:1], vcc
	s_cbranch_execz .LBB409_42
; %bb.41:
	v_add_co_u32_e32 v16, vcc, 0x1000, v6
	s_nop 1
	v_addc_co_u32_e32 v17, vcc, 0, v7, vcc
	global_store_dword v[16:17], v11, off
.LBB409_42:
	s_or_b64 exec, exec, s[0:1]
	v_or_b32_e32 v10, 0x600, v0
	v_cmp_gt_u32_e32 vcc, s11, v10
	s_and_saveexec_b64 s[0:1], vcc
	s_cbranch_execz .LBB409_44
; %bb.43:
	v_add_co_u32_e32 v10, vcc, 0x1000, v6
	s_nop 1
	v_addc_co_u32_e32 v11, vcc, 0, v7, vcc
	s_waitcnt lgkmcnt(0)
	global_store_dword v[10:11], v4, off offset:2048
.LBB409_44:
	s_or_b64 exec, exec, s[0:1]
	v_or_b32_e32 v0, 0x800, v0
	v_cmp_gt_u32_e64 s[0:1], s11, v0
	s_branch .LBB409_47
.LBB409_45:
	s_mov_b64 s[0:1], 0
                                        ; implicit-def: $vgpr5
                                        ; implicit-def: $vgpr6_vgpr7
	s_cbranch_execz .LBB409_47
; %bb.46:
	s_mov_b32 s5, 0
	s_lshl_b64 s[2:3], s[4:5], 2
	s_waitcnt lgkmcnt(0)
	v_sub_u32_e32 v4, v1, v3
	s_add_u32 s2, s6, s2
	ds_write2_b32 v1, v2, v15 offset1:1
	ds_write2_b32 v1, v12, v9 offset0:2 offset1:3
	ds_write_b32 v1, v8 offset:16
	s_waitcnt lgkmcnt(0)
	s_barrier
	ds_read2st64_b32 v[0:1], v4 offset1:8
	ds_read2st64_b32 v[2:3], v4 offset0:16 offset1:24
	ds_read_b32 v5, v4 offset:8192
	s_addc_u32 s3, s7, s3
	v_mov_b32_e32 v21, 0
	v_lshl_add_u64 v[6:7], s[2:3], 0, v[20:21]
	s_waitcnt lgkmcnt(2)
	global_store_dword v20, v0, s[2:3]
	global_store_dword v20, v1, s[2:3] offset:2048
	v_add_co_u32_e32 v0, vcc, 0x1000, v6
	s_or_b64 s[0:1], s[0:1], exec
	s_nop 0
	v_addc_co_u32_e32 v1, vcc, 0, v7, vcc
	s_waitcnt lgkmcnt(1)
	global_store_dword v[0:1], v2, off
	global_store_dword v[0:1], v3, off offset:2048
.LBB409_47:
	s_and_saveexec_b64 s[2:3], s[0:1]
	s_cbranch_execnz .LBB409_49
; %bb.48:
	s_endpgm
.LBB409_49:
	v_add_co_u32_e32 v0, vcc, 0x2000, v6
	s_nop 1
	v_addc_co_u32_e32 v1, vcc, 0, v7, vcc
	s_waitcnt lgkmcnt(0)
	global_store_dword v[0:1], v5, off
	s_endpgm
	.section	.rodata,"a",@progbits
	.p2align	6, 0x0
	.amdhsa_kernel _ZN7rocprim17ROCPRIM_400000_NS6detail17trampoline_kernelINS0_14default_configENS1_35adjacent_difference_config_selectorILb1EjEEZNS1_24adjacent_difference_implIS3_Lb1ELb0EPjS7_N6thrust23THRUST_200600_302600_NS4plusIjEEEE10hipError_tPvRmT2_T3_mT4_P12ihipStream_tbEUlT_E_NS1_11comp_targetILNS1_3genE5ELNS1_11target_archE942ELNS1_3gpuE9ELNS1_3repE0EEENS1_30default_config_static_selectorELNS0_4arch9wavefront6targetE1EEEvT1_
		.amdhsa_group_segment_fixed_size 10240
		.amdhsa_private_segment_fixed_size 0
		.amdhsa_kernarg_size 56
		.amdhsa_user_sgpr_count 2
		.amdhsa_user_sgpr_dispatch_ptr 0
		.amdhsa_user_sgpr_queue_ptr 0
		.amdhsa_user_sgpr_kernarg_segment_ptr 1
		.amdhsa_user_sgpr_dispatch_id 0
		.amdhsa_user_sgpr_kernarg_preload_length 0
		.amdhsa_user_sgpr_kernarg_preload_offset 0
		.amdhsa_user_sgpr_private_segment_size 0
		.amdhsa_uses_dynamic_stack 0
		.amdhsa_enable_private_segment 0
		.amdhsa_system_sgpr_workgroup_id_x 1
		.amdhsa_system_sgpr_workgroup_id_y 0
		.amdhsa_system_sgpr_workgroup_id_z 0
		.amdhsa_system_sgpr_workgroup_info 0
		.amdhsa_system_vgpr_workitem_id 0
		.amdhsa_next_free_vgpr 26
		.amdhsa_next_free_sgpr 29
		.amdhsa_accum_offset 28
		.amdhsa_reserve_vcc 1
		.amdhsa_float_round_mode_32 0
		.amdhsa_float_round_mode_16_64 0
		.amdhsa_float_denorm_mode_32 3
		.amdhsa_float_denorm_mode_16_64 3
		.amdhsa_dx10_clamp 1
		.amdhsa_ieee_mode 1
		.amdhsa_fp16_overflow 0
		.amdhsa_tg_split 0
		.amdhsa_exception_fp_ieee_invalid_op 0
		.amdhsa_exception_fp_denorm_src 0
		.amdhsa_exception_fp_ieee_div_zero 0
		.amdhsa_exception_fp_ieee_overflow 0
		.amdhsa_exception_fp_ieee_underflow 0
		.amdhsa_exception_fp_ieee_inexact 0
		.amdhsa_exception_int_div_zero 0
	.end_amdhsa_kernel
	.section	.text._ZN7rocprim17ROCPRIM_400000_NS6detail17trampoline_kernelINS0_14default_configENS1_35adjacent_difference_config_selectorILb1EjEEZNS1_24adjacent_difference_implIS3_Lb1ELb0EPjS7_N6thrust23THRUST_200600_302600_NS4plusIjEEEE10hipError_tPvRmT2_T3_mT4_P12ihipStream_tbEUlT_E_NS1_11comp_targetILNS1_3genE5ELNS1_11target_archE942ELNS1_3gpuE9ELNS1_3repE0EEENS1_30default_config_static_selectorELNS0_4arch9wavefront6targetE1EEEvT1_,"axG",@progbits,_ZN7rocprim17ROCPRIM_400000_NS6detail17trampoline_kernelINS0_14default_configENS1_35adjacent_difference_config_selectorILb1EjEEZNS1_24adjacent_difference_implIS3_Lb1ELb0EPjS7_N6thrust23THRUST_200600_302600_NS4plusIjEEEE10hipError_tPvRmT2_T3_mT4_P12ihipStream_tbEUlT_E_NS1_11comp_targetILNS1_3genE5ELNS1_11target_archE942ELNS1_3gpuE9ELNS1_3repE0EEENS1_30default_config_static_selectorELNS0_4arch9wavefront6targetE1EEEvT1_,comdat
.Lfunc_end409:
	.size	_ZN7rocprim17ROCPRIM_400000_NS6detail17trampoline_kernelINS0_14default_configENS1_35adjacent_difference_config_selectorILb1EjEEZNS1_24adjacent_difference_implIS3_Lb1ELb0EPjS7_N6thrust23THRUST_200600_302600_NS4plusIjEEEE10hipError_tPvRmT2_T3_mT4_P12ihipStream_tbEUlT_E_NS1_11comp_targetILNS1_3genE5ELNS1_11target_archE942ELNS1_3gpuE9ELNS1_3repE0EEENS1_30default_config_static_selectorELNS0_4arch9wavefront6targetE1EEEvT1_, .Lfunc_end409-_ZN7rocprim17ROCPRIM_400000_NS6detail17trampoline_kernelINS0_14default_configENS1_35adjacent_difference_config_selectorILb1EjEEZNS1_24adjacent_difference_implIS3_Lb1ELb0EPjS7_N6thrust23THRUST_200600_302600_NS4plusIjEEEE10hipError_tPvRmT2_T3_mT4_P12ihipStream_tbEUlT_E_NS1_11comp_targetILNS1_3genE5ELNS1_11target_archE942ELNS1_3gpuE9ELNS1_3repE0EEENS1_30default_config_static_selectorELNS0_4arch9wavefront6targetE1EEEvT1_
                                        ; -- End function
	.section	.AMDGPU.csdata,"",@progbits
; Kernel info:
; codeLenInByte = 2004
; NumSgprs: 35
; NumVgprs: 26
; NumAgprs: 0
; TotalNumVgprs: 26
; ScratchSize: 0
; MemoryBound: 0
; FloatMode: 240
; IeeeMode: 1
; LDSByteSize: 10240 bytes/workgroup (compile time only)
; SGPRBlocks: 4
; VGPRBlocks: 3
; NumSGPRsForWavesPerEU: 35
; NumVGPRsForWavesPerEU: 26
; AccumOffset: 28
; Occupancy: 8
; WaveLimiterHint : 1
; COMPUTE_PGM_RSRC2:SCRATCH_EN: 0
; COMPUTE_PGM_RSRC2:USER_SGPR: 2
; COMPUTE_PGM_RSRC2:TRAP_HANDLER: 0
; COMPUTE_PGM_RSRC2:TGID_X_EN: 1
; COMPUTE_PGM_RSRC2:TGID_Y_EN: 0
; COMPUTE_PGM_RSRC2:TGID_Z_EN: 0
; COMPUTE_PGM_RSRC2:TIDIG_COMP_CNT: 0
; COMPUTE_PGM_RSRC3_GFX90A:ACCUM_OFFSET: 6
; COMPUTE_PGM_RSRC3_GFX90A:TG_SPLIT: 0
	.section	.text._ZN7rocprim17ROCPRIM_400000_NS6detail17trampoline_kernelINS0_14default_configENS1_35adjacent_difference_config_selectorILb1EjEEZNS1_24adjacent_difference_implIS3_Lb1ELb0EPjS7_N6thrust23THRUST_200600_302600_NS4plusIjEEEE10hipError_tPvRmT2_T3_mT4_P12ihipStream_tbEUlT_E_NS1_11comp_targetILNS1_3genE4ELNS1_11target_archE910ELNS1_3gpuE8ELNS1_3repE0EEENS1_30default_config_static_selectorELNS0_4arch9wavefront6targetE1EEEvT1_,"axG",@progbits,_ZN7rocprim17ROCPRIM_400000_NS6detail17trampoline_kernelINS0_14default_configENS1_35adjacent_difference_config_selectorILb1EjEEZNS1_24adjacent_difference_implIS3_Lb1ELb0EPjS7_N6thrust23THRUST_200600_302600_NS4plusIjEEEE10hipError_tPvRmT2_T3_mT4_P12ihipStream_tbEUlT_E_NS1_11comp_targetILNS1_3genE4ELNS1_11target_archE910ELNS1_3gpuE8ELNS1_3repE0EEENS1_30default_config_static_selectorELNS0_4arch9wavefront6targetE1EEEvT1_,comdat
	.protected	_ZN7rocprim17ROCPRIM_400000_NS6detail17trampoline_kernelINS0_14default_configENS1_35adjacent_difference_config_selectorILb1EjEEZNS1_24adjacent_difference_implIS3_Lb1ELb0EPjS7_N6thrust23THRUST_200600_302600_NS4plusIjEEEE10hipError_tPvRmT2_T3_mT4_P12ihipStream_tbEUlT_E_NS1_11comp_targetILNS1_3genE4ELNS1_11target_archE910ELNS1_3gpuE8ELNS1_3repE0EEENS1_30default_config_static_selectorELNS0_4arch9wavefront6targetE1EEEvT1_ ; -- Begin function _ZN7rocprim17ROCPRIM_400000_NS6detail17trampoline_kernelINS0_14default_configENS1_35adjacent_difference_config_selectorILb1EjEEZNS1_24adjacent_difference_implIS3_Lb1ELb0EPjS7_N6thrust23THRUST_200600_302600_NS4plusIjEEEE10hipError_tPvRmT2_T3_mT4_P12ihipStream_tbEUlT_E_NS1_11comp_targetILNS1_3genE4ELNS1_11target_archE910ELNS1_3gpuE8ELNS1_3repE0EEENS1_30default_config_static_selectorELNS0_4arch9wavefront6targetE1EEEvT1_
	.globl	_ZN7rocprim17ROCPRIM_400000_NS6detail17trampoline_kernelINS0_14default_configENS1_35adjacent_difference_config_selectorILb1EjEEZNS1_24adjacent_difference_implIS3_Lb1ELb0EPjS7_N6thrust23THRUST_200600_302600_NS4plusIjEEEE10hipError_tPvRmT2_T3_mT4_P12ihipStream_tbEUlT_E_NS1_11comp_targetILNS1_3genE4ELNS1_11target_archE910ELNS1_3gpuE8ELNS1_3repE0EEENS1_30default_config_static_selectorELNS0_4arch9wavefront6targetE1EEEvT1_
	.p2align	8
	.type	_ZN7rocprim17ROCPRIM_400000_NS6detail17trampoline_kernelINS0_14default_configENS1_35adjacent_difference_config_selectorILb1EjEEZNS1_24adjacent_difference_implIS3_Lb1ELb0EPjS7_N6thrust23THRUST_200600_302600_NS4plusIjEEEE10hipError_tPvRmT2_T3_mT4_P12ihipStream_tbEUlT_E_NS1_11comp_targetILNS1_3genE4ELNS1_11target_archE910ELNS1_3gpuE8ELNS1_3repE0EEENS1_30default_config_static_selectorELNS0_4arch9wavefront6targetE1EEEvT1_,@function
_ZN7rocprim17ROCPRIM_400000_NS6detail17trampoline_kernelINS0_14default_configENS1_35adjacent_difference_config_selectorILb1EjEEZNS1_24adjacent_difference_implIS3_Lb1ELb0EPjS7_N6thrust23THRUST_200600_302600_NS4plusIjEEEE10hipError_tPvRmT2_T3_mT4_P12ihipStream_tbEUlT_E_NS1_11comp_targetILNS1_3genE4ELNS1_11target_archE910ELNS1_3gpuE8ELNS1_3repE0EEENS1_30default_config_static_selectorELNS0_4arch9wavefront6targetE1EEEvT1_: ; @_ZN7rocprim17ROCPRIM_400000_NS6detail17trampoline_kernelINS0_14default_configENS1_35adjacent_difference_config_selectorILb1EjEEZNS1_24adjacent_difference_implIS3_Lb1ELb0EPjS7_N6thrust23THRUST_200600_302600_NS4plusIjEEEE10hipError_tPvRmT2_T3_mT4_P12ihipStream_tbEUlT_E_NS1_11comp_targetILNS1_3genE4ELNS1_11target_archE910ELNS1_3gpuE8ELNS1_3repE0EEENS1_30default_config_static_selectorELNS0_4arch9wavefront6targetE1EEEvT1_
; %bb.0:
	.section	.rodata,"a",@progbits
	.p2align	6, 0x0
	.amdhsa_kernel _ZN7rocprim17ROCPRIM_400000_NS6detail17trampoline_kernelINS0_14default_configENS1_35adjacent_difference_config_selectorILb1EjEEZNS1_24adjacent_difference_implIS3_Lb1ELb0EPjS7_N6thrust23THRUST_200600_302600_NS4plusIjEEEE10hipError_tPvRmT2_T3_mT4_P12ihipStream_tbEUlT_E_NS1_11comp_targetILNS1_3genE4ELNS1_11target_archE910ELNS1_3gpuE8ELNS1_3repE0EEENS1_30default_config_static_selectorELNS0_4arch9wavefront6targetE1EEEvT1_
		.amdhsa_group_segment_fixed_size 0
		.amdhsa_private_segment_fixed_size 0
		.amdhsa_kernarg_size 56
		.amdhsa_user_sgpr_count 2
		.amdhsa_user_sgpr_dispatch_ptr 0
		.amdhsa_user_sgpr_queue_ptr 0
		.amdhsa_user_sgpr_kernarg_segment_ptr 1
		.amdhsa_user_sgpr_dispatch_id 0
		.amdhsa_user_sgpr_kernarg_preload_length 0
		.amdhsa_user_sgpr_kernarg_preload_offset 0
		.amdhsa_user_sgpr_private_segment_size 0
		.amdhsa_uses_dynamic_stack 0
		.amdhsa_enable_private_segment 0
		.amdhsa_system_sgpr_workgroup_id_x 1
		.amdhsa_system_sgpr_workgroup_id_y 0
		.amdhsa_system_sgpr_workgroup_id_z 0
		.amdhsa_system_sgpr_workgroup_info 0
		.amdhsa_system_vgpr_workitem_id 0
		.amdhsa_next_free_vgpr 1
		.amdhsa_next_free_sgpr 0
		.amdhsa_accum_offset 4
		.amdhsa_reserve_vcc 0
		.amdhsa_float_round_mode_32 0
		.amdhsa_float_round_mode_16_64 0
		.amdhsa_float_denorm_mode_32 3
		.amdhsa_float_denorm_mode_16_64 3
		.amdhsa_dx10_clamp 1
		.amdhsa_ieee_mode 1
		.amdhsa_fp16_overflow 0
		.amdhsa_tg_split 0
		.amdhsa_exception_fp_ieee_invalid_op 0
		.amdhsa_exception_fp_denorm_src 0
		.amdhsa_exception_fp_ieee_div_zero 0
		.amdhsa_exception_fp_ieee_overflow 0
		.amdhsa_exception_fp_ieee_underflow 0
		.amdhsa_exception_fp_ieee_inexact 0
		.amdhsa_exception_int_div_zero 0
	.end_amdhsa_kernel
	.section	.text._ZN7rocprim17ROCPRIM_400000_NS6detail17trampoline_kernelINS0_14default_configENS1_35adjacent_difference_config_selectorILb1EjEEZNS1_24adjacent_difference_implIS3_Lb1ELb0EPjS7_N6thrust23THRUST_200600_302600_NS4plusIjEEEE10hipError_tPvRmT2_T3_mT4_P12ihipStream_tbEUlT_E_NS1_11comp_targetILNS1_3genE4ELNS1_11target_archE910ELNS1_3gpuE8ELNS1_3repE0EEENS1_30default_config_static_selectorELNS0_4arch9wavefront6targetE1EEEvT1_,"axG",@progbits,_ZN7rocprim17ROCPRIM_400000_NS6detail17trampoline_kernelINS0_14default_configENS1_35adjacent_difference_config_selectorILb1EjEEZNS1_24adjacent_difference_implIS3_Lb1ELb0EPjS7_N6thrust23THRUST_200600_302600_NS4plusIjEEEE10hipError_tPvRmT2_T3_mT4_P12ihipStream_tbEUlT_E_NS1_11comp_targetILNS1_3genE4ELNS1_11target_archE910ELNS1_3gpuE8ELNS1_3repE0EEENS1_30default_config_static_selectorELNS0_4arch9wavefront6targetE1EEEvT1_,comdat
.Lfunc_end410:
	.size	_ZN7rocprim17ROCPRIM_400000_NS6detail17trampoline_kernelINS0_14default_configENS1_35adjacent_difference_config_selectorILb1EjEEZNS1_24adjacent_difference_implIS3_Lb1ELb0EPjS7_N6thrust23THRUST_200600_302600_NS4plusIjEEEE10hipError_tPvRmT2_T3_mT4_P12ihipStream_tbEUlT_E_NS1_11comp_targetILNS1_3genE4ELNS1_11target_archE910ELNS1_3gpuE8ELNS1_3repE0EEENS1_30default_config_static_selectorELNS0_4arch9wavefront6targetE1EEEvT1_, .Lfunc_end410-_ZN7rocprim17ROCPRIM_400000_NS6detail17trampoline_kernelINS0_14default_configENS1_35adjacent_difference_config_selectorILb1EjEEZNS1_24adjacent_difference_implIS3_Lb1ELb0EPjS7_N6thrust23THRUST_200600_302600_NS4plusIjEEEE10hipError_tPvRmT2_T3_mT4_P12ihipStream_tbEUlT_E_NS1_11comp_targetILNS1_3genE4ELNS1_11target_archE910ELNS1_3gpuE8ELNS1_3repE0EEENS1_30default_config_static_selectorELNS0_4arch9wavefront6targetE1EEEvT1_
                                        ; -- End function
	.section	.AMDGPU.csdata,"",@progbits
; Kernel info:
; codeLenInByte = 0
; NumSgprs: 6
; NumVgprs: 0
; NumAgprs: 0
; TotalNumVgprs: 0
; ScratchSize: 0
; MemoryBound: 0
; FloatMode: 240
; IeeeMode: 1
; LDSByteSize: 0 bytes/workgroup (compile time only)
; SGPRBlocks: 0
; VGPRBlocks: 0
; NumSGPRsForWavesPerEU: 6
; NumVGPRsForWavesPerEU: 1
; AccumOffset: 4
; Occupancy: 8
; WaveLimiterHint : 0
; COMPUTE_PGM_RSRC2:SCRATCH_EN: 0
; COMPUTE_PGM_RSRC2:USER_SGPR: 2
; COMPUTE_PGM_RSRC2:TRAP_HANDLER: 0
; COMPUTE_PGM_RSRC2:TGID_X_EN: 1
; COMPUTE_PGM_RSRC2:TGID_Y_EN: 0
; COMPUTE_PGM_RSRC2:TGID_Z_EN: 0
; COMPUTE_PGM_RSRC2:TIDIG_COMP_CNT: 0
; COMPUTE_PGM_RSRC3_GFX90A:ACCUM_OFFSET: 0
; COMPUTE_PGM_RSRC3_GFX90A:TG_SPLIT: 0
	.section	.text._ZN7rocprim17ROCPRIM_400000_NS6detail17trampoline_kernelINS0_14default_configENS1_35adjacent_difference_config_selectorILb1EjEEZNS1_24adjacent_difference_implIS3_Lb1ELb0EPjS7_N6thrust23THRUST_200600_302600_NS4plusIjEEEE10hipError_tPvRmT2_T3_mT4_P12ihipStream_tbEUlT_E_NS1_11comp_targetILNS1_3genE3ELNS1_11target_archE908ELNS1_3gpuE7ELNS1_3repE0EEENS1_30default_config_static_selectorELNS0_4arch9wavefront6targetE1EEEvT1_,"axG",@progbits,_ZN7rocprim17ROCPRIM_400000_NS6detail17trampoline_kernelINS0_14default_configENS1_35adjacent_difference_config_selectorILb1EjEEZNS1_24adjacent_difference_implIS3_Lb1ELb0EPjS7_N6thrust23THRUST_200600_302600_NS4plusIjEEEE10hipError_tPvRmT2_T3_mT4_P12ihipStream_tbEUlT_E_NS1_11comp_targetILNS1_3genE3ELNS1_11target_archE908ELNS1_3gpuE7ELNS1_3repE0EEENS1_30default_config_static_selectorELNS0_4arch9wavefront6targetE1EEEvT1_,comdat
	.protected	_ZN7rocprim17ROCPRIM_400000_NS6detail17trampoline_kernelINS0_14default_configENS1_35adjacent_difference_config_selectorILb1EjEEZNS1_24adjacent_difference_implIS3_Lb1ELb0EPjS7_N6thrust23THRUST_200600_302600_NS4plusIjEEEE10hipError_tPvRmT2_T3_mT4_P12ihipStream_tbEUlT_E_NS1_11comp_targetILNS1_3genE3ELNS1_11target_archE908ELNS1_3gpuE7ELNS1_3repE0EEENS1_30default_config_static_selectorELNS0_4arch9wavefront6targetE1EEEvT1_ ; -- Begin function _ZN7rocprim17ROCPRIM_400000_NS6detail17trampoline_kernelINS0_14default_configENS1_35adjacent_difference_config_selectorILb1EjEEZNS1_24adjacent_difference_implIS3_Lb1ELb0EPjS7_N6thrust23THRUST_200600_302600_NS4plusIjEEEE10hipError_tPvRmT2_T3_mT4_P12ihipStream_tbEUlT_E_NS1_11comp_targetILNS1_3genE3ELNS1_11target_archE908ELNS1_3gpuE7ELNS1_3repE0EEENS1_30default_config_static_selectorELNS0_4arch9wavefront6targetE1EEEvT1_
	.globl	_ZN7rocprim17ROCPRIM_400000_NS6detail17trampoline_kernelINS0_14default_configENS1_35adjacent_difference_config_selectorILb1EjEEZNS1_24adjacent_difference_implIS3_Lb1ELb0EPjS7_N6thrust23THRUST_200600_302600_NS4plusIjEEEE10hipError_tPvRmT2_T3_mT4_P12ihipStream_tbEUlT_E_NS1_11comp_targetILNS1_3genE3ELNS1_11target_archE908ELNS1_3gpuE7ELNS1_3repE0EEENS1_30default_config_static_selectorELNS0_4arch9wavefront6targetE1EEEvT1_
	.p2align	8
	.type	_ZN7rocprim17ROCPRIM_400000_NS6detail17trampoline_kernelINS0_14default_configENS1_35adjacent_difference_config_selectorILb1EjEEZNS1_24adjacent_difference_implIS3_Lb1ELb0EPjS7_N6thrust23THRUST_200600_302600_NS4plusIjEEEE10hipError_tPvRmT2_T3_mT4_P12ihipStream_tbEUlT_E_NS1_11comp_targetILNS1_3genE3ELNS1_11target_archE908ELNS1_3gpuE7ELNS1_3repE0EEENS1_30default_config_static_selectorELNS0_4arch9wavefront6targetE1EEEvT1_,@function
_ZN7rocprim17ROCPRIM_400000_NS6detail17trampoline_kernelINS0_14default_configENS1_35adjacent_difference_config_selectorILb1EjEEZNS1_24adjacent_difference_implIS3_Lb1ELb0EPjS7_N6thrust23THRUST_200600_302600_NS4plusIjEEEE10hipError_tPvRmT2_T3_mT4_P12ihipStream_tbEUlT_E_NS1_11comp_targetILNS1_3genE3ELNS1_11target_archE908ELNS1_3gpuE7ELNS1_3repE0EEENS1_30default_config_static_selectorELNS0_4arch9wavefront6targetE1EEEvT1_: ; @_ZN7rocprim17ROCPRIM_400000_NS6detail17trampoline_kernelINS0_14default_configENS1_35adjacent_difference_config_selectorILb1EjEEZNS1_24adjacent_difference_implIS3_Lb1ELb0EPjS7_N6thrust23THRUST_200600_302600_NS4plusIjEEEE10hipError_tPvRmT2_T3_mT4_P12ihipStream_tbEUlT_E_NS1_11comp_targetILNS1_3genE3ELNS1_11target_archE908ELNS1_3gpuE7ELNS1_3repE0EEENS1_30default_config_static_selectorELNS0_4arch9wavefront6targetE1EEEvT1_
; %bb.0:
	.section	.rodata,"a",@progbits
	.p2align	6, 0x0
	.amdhsa_kernel _ZN7rocprim17ROCPRIM_400000_NS6detail17trampoline_kernelINS0_14default_configENS1_35adjacent_difference_config_selectorILb1EjEEZNS1_24adjacent_difference_implIS3_Lb1ELb0EPjS7_N6thrust23THRUST_200600_302600_NS4plusIjEEEE10hipError_tPvRmT2_T3_mT4_P12ihipStream_tbEUlT_E_NS1_11comp_targetILNS1_3genE3ELNS1_11target_archE908ELNS1_3gpuE7ELNS1_3repE0EEENS1_30default_config_static_selectorELNS0_4arch9wavefront6targetE1EEEvT1_
		.amdhsa_group_segment_fixed_size 0
		.amdhsa_private_segment_fixed_size 0
		.amdhsa_kernarg_size 56
		.amdhsa_user_sgpr_count 2
		.amdhsa_user_sgpr_dispatch_ptr 0
		.amdhsa_user_sgpr_queue_ptr 0
		.amdhsa_user_sgpr_kernarg_segment_ptr 1
		.amdhsa_user_sgpr_dispatch_id 0
		.amdhsa_user_sgpr_kernarg_preload_length 0
		.amdhsa_user_sgpr_kernarg_preload_offset 0
		.amdhsa_user_sgpr_private_segment_size 0
		.amdhsa_uses_dynamic_stack 0
		.amdhsa_enable_private_segment 0
		.amdhsa_system_sgpr_workgroup_id_x 1
		.amdhsa_system_sgpr_workgroup_id_y 0
		.amdhsa_system_sgpr_workgroup_id_z 0
		.amdhsa_system_sgpr_workgroup_info 0
		.amdhsa_system_vgpr_workitem_id 0
		.amdhsa_next_free_vgpr 1
		.amdhsa_next_free_sgpr 0
		.amdhsa_accum_offset 4
		.amdhsa_reserve_vcc 0
		.amdhsa_float_round_mode_32 0
		.amdhsa_float_round_mode_16_64 0
		.amdhsa_float_denorm_mode_32 3
		.amdhsa_float_denorm_mode_16_64 3
		.amdhsa_dx10_clamp 1
		.amdhsa_ieee_mode 1
		.amdhsa_fp16_overflow 0
		.amdhsa_tg_split 0
		.amdhsa_exception_fp_ieee_invalid_op 0
		.amdhsa_exception_fp_denorm_src 0
		.amdhsa_exception_fp_ieee_div_zero 0
		.amdhsa_exception_fp_ieee_overflow 0
		.amdhsa_exception_fp_ieee_underflow 0
		.amdhsa_exception_fp_ieee_inexact 0
		.amdhsa_exception_int_div_zero 0
	.end_amdhsa_kernel
	.section	.text._ZN7rocprim17ROCPRIM_400000_NS6detail17trampoline_kernelINS0_14default_configENS1_35adjacent_difference_config_selectorILb1EjEEZNS1_24adjacent_difference_implIS3_Lb1ELb0EPjS7_N6thrust23THRUST_200600_302600_NS4plusIjEEEE10hipError_tPvRmT2_T3_mT4_P12ihipStream_tbEUlT_E_NS1_11comp_targetILNS1_3genE3ELNS1_11target_archE908ELNS1_3gpuE7ELNS1_3repE0EEENS1_30default_config_static_selectorELNS0_4arch9wavefront6targetE1EEEvT1_,"axG",@progbits,_ZN7rocprim17ROCPRIM_400000_NS6detail17trampoline_kernelINS0_14default_configENS1_35adjacent_difference_config_selectorILb1EjEEZNS1_24adjacent_difference_implIS3_Lb1ELb0EPjS7_N6thrust23THRUST_200600_302600_NS4plusIjEEEE10hipError_tPvRmT2_T3_mT4_P12ihipStream_tbEUlT_E_NS1_11comp_targetILNS1_3genE3ELNS1_11target_archE908ELNS1_3gpuE7ELNS1_3repE0EEENS1_30default_config_static_selectorELNS0_4arch9wavefront6targetE1EEEvT1_,comdat
.Lfunc_end411:
	.size	_ZN7rocprim17ROCPRIM_400000_NS6detail17trampoline_kernelINS0_14default_configENS1_35adjacent_difference_config_selectorILb1EjEEZNS1_24adjacent_difference_implIS3_Lb1ELb0EPjS7_N6thrust23THRUST_200600_302600_NS4plusIjEEEE10hipError_tPvRmT2_T3_mT4_P12ihipStream_tbEUlT_E_NS1_11comp_targetILNS1_3genE3ELNS1_11target_archE908ELNS1_3gpuE7ELNS1_3repE0EEENS1_30default_config_static_selectorELNS0_4arch9wavefront6targetE1EEEvT1_, .Lfunc_end411-_ZN7rocprim17ROCPRIM_400000_NS6detail17trampoline_kernelINS0_14default_configENS1_35adjacent_difference_config_selectorILb1EjEEZNS1_24adjacent_difference_implIS3_Lb1ELb0EPjS7_N6thrust23THRUST_200600_302600_NS4plusIjEEEE10hipError_tPvRmT2_T3_mT4_P12ihipStream_tbEUlT_E_NS1_11comp_targetILNS1_3genE3ELNS1_11target_archE908ELNS1_3gpuE7ELNS1_3repE0EEENS1_30default_config_static_selectorELNS0_4arch9wavefront6targetE1EEEvT1_
                                        ; -- End function
	.section	.AMDGPU.csdata,"",@progbits
; Kernel info:
; codeLenInByte = 0
; NumSgprs: 6
; NumVgprs: 0
; NumAgprs: 0
; TotalNumVgprs: 0
; ScratchSize: 0
; MemoryBound: 0
; FloatMode: 240
; IeeeMode: 1
; LDSByteSize: 0 bytes/workgroup (compile time only)
; SGPRBlocks: 0
; VGPRBlocks: 0
; NumSGPRsForWavesPerEU: 6
; NumVGPRsForWavesPerEU: 1
; AccumOffset: 4
; Occupancy: 8
; WaveLimiterHint : 0
; COMPUTE_PGM_RSRC2:SCRATCH_EN: 0
; COMPUTE_PGM_RSRC2:USER_SGPR: 2
; COMPUTE_PGM_RSRC2:TRAP_HANDLER: 0
; COMPUTE_PGM_RSRC2:TGID_X_EN: 1
; COMPUTE_PGM_RSRC2:TGID_Y_EN: 0
; COMPUTE_PGM_RSRC2:TGID_Z_EN: 0
; COMPUTE_PGM_RSRC2:TIDIG_COMP_CNT: 0
; COMPUTE_PGM_RSRC3_GFX90A:ACCUM_OFFSET: 0
; COMPUTE_PGM_RSRC3_GFX90A:TG_SPLIT: 0
	.section	.text._ZN7rocprim17ROCPRIM_400000_NS6detail17trampoline_kernelINS0_14default_configENS1_35adjacent_difference_config_selectorILb1EjEEZNS1_24adjacent_difference_implIS3_Lb1ELb0EPjS7_N6thrust23THRUST_200600_302600_NS4plusIjEEEE10hipError_tPvRmT2_T3_mT4_P12ihipStream_tbEUlT_E_NS1_11comp_targetILNS1_3genE2ELNS1_11target_archE906ELNS1_3gpuE6ELNS1_3repE0EEENS1_30default_config_static_selectorELNS0_4arch9wavefront6targetE1EEEvT1_,"axG",@progbits,_ZN7rocprim17ROCPRIM_400000_NS6detail17trampoline_kernelINS0_14default_configENS1_35adjacent_difference_config_selectorILb1EjEEZNS1_24adjacent_difference_implIS3_Lb1ELb0EPjS7_N6thrust23THRUST_200600_302600_NS4plusIjEEEE10hipError_tPvRmT2_T3_mT4_P12ihipStream_tbEUlT_E_NS1_11comp_targetILNS1_3genE2ELNS1_11target_archE906ELNS1_3gpuE6ELNS1_3repE0EEENS1_30default_config_static_selectorELNS0_4arch9wavefront6targetE1EEEvT1_,comdat
	.protected	_ZN7rocprim17ROCPRIM_400000_NS6detail17trampoline_kernelINS0_14default_configENS1_35adjacent_difference_config_selectorILb1EjEEZNS1_24adjacent_difference_implIS3_Lb1ELb0EPjS7_N6thrust23THRUST_200600_302600_NS4plusIjEEEE10hipError_tPvRmT2_T3_mT4_P12ihipStream_tbEUlT_E_NS1_11comp_targetILNS1_3genE2ELNS1_11target_archE906ELNS1_3gpuE6ELNS1_3repE0EEENS1_30default_config_static_selectorELNS0_4arch9wavefront6targetE1EEEvT1_ ; -- Begin function _ZN7rocprim17ROCPRIM_400000_NS6detail17trampoline_kernelINS0_14default_configENS1_35adjacent_difference_config_selectorILb1EjEEZNS1_24adjacent_difference_implIS3_Lb1ELb0EPjS7_N6thrust23THRUST_200600_302600_NS4plusIjEEEE10hipError_tPvRmT2_T3_mT4_P12ihipStream_tbEUlT_E_NS1_11comp_targetILNS1_3genE2ELNS1_11target_archE906ELNS1_3gpuE6ELNS1_3repE0EEENS1_30default_config_static_selectorELNS0_4arch9wavefront6targetE1EEEvT1_
	.globl	_ZN7rocprim17ROCPRIM_400000_NS6detail17trampoline_kernelINS0_14default_configENS1_35adjacent_difference_config_selectorILb1EjEEZNS1_24adjacent_difference_implIS3_Lb1ELb0EPjS7_N6thrust23THRUST_200600_302600_NS4plusIjEEEE10hipError_tPvRmT2_T3_mT4_P12ihipStream_tbEUlT_E_NS1_11comp_targetILNS1_3genE2ELNS1_11target_archE906ELNS1_3gpuE6ELNS1_3repE0EEENS1_30default_config_static_selectorELNS0_4arch9wavefront6targetE1EEEvT1_
	.p2align	8
	.type	_ZN7rocprim17ROCPRIM_400000_NS6detail17trampoline_kernelINS0_14default_configENS1_35adjacent_difference_config_selectorILb1EjEEZNS1_24adjacent_difference_implIS3_Lb1ELb0EPjS7_N6thrust23THRUST_200600_302600_NS4plusIjEEEE10hipError_tPvRmT2_T3_mT4_P12ihipStream_tbEUlT_E_NS1_11comp_targetILNS1_3genE2ELNS1_11target_archE906ELNS1_3gpuE6ELNS1_3repE0EEENS1_30default_config_static_selectorELNS0_4arch9wavefront6targetE1EEEvT1_,@function
_ZN7rocprim17ROCPRIM_400000_NS6detail17trampoline_kernelINS0_14default_configENS1_35adjacent_difference_config_selectorILb1EjEEZNS1_24adjacent_difference_implIS3_Lb1ELb0EPjS7_N6thrust23THRUST_200600_302600_NS4plusIjEEEE10hipError_tPvRmT2_T3_mT4_P12ihipStream_tbEUlT_E_NS1_11comp_targetILNS1_3genE2ELNS1_11target_archE906ELNS1_3gpuE6ELNS1_3repE0EEENS1_30default_config_static_selectorELNS0_4arch9wavefront6targetE1EEEvT1_: ; @_ZN7rocprim17ROCPRIM_400000_NS6detail17trampoline_kernelINS0_14default_configENS1_35adjacent_difference_config_selectorILb1EjEEZNS1_24adjacent_difference_implIS3_Lb1ELb0EPjS7_N6thrust23THRUST_200600_302600_NS4plusIjEEEE10hipError_tPvRmT2_T3_mT4_P12ihipStream_tbEUlT_E_NS1_11comp_targetILNS1_3genE2ELNS1_11target_archE906ELNS1_3gpuE6ELNS1_3repE0EEENS1_30default_config_static_selectorELNS0_4arch9wavefront6targetE1EEEvT1_
; %bb.0:
	.section	.rodata,"a",@progbits
	.p2align	6, 0x0
	.amdhsa_kernel _ZN7rocprim17ROCPRIM_400000_NS6detail17trampoline_kernelINS0_14default_configENS1_35adjacent_difference_config_selectorILb1EjEEZNS1_24adjacent_difference_implIS3_Lb1ELb0EPjS7_N6thrust23THRUST_200600_302600_NS4plusIjEEEE10hipError_tPvRmT2_T3_mT4_P12ihipStream_tbEUlT_E_NS1_11comp_targetILNS1_3genE2ELNS1_11target_archE906ELNS1_3gpuE6ELNS1_3repE0EEENS1_30default_config_static_selectorELNS0_4arch9wavefront6targetE1EEEvT1_
		.amdhsa_group_segment_fixed_size 0
		.amdhsa_private_segment_fixed_size 0
		.amdhsa_kernarg_size 56
		.amdhsa_user_sgpr_count 2
		.amdhsa_user_sgpr_dispatch_ptr 0
		.amdhsa_user_sgpr_queue_ptr 0
		.amdhsa_user_sgpr_kernarg_segment_ptr 1
		.amdhsa_user_sgpr_dispatch_id 0
		.amdhsa_user_sgpr_kernarg_preload_length 0
		.amdhsa_user_sgpr_kernarg_preload_offset 0
		.amdhsa_user_sgpr_private_segment_size 0
		.amdhsa_uses_dynamic_stack 0
		.amdhsa_enable_private_segment 0
		.amdhsa_system_sgpr_workgroup_id_x 1
		.amdhsa_system_sgpr_workgroup_id_y 0
		.amdhsa_system_sgpr_workgroup_id_z 0
		.amdhsa_system_sgpr_workgroup_info 0
		.amdhsa_system_vgpr_workitem_id 0
		.amdhsa_next_free_vgpr 1
		.amdhsa_next_free_sgpr 0
		.amdhsa_accum_offset 4
		.amdhsa_reserve_vcc 0
		.amdhsa_float_round_mode_32 0
		.amdhsa_float_round_mode_16_64 0
		.amdhsa_float_denorm_mode_32 3
		.amdhsa_float_denorm_mode_16_64 3
		.amdhsa_dx10_clamp 1
		.amdhsa_ieee_mode 1
		.amdhsa_fp16_overflow 0
		.amdhsa_tg_split 0
		.amdhsa_exception_fp_ieee_invalid_op 0
		.amdhsa_exception_fp_denorm_src 0
		.amdhsa_exception_fp_ieee_div_zero 0
		.amdhsa_exception_fp_ieee_overflow 0
		.amdhsa_exception_fp_ieee_underflow 0
		.amdhsa_exception_fp_ieee_inexact 0
		.amdhsa_exception_int_div_zero 0
	.end_amdhsa_kernel
	.section	.text._ZN7rocprim17ROCPRIM_400000_NS6detail17trampoline_kernelINS0_14default_configENS1_35adjacent_difference_config_selectorILb1EjEEZNS1_24adjacent_difference_implIS3_Lb1ELb0EPjS7_N6thrust23THRUST_200600_302600_NS4plusIjEEEE10hipError_tPvRmT2_T3_mT4_P12ihipStream_tbEUlT_E_NS1_11comp_targetILNS1_3genE2ELNS1_11target_archE906ELNS1_3gpuE6ELNS1_3repE0EEENS1_30default_config_static_selectorELNS0_4arch9wavefront6targetE1EEEvT1_,"axG",@progbits,_ZN7rocprim17ROCPRIM_400000_NS6detail17trampoline_kernelINS0_14default_configENS1_35adjacent_difference_config_selectorILb1EjEEZNS1_24adjacent_difference_implIS3_Lb1ELb0EPjS7_N6thrust23THRUST_200600_302600_NS4plusIjEEEE10hipError_tPvRmT2_T3_mT4_P12ihipStream_tbEUlT_E_NS1_11comp_targetILNS1_3genE2ELNS1_11target_archE906ELNS1_3gpuE6ELNS1_3repE0EEENS1_30default_config_static_selectorELNS0_4arch9wavefront6targetE1EEEvT1_,comdat
.Lfunc_end412:
	.size	_ZN7rocprim17ROCPRIM_400000_NS6detail17trampoline_kernelINS0_14default_configENS1_35adjacent_difference_config_selectorILb1EjEEZNS1_24adjacent_difference_implIS3_Lb1ELb0EPjS7_N6thrust23THRUST_200600_302600_NS4plusIjEEEE10hipError_tPvRmT2_T3_mT4_P12ihipStream_tbEUlT_E_NS1_11comp_targetILNS1_3genE2ELNS1_11target_archE906ELNS1_3gpuE6ELNS1_3repE0EEENS1_30default_config_static_selectorELNS0_4arch9wavefront6targetE1EEEvT1_, .Lfunc_end412-_ZN7rocprim17ROCPRIM_400000_NS6detail17trampoline_kernelINS0_14default_configENS1_35adjacent_difference_config_selectorILb1EjEEZNS1_24adjacent_difference_implIS3_Lb1ELb0EPjS7_N6thrust23THRUST_200600_302600_NS4plusIjEEEE10hipError_tPvRmT2_T3_mT4_P12ihipStream_tbEUlT_E_NS1_11comp_targetILNS1_3genE2ELNS1_11target_archE906ELNS1_3gpuE6ELNS1_3repE0EEENS1_30default_config_static_selectorELNS0_4arch9wavefront6targetE1EEEvT1_
                                        ; -- End function
	.section	.AMDGPU.csdata,"",@progbits
; Kernel info:
; codeLenInByte = 0
; NumSgprs: 6
; NumVgprs: 0
; NumAgprs: 0
; TotalNumVgprs: 0
; ScratchSize: 0
; MemoryBound: 0
; FloatMode: 240
; IeeeMode: 1
; LDSByteSize: 0 bytes/workgroup (compile time only)
; SGPRBlocks: 0
; VGPRBlocks: 0
; NumSGPRsForWavesPerEU: 6
; NumVGPRsForWavesPerEU: 1
; AccumOffset: 4
; Occupancy: 8
; WaveLimiterHint : 0
; COMPUTE_PGM_RSRC2:SCRATCH_EN: 0
; COMPUTE_PGM_RSRC2:USER_SGPR: 2
; COMPUTE_PGM_RSRC2:TRAP_HANDLER: 0
; COMPUTE_PGM_RSRC2:TGID_X_EN: 1
; COMPUTE_PGM_RSRC2:TGID_Y_EN: 0
; COMPUTE_PGM_RSRC2:TGID_Z_EN: 0
; COMPUTE_PGM_RSRC2:TIDIG_COMP_CNT: 0
; COMPUTE_PGM_RSRC3_GFX90A:ACCUM_OFFSET: 0
; COMPUTE_PGM_RSRC3_GFX90A:TG_SPLIT: 0
	.section	.text._ZN7rocprim17ROCPRIM_400000_NS6detail17trampoline_kernelINS0_14default_configENS1_35adjacent_difference_config_selectorILb1EjEEZNS1_24adjacent_difference_implIS3_Lb1ELb0EPjS7_N6thrust23THRUST_200600_302600_NS4plusIjEEEE10hipError_tPvRmT2_T3_mT4_P12ihipStream_tbEUlT_E_NS1_11comp_targetILNS1_3genE9ELNS1_11target_archE1100ELNS1_3gpuE3ELNS1_3repE0EEENS1_30default_config_static_selectorELNS0_4arch9wavefront6targetE1EEEvT1_,"axG",@progbits,_ZN7rocprim17ROCPRIM_400000_NS6detail17trampoline_kernelINS0_14default_configENS1_35adjacent_difference_config_selectorILb1EjEEZNS1_24adjacent_difference_implIS3_Lb1ELb0EPjS7_N6thrust23THRUST_200600_302600_NS4plusIjEEEE10hipError_tPvRmT2_T3_mT4_P12ihipStream_tbEUlT_E_NS1_11comp_targetILNS1_3genE9ELNS1_11target_archE1100ELNS1_3gpuE3ELNS1_3repE0EEENS1_30default_config_static_selectorELNS0_4arch9wavefront6targetE1EEEvT1_,comdat
	.protected	_ZN7rocprim17ROCPRIM_400000_NS6detail17trampoline_kernelINS0_14default_configENS1_35adjacent_difference_config_selectorILb1EjEEZNS1_24adjacent_difference_implIS3_Lb1ELb0EPjS7_N6thrust23THRUST_200600_302600_NS4plusIjEEEE10hipError_tPvRmT2_T3_mT4_P12ihipStream_tbEUlT_E_NS1_11comp_targetILNS1_3genE9ELNS1_11target_archE1100ELNS1_3gpuE3ELNS1_3repE0EEENS1_30default_config_static_selectorELNS0_4arch9wavefront6targetE1EEEvT1_ ; -- Begin function _ZN7rocprim17ROCPRIM_400000_NS6detail17trampoline_kernelINS0_14default_configENS1_35adjacent_difference_config_selectorILb1EjEEZNS1_24adjacent_difference_implIS3_Lb1ELb0EPjS7_N6thrust23THRUST_200600_302600_NS4plusIjEEEE10hipError_tPvRmT2_T3_mT4_P12ihipStream_tbEUlT_E_NS1_11comp_targetILNS1_3genE9ELNS1_11target_archE1100ELNS1_3gpuE3ELNS1_3repE0EEENS1_30default_config_static_selectorELNS0_4arch9wavefront6targetE1EEEvT1_
	.globl	_ZN7rocprim17ROCPRIM_400000_NS6detail17trampoline_kernelINS0_14default_configENS1_35adjacent_difference_config_selectorILb1EjEEZNS1_24adjacent_difference_implIS3_Lb1ELb0EPjS7_N6thrust23THRUST_200600_302600_NS4plusIjEEEE10hipError_tPvRmT2_T3_mT4_P12ihipStream_tbEUlT_E_NS1_11comp_targetILNS1_3genE9ELNS1_11target_archE1100ELNS1_3gpuE3ELNS1_3repE0EEENS1_30default_config_static_selectorELNS0_4arch9wavefront6targetE1EEEvT1_
	.p2align	8
	.type	_ZN7rocprim17ROCPRIM_400000_NS6detail17trampoline_kernelINS0_14default_configENS1_35adjacent_difference_config_selectorILb1EjEEZNS1_24adjacent_difference_implIS3_Lb1ELb0EPjS7_N6thrust23THRUST_200600_302600_NS4plusIjEEEE10hipError_tPvRmT2_T3_mT4_P12ihipStream_tbEUlT_E_NS1_11comp_targetILNS1_3genE9ELNS1_11target_archE1100ELNS1_3gpuE3ELNS1_3repE0EEENS1_30default_config_static_selectorELNS0_4arch9wavefront6targetE1EEEvT1_,@function
_ZN7rocprim17ROCPRIM_400000_NS6detail17trampoline_kernelINS0_14default_configENS1_35adjacent_difference_config_selectorILb1EjEEZNS1_24adjacent_difference_implIS3_Lb1ELb0EPjS7_N6thrust23THRUST_200600_302600_NS4plusIjEEEE10hipError_tPvRmT2_T3_mT4_P12ihipStream_tbEUlT_E_NS1_11comp_targetILNS1_3genE9ELNS1_11target_archE1100ELNS1_3gpuE3ELNS1_3repE0EEENS1_30default_config_static_selectorELNS0_4arch9wavefront6targetE1EEEvT1_: ; @_ZN7rocprim17ROCPRIM_400000_NS6detail17trampoline_kernelINS0_14default_configENS1_35adjacent_difference_config_selectorILb1EjEEZNS1_24adjacent_difference_implIS3_Lb1ELb0EPjS7_N6thrust23THRUST_200600_302600_NS4plusIjEEEE10hipError_tPvRmT2_T3_mT4_P12ihipStream_tbEUlT_E_NS1_11comp_targetILNS1_3genE9ELNS1_11target_archE1100ELNS1_3gpuE3ELNS1_3repE0EEENS1_30default_config_static_selectorELNS0_4arch9wavefront6targetE1EEEvT1_
; %bb.0:
	.section	.rodata,"a",@progbits
	.p2align	6, 0x0
	.amdhsa_kernel _ZN7rocprim17ROCPRIM_400000_NS6detail17trampoline_kernelINS0_14default_configENS1_35adjacent_difference_config_selectorILb1EjEEZNS1_24adjacent_difference_implIS3_Lb1ELb0EPjS7_N6thrust23THRUST_200600_302600_NS4plusIjEEEE10hipError_tPvRmT2_T3_mT4_P12ihipStream_tbEUlT_E_NS1_11comp_targetILNS1_3genE9ELNS1_11target_archE1100ELNS1_3gpuE3ELNS1_3repE0EEENS1_30default_config_static_selectorELNS0_4arch9wavefront6targetE1EEEvT1_
		.amdhsa_group_segment_fixed_size 0
		.amdhsa_private_segment_fixed_size 0
		.amdhsa_kernarg_size 56
		.amdhsa_user_sgpr_count 2
		.amdhsa_user_sgpr_dispatch_ptr 0
		.amdhsa_user_sgpr_queue_ptr 0
		.amdhsa_user_sgpr_kernarg_segment_ptr 1
		.amdhsa_user_sgpr_dispatch_id 0
		.amdhsa_user_sgpr_kernarg_preload_length 0
		.amdhsa_user_sgpr_kernarg_preload_offset 0
		.amdhsa_user_sgpr_private_segment_size 0
		.amdhsa_uses_dynamic_stack 0
		.amdhsa_enable_private_segment 0
		.amdhsa_system_sgpr_workgroup_id_x 1
		.amdhsa_system_sgpr_workgroup_id_y 0
		.amdhsa_system_sgpr_workgroup_id_z 0
		.amdhsa_system_sgpr_workgroup_info 0
		.amdhsa_system_vgpr_workitem_id 0
		.amdhsa_next_free_vgpr 1
		.amdhsa_next_free_sgpr 0
		.amdhsa_accum_offset 4
		.amdhsa_reserve_vcc 0
		.amdhsa_float_round_mode_32 0
		.amdhsa_float_round_mode_16_64 0
		.amdhsa_float_denorm_mode_32 3
		.amdhsa_float_denorm_mode_16_64 3
		.amdhsa_dx10_clamp 1
		.amdhsa_ieee_mode 1
		.amdhsa_fp16_overflow 0
		.amdhsa_tg_split 0
		.amdhsa_exception_fp_ieee_invalid_op 0
		.amdhsa_exception_fp_denorm_src 0
		.amdhsa_exception_fp_ieee_div_zero 0
		.amdhsa_exception_fp_ieee_overflow 0
		.amdhsa_exception_fp_ieee_underflow 0
		.amdhsa_exception_fp_ieee_inexact 0
		.amdhsa_exception_int_div_zero 0
	.end_amdhsa_kernel
	.section	.text._ZN7rocprim17ROCPRIM_400000_NS6detail17trampoline_kernelINS0_14default_configENS1_35adjacent_difference_config_selectorILb1EjEEZNS1_24adjacent_difference_implIS3_Lb1ELb0EPjS7_N6thrust23THRUST_200600_302600_NS4plusIjEEEE10hipError_tPvRmT2_T3_mT4_P12ihipStream_tbEUlT_E_NS1_11comp_targetILNS1_3genE9ELNS1_11target_archE1100ELNS1_3gpuE3ELNS1_3repE0EEENS1_30default_config_static_selectorELNS0_4arch9wavefront6targetE1EEEvT1_,"axG",@progbits,_ZN7rocprim17ROCPRIM_400000_NS6detail17trampoline_kernelINS0_14default_configENS1_35adjacent_difference_config_selectorILb1EjEEZNS1_24adjacent_difference_implIS3_Lb1ELb0EPjS7_N6thrust23THRUST_200600_302600_NS4plusIjEEEE10hipError_tPvRmT2_T3_mT4_P12ihipStream_tbEUlT_E_NS1_11comp_targetILNS1_3genE9ELNS1_11target_archE1100ELNS1_3gpuE3ELNS1_3repE0EEENS1_30default_config_static_selectorELNS0_4arch9wavefront6targetE1EEEvT1_,comdat
.Lfunc_end413:
	.size	_ZN7rocprim17ROCPRIM_400000_NS6detail17trampoline_kernelINS0_14default_configENS1_35adjacent_difference_config_selectorILb1EjEEZNS1_24adjacent_difference_implIS3_Lb1ELb0EPjS7_N6thrust23THRUST_200600_302600_NS4plusIjEEEE10hipError_tPvRmT2_T3_mT4_P12ihipStream_tbEUlT_E_NS1_11comp_targetILNS1_3genE9ELNS1_11target_archE1100ELNS1_3gpuE3ELNS1_3repE0EEENS1_30default_config_static_selectorELNS0_4arch9wavefront6targetE1EEEvT1_, .Lfunc_end413-_ZN7rocprim17ROCPRIM_400000_NS6detail17trampoline_kernelINS0_14default_configENS1_35adjacent_difference_config_selectorILb1EjEEZNS1_24adjacent_difference_implIS3_Lb1ELb0EPjS7_N6thrust23THRUST_200600_302600_NS4plusIjEEEE10hipError_tPvRmT2_T3_mT4_P12ihipStream_tbEUlT_E_NS1_11comp_targetILNS1_3genE9ELNS1_11target_archE1100ELNS1_3gpuE3ELNS1_3repE0EEENS1_30default_config_static_selectorELNS0_4arch9wavefront6targetE1EEEvT1_
                                        ; -- End function
	.section	.AMDGPU.csdata,"",@progbits
; Kernel info:
; codeLenInByte = 0
; NumSgprs: 6
; NumVgprs: 0
; NumAgprs: 0
; TotalNumVgprs: 0
; ScratchSize: 0
; MemoryBound: 0
; FloatMode: 240
; IeeeMode: 1
; LDSByteSize: 0 bytes/workgroup (compile time only)
; SGPRBlocks: 0
; VGPRBlocks: 0
; NumSGPRsForWavesPerEU: 6
; NumVGPRsForWavesPerEU: 1
; AccumOffset: 4
; Occupancy: 8
; WaveLimiterHint : 0
; COMPUTE_PGM_RSRC2:SCRATCH_EN: 0
; COMPUTE_PGM_RSRC2:USER_SGPR: 2
; COMPUTE_PGM_RSRC2:TRAP_HANDLER: 0
; COMPUTE_PGM_RSRC2:TGID_X_EN: 1
; COMPUTE_PGM_RSRC2:TGID_Y_EN: 0
; COMPUTE_PGM_RSRC2:TGID_Z_EN: 0
; COMPUTE_PGM_RSRC2:TIDIG_COMP_CNT: 0
; COMPUTE_PGM_RSRC3_GFX90A:ACCUM_OFFSET: 0
; COMPUTE_PGM_RSRC3_GFX90A:TG_SPLIT: 0
	.section	.text._ZN7rocprim17ROCPRIM_400000_NS6detail17trampoline_kernelINS0_14default_configENS1_35adjacent_difference_config_selectorILb1EjEEZNS1_24adjacent_difference_implIS3_Lb1ELb0EPjS7_N6thrust23THRUST_200600_302600_NS4plusIjEEEE10hipError_tPvRmT2_T3_mT4_P12ihipStream_tbEUlT_E_NS1_11comp_targetILNS1_3genE8ELNS1_11target_archE1030ELNS1_3gpuE2ELNS1_3repE0EEENS1_30default_config_static_selectorELNS0_4arch9wavefront6targetE1EEEvT1_,"axG",@progbits,_ZN7rocprim17ROCPRIM_400000_NS6detail17trampoline_kernelINS0_14default_configENS1_35adjacent_difference_config_selectorILb1EjEEZNS1_24adjacent_difference_implIS3_Lb1ELb0EPjS7_N6thrust23THRUST_200600_302600_NS4plusIjEEEE10hipError_tPvRmT2_T3_mT4_P12ihipStream_tbEUlT_E_NS1_11comp_targetILNS1_3genE8ELNS1_11target_archE1030ELNS1_3gpuE2ELNS1_3repE0EEENS1_30default_config_static_selectorELNS0_4arch9wavefront6targetE1EEEvT1_,comdat
	.protected	_ZN7rocprim17ROCPRIM_400000_NS6detail17trampoline_kernelINS0_14default_configENS1_35adjacent_difference_config_selectorILb1EjEEZNS1_24adjacent_difference_implIS3_Lb1ELb0EPjS7_N6thrust23THRUST_200600_302600_NS4plusIjEEEE10hipError_tPvRmT2_T3_mT4_P12ihipStream_tbEUlT_E_NS1_11comp_targetILNS1_3genE8ELNS1_11target_archE1030ELNS1_3gpuE2ELNS1_3repE0EEENS1_30default_config_static_selectorELNS0_4arch9wavefront6targetE1EEEvT1_ ; -- Begin function _ZN7rocprim17ROCPRIM_400000_NS6detail17trampoline_kernelINS0_14default_configENS1_35adjacent_difference_config_selectorILb1EjEEZNS1_24adjacent_difference_implIS3_Lb1ELb0EPjS7_N6thrust23THRUST_200600_302600_NS4plusIjEEEE10hipError_tPvRmT2_T3_mT4_P12ihipStream_tbEUlT_E_NS1_11comp_targetILNS1_3genE8ELNS1_11target_archE1030ELNS1_3gpuE2ELNS1_3repE0EEENS1_30default_config_static_selectorELNS0_4arch9wavefront6targetE1EEEvT1_
	.globl	_ZN7rocprim17ROCPRIM_400000_NS6detail17trampoline_kernelINS0_14default_configENS1_35adjacent_difference_config_selectorILb1EjEEZNS1_24adjacent_difference_implIS3_Lb1ELb0EPjS7_N6thrust23THRUST_200600_302600_NS4plusIjEEEE10hipError_tPvRmT2_T3_mT4_P12ihipStream_tbEUlT_E_NS1_11comp_targetILNS1_3genE8ELNS1_11target_archE1030ELNS1_3gpuE2ELNS1_3repE0EEENS1_30default_config_static_selectorELNS0_4arch9wavefront6targetE1EEEvT1_
	.p2align	8
	.type	_ZN7rocprim17ROCPRIM_400000_NS6detail17trampoline_kernelINS0_14default_configENS1_35adjacent_difference_config_selectorILb1EjEEZNS1_24adjacent_difference_implIS3_Lb1ELb0EPjS7_N6thrust23THRUST_200600_302600_NS4plusIjEEEE10hipError_tPvRmT2_T3_mT4_P12ihipStream_tbEUlT_E_NS1_11comp_targetILNS1_3genE8ELNS1_11target_archE1030ELNS1_3gpuE2ELNS1_3repE0EEENS1_30default_config_static_selectorELNS0_4arch9wavefront6targetE1EEEvT1_,@function
_ZN7rocprim17ROCPRIM_400000_NS6detail17trampoline_kernelINS0_14default_configENS1_35adjacent_difference_config_selectorILb1EjEEZNS1_24adjacent_difference_implIS3_Lb1ELb0EPjS7_N6thrust23THRUST_200600_302600_NS4plusIjEEEE10hipError_tPvRmT2_T3_mT4_P12ihipStream_tbEUlT_E_NS1_11comp_targetILNS1_3genE8ELNS1_11target_archE1030ELNS1_3gpuE2ELNS1_3repE0EEENS1_30default_config_static_selectorELNS0_4arch9wavefront6targetE1EEEvT1_: ; @_ZN7rocprim17ROCPRIM_400000_NS6detail17trampoline_kernelINS0_14default_configENS1_35adjacent_difference_config_selectorILb1EjEEZNS1_24adjacent_difference_implIS3_Lb1ELb0EPjS7_N6thrust23THRUST_200600_302600_NS4plusIjEEEE10hipError_tPvRmT2_T3_mT4_P12ihipStream_tbEUlT_E_NS1_11comp_targetILNS1_3genE8ELNS1_11target_archE1030ELNS1_3gpuE2ELNS1_3repE0EEENS1_30default_config_static_selectorELNS0_4arch9wavefront6targetE1EEEvT1_
; %bb.0:
	.section	.rodata,"a",@progbits
	.p2align	6, 0x0
	.amdhsa_kernel _ZN7rocprim17ROCPRIM_400000_NS6detail17trampoline_kernelINS0_14default_configENS1_35adjacent_difference_config_selectorILb1EjEEZNS1_24adjacent_difference_implIS3_Lb1ELb0EPjS7_N6thrust23THRUST_200600_302600_NS4plusIjEEEE10hipError_tPvRmT2_T3_mT4_P12ihipStream_tbEUlT_E_NS1_11comp_targetILNS1_3genE8ELNS1_11target_archE1030ELNS1_3gpuE2ELNS1_3repE0EEENS1_30default_config_static_selectorELNS0_4arch9wavefront6targetE1EEEvT1_
		.amdhsa_group_segment_fixed_size 0
		.amdhsa_private_segment_fixed_size 0
		.amdhsa_kernarg_size 56
		.amdhsa_user_sgpr_count 2
		.amdhsa_user_sgpr_dispatch_ptr 0
		.amdhsa_user_sgpr_queue_ptr 0
		.amdhsa_user_sgpr_kernarg_segment_ptr 1
		.amdhsa_user_sgpr_dispatch_id 0
		.amdhsa_user_sgpr_kernarg_preload_length 0
		.amdhsa_user_sgpr_kernarg_preload_offset 0
		.amdhsa_user_sgpr_private_segment_size 0
		.amdhsa_uses_dynamic_stack 0
		.amdhsa_enable_private_segment 0
		.amdhsa_system_sgpr_workgroup_id_x 1
		.amdhsa_system_sgpr_workgroup_id_y 0
		.amdhsa_system_sgpr_workgroup_id_z 0
		.amdhsa_system_sgpr_workgroup_info 0
		.amdhsa_system_vgpr_workitem_id 0
		.amdhsa_next_free_vgpr 1
		.amdhsa_next_free_sgpr 0
		.amdhsa_accum_offset 4
		.amdhsa_reserve_vcc 0
		.amdhsa_float_round_mode_32 0
		.amdhsa_float_round_mode_16_64 0
		.amdhsa_float_denorm_mode_32 3
		.amdhsa_float_denorm_mode_16_64 3
		.amdhsa_dx10_clamp 1
		.amdhsa_ieee_mode 1
		.amdhsa_fp16_overflow 0
		.amdhsa_tg_split 0
		.amdhsa_exception_fp_ieee_invalid_op 0
		.amdhsa_exception_fp_denorm_src 0
		.amdhsa_exception_fp_ieee_div_zero 0
		.amdhsa_exception_fp_ieee_overflow 0
		.amdhsa_exception_fp_ieee_underflow 0
		.amdhsa_exception_fp_ieee_inexact 0
		.amdhsa_exception_int_div_zero 0
	.end_amdhsa_kernel
	.section	.text._ZN7rocprim17ROCPRIM_400000_NS6detail17trampoline_kernelINS0_14default_configENS1_35adjacent_difference_config_selectorILb1EjEEZNS1_24adjacent_difference_implIS3_Lb1ELb0EPjS7_N6thrust23THRUST_200600_302600_NS4plusIjEEEE10hipError_tPvRmT2_T3_mT4_P12ihipStream_tbEUlT_E_NS1_11comp_targetILNS1_3genE8ELNS1_11target_archE1030ELNS1_3gpuE2ELNS1_3repE0EEENS1_30default_config_static_selectorELNS0_4arch9wavefront6targetE1EEEvT1_,"axG",@progbits,_ZN7rocprim17ROCPRIM_400000_NS6detail17trampoline_kernelINS0_14default_configENS1_35adjacent_difference_config_selectorILb1EjEEZNS1_24adjacent_difference_implIS3_Lb1ELb0EPjS7_N6thrust23THRUST_200600_302600_NS4plusIjEEEE10hipError_tPvRmT2_T3_mT4_P12ihipStream_tbEUlT_E_NS1_11comp_targetILNS1_3genE8ELNS1_11target_archE1030ELNS1_3gpuE2ELNS1_3repE0EEENS1_30default_config_static_selectorELNS0_4arch9wavefront6targetE1EEEvT1_,comdat
.Lfunc_end414:
	.size	_ZN7rocprim17ROCPRIM_400000_NS6detail17trampoline_kernelINS0_14default_configENS1_35adjacent_difference_config_selectorILb1EjEEZNS1_24adjacent_difference_implIS3_Lb1ELb0EPjS7_N6thrust23THRUST_200600_302600_NS4plusIjEEEE10hipError_tPvRmT2_T3_mT4_P12ihipStream_tbEUlT_E_NS1_11comp_targetILNS1_3genE8ELNS1_11target_archE1030ELNS1_3gpuE2ELNS1_3repE0EEENS1_30default_config_static_selectorELNS0_4arch9wavefront6targetE1EEEvT1_, .Lfunc_end414-_ZN7rocprim17ROCPRIM_400000_NS6detail17trampoline_kernelINS0_14default_configENS1_35adjacent_difference_config_selectorILb1EjEEZNS1_24adjacent_difference_implIS3_Lb1ELb0EPjS7_N6thrust23THRUST_200600_302600_NS4plusIjEEEE10hipError_tPvRmT2_T3_mT4_P12ihipStream_tbEUlT_E_NS1_11comp_targetILNS1_3genE8ELNS1_11target_archE1030ELNS1_3gpuE2ELNS1_3repE0EEENS1_30default_config_static_selectorELNS0_4arch9wavefront6targetE1EEEvT1_
                                        ; -- End function
	.section	.AMDGPU.csdata,"",@progbits
; Kernel info:
; codeLenInByte = 0
; NumSgprs: 6
; NumVgprs: 0
; NumAgprs: 0
; TotalNumVgprs: 0
; ScratchSize: 0
; MemoryBound: 0
; FloatMode: 240
; IeeeMode: 1
; LDSByteSize: 0 bytes/workgroup (compile time only)
; SGPRBlocks: 0
; VGPRBlocks: 0
; NumSGPRsForWavesPerEU: 6
; NumVGPRsForWavesPerEU: 1
; AccumOffset: 4
; Occupancy: 8
; WaveLimiterHint : 0
; COMPUTE_PGM_RSRC2:SCRATCH_EN: 0
; COMPUTE_PGM_RSRC2:USER_SGPR: 2
; COMPUTE_PGM_RSRC2:TRAP_HANDLER: 0
; COMPUTE_PGM_RSRC2:TGID_X_EN: 1
; COMPUTE_PGM_RSRC2:TGID_Y_EN: 0
; COMPUTE_PGM_RSRC2:TGID_Z_EN: 0
; COMPUTE_PGM_RSRC2:TIDIG_COMP_CNT: 0
; COMPUTE_PGM_RSRC3_GFX90A:ACCUM_OFFSET: 0
; COMPUTE_PGM_RSRC3_GFX90A:TG_SPLIT: 0
	.section	.text._ZN6thrust23THRUST_200600_302600_NS11hip_rocprim14__parallel_for6kernelILj256ENS1_20__uninitialized_fill7functorINS0_10device_ptrIdEEdEEmLj1EEEvT0_T1_SA_,"axG",@progbits,_ZN6thrust23THRUST_200600_302600_NS11hip_rocprim14__parallel_for6kernelILj256ENS1_20__uninitialized_fill7functorINS0_10device_ptrIdEEdEEmLj1EEEvT0_T1_SA_,comdat
	.protected	_ZN6thrust23THRUST_200600_302600_NS11hip_rocprim14__parallel_for6kernelILj256ENS1_20__uninitialized_fill7functorINS0_10device_ptrIdEEdEEmLj1EEEvT0_T1_SA_ ; -- Begin function _ZN6thrust23THRUST_200600_302600_NS11hip_rocprim14__parallel_for6kernelILj256ENS1_20__uninitialized_fill7functorINS0_10device_ptrIdEEdEEmLj1EEEvT0_T1_SA_
	.globl	_ZN6thrust23THRUST_200600_302600_NS11hip_rocprim14__parallel_for6kernelILj256ENS1_20__uninitialized_fill7functorINS0_10device_ptrIdEEdEEmLj1EEEvT0_T1_SA_
	.p2align	8
	.type	_ZN6thrust23THRUST_200600_302600_NS11hip_rocprim14__parallel_for6kernelILj256ENS1_20__uninitialized_fill7functorINS0_10device_ptrIdEEdEEmLj1EEEvT0_T1_SA_,@function
_ZN6thrust23THRUST_200600_302600_NS11hip_rocprim14__parallel_for6kernelILj256ENS1_20__uninitialized_fill7functorINS0_10device_ptrIdEEdEEmLj1EEEvT0_T1_SA_: ; @_ZN6thrust23THRUST_200600_302600_NS11hip_rocprim14__parallel_for6kernelILj256ENS1_20__uninitialized_fill7functorINS0_10device_ptrIdEEdEEmLj1EEEvT0_T1_SA_
; %bb.0:
	s_load_dwordx8 s[4:11], s[0:1], 0x0
	s_lshl_b32 s0, s2, 8
	v_mov_b64_e32 v[2:3], 0x100
	s_waitcnt lgkmcnt(0)
	s_add_u32 s0, s0, s10
	s_addc_u32 s1, 0, s11
	s_sub_u32 s2, s8, s0
	s_subb_u32 s3, s9, s1
	v_cmp_lt_u64_e32 vcc, s[2:3], v[2:3]
	s_cbranch_vccz .LBB415_2
; %bb.1:
	v_cmp_gt_u32_e32 vcc, s2, v0
	s_and_b64 s[2:3], vcc, exec
	s_cbranch_execz .LBB415_3
	s_branch .LBB415_4
.LBB415_2:
	s_mov_b64 s[2:3], 0
.LBB415_3:
	s_or_b64 s[2:3], s[2:3], exec
.LBB415_4:
	s_and_saveexec_b64 s[8:9], s[2:3]
	s_cbranch_execnz .LBB415_6
; %bb.5:
	s_endpgm
.LBB415_6:
	s_lshl_b64 s[0:1], s[0:1], 3
	s_add_u32 s0, s4, s0
	v_mov_b32_e32 v1, 0
	s_addc_u32 s1, s5, s1
	v_mov_b32_e32 v2, s6
	v_mov_b32_e32 v3, s7
	v_lshl_add_u64 v[0:1], v[0:1], 3, s[0:1]
	flat_store_dwordx2 v[0:1], v[2:3]
	s_endpgm
	.section	.rodata,"a",@progbits
	.p2align	6, 0x0
	.amdhsa_kernel _ZN6thrust23THRUST_200600_302600_NS11hip_rocprim14__parallel_for6kernelILj256ENS1_20__uninitialized_fill7functorINS0_10device_ptrIdEEdEEmLj1EEEvT0_T1_SA_
		.amdhsa_group_segment_fixed_size 0
		.amdhsa_private_segment_fixed_size 0
		.amdhsa_kernarg_size 32
		.amdhsa_user_sgpr_count 2
		.amdhsa_user_sgpr_dispatch_ptr 0
		.amdhsa_user_sgpr_queue_ptr 0
		.amdhsa_user_sgpr_kernarg_segment_ptr 1
		.amdhsa_user_sgpr_dispatch_id 0
		.amdhsa_user_sgpr_kernarg_preload_length 0
		.amdhsa_user_sgpr_kernarg_preload_offset 0
		.amdhsa_user_sgpr_private_segment_size 0
		.amdhsa_uses_dynamic_stack 0
		.amdhsa_enable_private_segment 0
		.amdhsa_system_sgpr_workgroup_id_x 1
		.amdhsa_system_sgpr_workgroup_id_y 0
		.amdhsa_system_sgpr_workgroup_id_z 0
		.amdhsa_system_sgpr_workgroup_info 0
		.amdhsa_system_vgpr_workitem_id 0
		.amdhsa_next_free_vgpr 4
		.amdhsa_next_free_sgpr 12
		.amdhsa_accum_offset 4
		.amdhsa_reserve_vcc 1
		.amdhsa_float_round_mode_32 0
		.amdhsa_float_round_mode_16_64 0
		.amdhsa_float_denorm_mode_32 3
		.amdhsa_float_denorm_mode_16_64 3
		.amdhsa_dx10_clamp 1
		.amdhsa_ieee_mode 1
		.amdhsa_fp16_overflow 0
		.amdhsa_tg_split 0
		.amdhsa_exception_fp_ieee_invalid_op 0
		.amdhsa_exception_fp_denorm_src 0
		.amdhsa_exception_fp_ieee_div_zero 0
		.amdhsa_exception_fp_ieee_overflow 0
		.amdhsa_exception_fp_ieee_underflow 0
		.amdhsa_exception_fp_ieee_inexact 0
		.amdhsa_exception_int_div_zero 0
	.end_amdhsa_kernel
	.section	.text._ZN6thrust23THRUST_200600_302600_NS11hip_rocprim14__parallel_for6kernelILj256ENS1_20__uninitialized_fill7functorINS0_10device_ptrIdEEdEEmLj1EEEvT0_T1_SA_,"axG",@progbits,_ZN6thrust23THRUST_200600_302600_NS11hip_rocprim14__parallel_for6kernelILj256ENS1_20__uninitialized_fill7functorINS0_10device_ptrIdEEdEEmLj1EEEvT0_T1_SA_,comdat
.Lfunc_end415:
	.size	_ZN6thrust23THRUST_200600_302600_NS11hip_rocprim14__parallel_for6kernelILj256ENS1_20__uninitialized_fill7functorINS0_10device_ptrIdEEdEEmLj1EEEvT0_T1_SA_, .Lfunc_end415-_ZN6thrust23THRUST_200600_302600_NS11hip_rocprim14__parallel_for6kernelILj256ENS1_20__uninitialized_fill7functorINS0_10device_ptrIdEEdEEmLj1EEEvT0_T1_SA_
                                        ; -- End function
	.section	.AMDGPU.csdata,"",@progbits
; Kernel info:
; codeLenInByte = 128
; NumSgprs: 18
; NumVgprs: 4
; NumAgprs: 0
; TotalNumVgprs: 4
; ScratchSize: 0
; MemoryBound: 0
; FloatMode: 240
; IeeeMode: 1
; LDSByteSize: 0 bytes/workgroup (compile time only)
; SGPRBlocks: 2
; VGPRBlocks: 0
; NumSGPRsForWavesPerEU: 18
; NumVGPRsForWavesPerEU: 4
; AccumOffset: 4
; Occupancy: 8
; WaveLimiterHint : 0
; COMPUTE_PGM_RSRC2:SCRATCH_EN: 0
; COMPUTE_PGM_RSRC2:USER_SGPR: 2
; COMPUTE_PGM_RSRC2:TRAP_HANDLER: 0
; COMPUTE_PGM_RSRC2:TGID_X_EN: 1
; COMPUTE_PGM_RSRC2:TGID_Y_EN: 0
; COMPUTE_PGM_RSRC2:TGID_Z_EN: 0
; COMPUTE_PGM_RSRC2:TIDIG_COMP_CNT: 0
; COMPUTE_PGM_RSRC3_GFX90A:ACCUM_OFFSET: 0
; COMPUTE_PGM_RSRC3_GFX90A:TG_SPLIT: 0
	.section	.text._ZN7rocprim17ROCPRIM_400000_NS6detail17trampoline_kernelINS0_14default_configENS1_35adjacent_difference_config_selectorILb0EdEEZNS1_24adjacent_difference_implIS3_Lb0ELb0EPdS7_N6thrust23THRUST_200600_302600_NS5minusIdEEEE10hipError_tPvRmT2_T3_mT4_P12ihipStream_tbEUlT_E_NS1_11comp_targetILNS1_3genE0ELNS1_11target_archE4294967295ELNS1_3gpuE0ELNS1_3repE0EEENS1_30default_config_static_selectorELNS0_4arch9wavefront6targetE1EEEvT1_,"axG",@progbits,_ZN7rocprim17ROCPRIM_400000_NS6detail17trampoline_kernelINS0_14default_configENS1_35adjacent_difference_config_selectorILb0EdEEZNS1_24adjacent_difference_implIS3_Lb0ELb0EPdS7_N6thrust23THRUST_200600_302600_NS5minusIdEEEE10hipError_tPvRmT2_T3_mT4_P12ihipStream_tbEUlT_E_NS1_11comp_targetILNS1_3genE0ELNS1_11target_archE4294967295ELNS1_3gpuE0ELNS1_3repE0EEENS1_30default_config_static_selectorELNS0_4arch9wavefront6targetE1EEEvT1_,comdat
	.protected	_ZN7rocprim17ROCPRIM_400000_NS6detail17trampoline_kernelINS0_14default_configENS1_35adjacent_difference_config_selectorILb0EdEEZNS1_24adjacent_difference_implIS3_Lb0ELb0EPdS7_N6thrust23THRUST_200600_302600_NS5minusIdEEEE10hipError_tPvRmT2_T3_mT4_P12ihipStream_tbEUlT_E_NS1_11comp_targetILNS1_3genE0ELNS1_11target_archE4294967295ELNS1_3gpuE0ELNS1_3repE0EEENS1_30default_config_static_selectorELNS0_4arch9wavefront6targetE1EEEvT1_ ; -- Begin function _ZN7rocprim17ROCPRIM_400000_NS6detail17trampoline_kernelINS0_14default_configENS1_35adjacent_difference_config_selectorILb0EdEEZNS1_24adjacent_difference_implIS3_Lb0ELb0EPdS7_N6thrust23THRUST_200600_302600_NS5minusIdEEEE10hipError_tPvRmT2_T3_mT4_P12ihipStream_tbEUlT_E_NS1_11comp_targetILNS1_3genE0ELNS1_11target_archE4294967295ELNS1_3gpuE0ELNS1_3repE0EEENS1_30default_config_static_selectorELNS0_4arch9wavefront6targetE1EEEvT1_
	.globl	_ZN7rocprim17ROCPRIM_400000_NS6detail17trampoline_kernelINS0_14default_configENS1_35adjacent_difference_config_selectorILb0EdEEZNS1_24adjacent_difference_implIS3_Lb0ELb0EPdS7_N6thrust23THRUST_200600_302600_NS5minusIdEEEE10hipError_tPvRmT2_T3_mT4_P12ihipStream_tbEUlT_E_NS1_11comp_targetILNS1_3genE0ELNS1_11target_archE4294967295ELNS1_3gpuE0ELNS1_3repE0EEENS1_30default_config_static_selectorELNS0_4arch9wavefront6targetE1EEEvT1_
	.p2align	8
	.type	_ZN7rocprim17ROCPRIM_400000_NS6detail17trampoline_kernelINS0_14default_configENS1_35adjacent_difference_config_selectorILb0EdEEZNS1_24adjacent_difference_implIS3_Lb0ELb0EPdS7_N6thrust23THRUST_200600_302600_NS5minusIdEEEE10hipError_tPvRmT2_T3_mT4_P12ihipStream_tbEUlT_E_NS1_11comp_targetILNS1_3genE0ELNS1_11target_archE4294967295ELNS1_3gpuE0ELNS1_3repE0EEENS1_30default_config_static_selectorELNS0_4arch9wavefront6targetE1EEEvT1_,@function
_ZN7rocprim17ROCPRIM_400000_NS6detail17trampoline_kernelINS0_14default_configENS1_35adjacent_difference_config_selectorILb0EdEEZNS1_24adjacent_difference_implIS3_Lb0ELb0EPdS7_N6thrust23THRUST_200600_302600_NS5minusIdEEEE10hipError_tPvRmT2_T3_mT4_P12ihipStream_tbEUlT_E_NS1_11comp_targetILNS1_3genE0ELNS1_11target_archE4294967295ELNS1_3gpuE0ELNS1_3repE0EEENS1_30default_config_static_selectorELNS0_4arch9wavefront6targetE1EEEvT1_: ; @_ZN7rocprim17ROCPRIM_400000_NS6detail17trampoline_kernelINS0_14default_configENS1_35adjacent_difference_config_selectorILb0EdEEZNS1_24adjacent_difference_implIS3_Lb0ELb0EPdS7_N6thrust23THRUST_200600_302600_NS5minusIdEEEE10hipError_tPvRmT2_T3_mT4_P12ihipStream_tbEUlT_E_NS1_11comp_targetILNS1_3genE0ELNS1_11target_archE4294967295ELNS1_3gpuE0ELNS1_3repE0EEENS1_30default_config_static_selectorELNS0_4arch9wavefront6targetE1EEEvT1_
; %bb.0:
	.section	.rodata,"a",@progbits
	.p2align	6, 0x0
	.amdhsa_kernel _ZN7rocprim17ROCPRIM_400000_NS6detail17trampoline_kernelINS0_14default_configENS1_35adjacent_difference_config_selectorILb0EdEEZNS1_24adjacent_difference_implIS3_Lb0ELb0EPdS7_N6thrust23THRUST_200600_302600_NS5minusIdEEEE10hipError_tPvRmT2_T3_mT4_P12ihipStream_tbEUlT_E_NS1_11comp_targetILNS1_3genE0ELNS1_11target_archE4294967295ELNS1_3gpuE0ELNS1_3repE0EEENS1_30default_config_static_selectorELNS0_4arch9wavefront6targetE1EEEvT1_
		.amdhsa_group_segment_fixed_size 0
		.amdhsa_private_segment_fixed_size 0
		.amdhsa_kernarg_size 56
		.amdhsa_user_sgpr_count 2
		.amdhsa_user_sgpr_dispatch_ptr 0
		.amdhsa_user_sgpr_queue_ptr 0
		.amdhsa_user_sgpr_kernarg_segment_ptr 1
		.amdhsa_user_sgpr_dispatch_id 0
		.amdhsa_user_sgpr_kernarg_preload_length 0
		.amdhsa_user_sgpr_kernarg_preload_offset 0
		.amdhsa_user_sgpr_private_segment_size 0
		.amdhsa_uses_dynamic_stack 0
		.amdhsa_enable_private_segment 0
		.amdhsa_system_sgpr_workgroup_id_x 1
		.amdhsa_system_sgpr_workgroup_id_y 0
		.amdhsa_system_sgpr_workgroup_id_z 0
		.amdhsa_system_sgpr_workgroup_info 0
		.amdhsa_system_vgpr_workitem_id 0
		.amdhsa_next_free_vgpr 1
		.amdhsa_next_free_sgpr 0
		.amdhsa_accum_offset 4
		.amdhsa_reserve_vcc 0
		.amdhsa_float_round_mode_32 0
		.amdhsa_float_round_mode_16_64 0
		.amdhsa_float_denorm_mode_32 3
		.amdhsa_float_denorm_mode_16_64 3
		.amdhsa_dx10_clamp 1
		.amdhsa_ieee_mode 1
		.amdhsa_fp16_overflow 0
		.amdhsa_tg_split 0
		.amdhsa_exception_fp_ieee_invalid_op 0
		.amdhsa_exception_fp_denorm_src 0
		.amdhsa_exception_fp_ieee_div_zero 0
		.amdhsa_exception_fp_ieee_overflow 0
		.amdhsa_exception_fp_ieee_underflow 0
		.amdhsa_exception_fp_ieee_inexact 0
		.amdhsa_exception_int_div_zero 0
	.end_amdhsa_kernel
	.section	.text._ZN7rocprim17ROCPRIM_400000_NS6detail17trampoline_kernelINS0_14default_configENS1_35adjacent_difference_config_selectorILb0EdEEZNS1_24adjacent_difference_implIS3_Lb0ELb0EPdS7_N6thrust23THRUST_200600_302600_NS5minusIdEEEE10hipError_tPvRmT2_T3_mT4_P12ihipStream_tbEUlT_E_NS1_11comp_targetILNS1_3genE0ELNS1_11target_archE4294967295ELNS1_3gpuE0ELNS1_3repE0EEENS1_30default_config_static_selectorELNS0_4arch9wavefront6targetE1EEEvT1_,"axG",@progbits,_ZN7rocprim17ROCPRIM_400000_NS6detail17trampoline_kernelINS0_14default_configENS1_35adjacent_difference_config_selectorILb0EdEEZNS1_24adjacent_difference_implIS3_Lb0ELb0EPdS7_N6thrust23THRUST_200600_302600_NS5minusIdEEEE10hipError_tPvRmT2_T3_mT4_P12ihipStream_tbEUlT_E_NS1_11comp_targetILNS1_3genE0ELNS1_11target_archE4294967295ELNS1_3gpuE0ELNS1_3repE0EEENS1_30default_config_static_selectorELNS0_4arch9wavefront6targetE1EEEvT1_,comdat
.Lfunc_end416:
	.size	_ZN7rocprim17ROCPRIM_400000_NS6detail17trampoline_kernelINS0_14default_configENS1_35adjacent_difference_config_selectorILb0EdEEZNS1_24adjacent_difference_implIS3_Lb0ELb0EPdS7_N6thrust23THRUST_200600_302600_NS5minusIdEEEE10hipError_tPvRmT2_T3_mT4_P12ihipStream_tbEUlT_E_NS1_11comp_targetILNS1_3genE0ELNS1_11target_archE4294967295ELNS1_3gpuE0ELNS1_3repE0EEENS1_30default_config_static_selectorELNS0_4arch9wavefront6targetE1EEEvT1_, .Lfunc_end416-_ZN7rocprim17ROCPRIM_400000_NS6detail17trampoline_kernelINS0_14default_configENS1_35adjacent_difference_config_selectorILb0EdEEZNS1_24adjacent_difference_implIS3_Lb0ELb0EPdS7_N6thrust23THRUST_200600_302600_NS5minusIdEEEE10hipError_tPvRmT2_T3_mT4_P12ihipStream_tbEUlT_E_NS1_11comp_targetILNS1_3genE0ELNS1_11target_archE4294967295ELNS1_3gpuE0ELNS1_3repE0EEENS1_30default_config_static_selectorELNS0_4arch9wavefront6targetE1EEEvT1_
                                        ; -- End function
	.section	.AMDGPU.csdata,"",@progbits
; Kernel info:
; codeLenInByte = 0
; NumSgprs: 6
; NumVgprs: 0
; NumAgprs: 0
; TotalNumVgprs: 0
; ScratchSize: 0
; MemoryBound: 0
; FloatMode: 240
; IeeeMode: 1
; LDSByteSize: 0 bytes/workgroup (compile time only)
; SGPRBlocks: 0
; VGPRBlocks: 0
; NumSGPRsForWavesPerEU: 6
; NumVGPRsForWavesPerEU: 1
; AccumOffset: 4
; Occupancy: 8
; WaveLimiterHint : 0
; COMPUTE_PGM_RSRC2:SCRATCH_EN: 0
; COMPUTE_PGM_RSRC2:USER_SGPR: 2
; COMPUTE_PGM_RSRC2:TRAP_HANDLER: 0
; COMPUTE_PGM_RSRC2:TGID_X_EN: 1
; COMPUTE_PGM_RSRC2:TGID_Y_EN: 0
; COMPUTE_PGM_RSRC2:TGID_Z_EN: 0
; COMPUTE_PGM_RSRC2:TIDIG_COMP_CNT: 0
; COMPUTE_PGM_RSRC3_GFX90A:ACCUM_OFFSET: 0
; COMPUTE_PGM_RSRC3_GFX90A:TG_SPLIT: 0
	.section	.text._ZN7rocprim17ROCPRIM_400000_NS6detail17trampoline_kernelINS0_14default_configENS1_35adjacent_difference_config_selectorILb0EdEEZNS1_24adjacent_difference_implIS3_Lb0ELb0EPdS7_N6thrust23THRUST_200600_302600_NS5minusIdEEEE10hipError_tPvRmT2_T3_mT4_P12ihipStream_tbEUlT_E_NS1_11comp_targetILNS1_3genE10ELNS1_11target_archE1201ELNS1_3gpuE5ELNS1_3repE0EEENS1_30default_config_static_selectorELNS0_4arch9wavefront6targetE1EEEvT1_,"axG",@progbits,_ZN7rocprim17ROCPRIM_400000_NS6detail17trampoline_kernelINS0_14default_configENS1_35adjacent_difference_config_selectorILb0EdEEZNS1_24adjacent_difference_implIS3_Lb0ELb0EPdS7_N6thrust23THRUST_200600_302600_NS5minusIdEEEE10hipError_tPvRmT2_T3_mT4_P12ihipStream_tbEUlT_E_NS1_11comp_targetILNS1_3genE10ELNS1_11target_archE1201ELNS1_3gpuE5ELNS1_3repE0EEENS1_30default_config_static_selectorELNS0_4arch9wavefront6targetE1EEEvT1_,comdat
	.protected	_ZN7rocprim17ROCPRIM_400000_NS6detail17trampoline_kernelINS0_14default_configENS1_35adjacent_difference_config_selectorILb0EdEEZNS1_24adjacent_difference_implIS3_Lb0ELb0EPdS7_N6thrust23THRUST_200600_302600_NS5minusIdEEEE10hipError_tPvRmT2_T3_mT4_P12ihipStream_tbEUlT_E_NS1_11comp_targetILNS1_3genE10ELNS1_11target_archE1201ELNS1_3gpuE5ELNS1_3repE0EEENS1_30default_config_static_selectorELNS0_4arch9wavefront6targetE1EEEvT1_ ; -- Begin function _ZN7rocprim17ROCPRIM_400000_NS6detail17trampoline_kernelINS0_14default_configENS1_35adjacent_difference_config_selectorILb0EdEEZNS1_24adjacent_difference_implIS3_Lb0ELb0EPdS7_N6thrust23THRUST_200600_302600_NS5minusIdEEEE10hipError_tPvRmT2_T3_mT4_P12ihipStream_tbEUlT_E_NS1_11comp_targetILNS1_3genE10ELNS1_11target_archE1201ELNS1_3gpuE5ELNS1_3repE0EEENS1_30default_config_static_selectorELNS0_4arch9wavefront6targetE1EEEvT1_
	.globl	_ZN7rocprim17ROCPRIM_400000_NS6detail17trampoline_kernelINS0_14default_configENS1_35adjacent_difference_config_selectorILb0EdEEZNS1_24adjacent_difference_implIS3_Lb0ELb0EPdS7_N6thrust23THRUST_200600_302600_NS5minusIdEEEE10hipError_tPvRmT2_T3_mT4_P12ihipStream_tbEUlT_E_NS1_11comp_targetILNS1_3genE10ELNS1_11target_archE1201ELNS1_3gpuE5ELNS1_3repE0EEENS1_30default_config_static_selectorELNS0_4arch9wavefront6targetE1EEEvT1_
	.p2align	8
	.type	_ZN7rocprim17ROCPRIM_400000_NS6detail17trampoline_kernelINS0_14default_configENS1_35adjacent_difference_config_selectorILb0EdEEZNS1_24adjacent_difference_implIS3_Lb0ELb0EPdS7_N6thrust23THRUST_200600_302600_NS5minusIdEEEE10hipError_tPvRmT2_T3_mT4_P12ihipStream_tbEUlT_E_NS1_11comp_targetILNS1_3genE10ELNS1_11target_archE1201ELNS1_3gpuE5ELNS1_3repE0EEENS1_30default_config_static_selectorELNS0_4arch9wavefront6targetE1EEEvT1_,@function
_ZN7rocprim17ROCPRIM_400000_NS6detail17trampoline_kernelINS0_14default_configENS1_35adjacent_difference_config_selectorILb0EdEEZNS1_24adjacent_difference_implIS3_Lb0ELb0EPdS7_N6thrust23THRUST_200600_302600_NS5minusIdEEEE10hipError_tPvRmT2_T3_mT4_P12ihipStream_tbEUlT_E_NS1_11comp_targetILNS1_3genE10ELNS1_11target_archE1201ELNS1_3gpuE5ELNS1_3repE0EEENS1_30default_config_static_selectorELNS0_4arch9wavefront6targetE1EEEvT1_: ; @_ZN7rocprim17ROCPRIM_400000_NS6detail17trampoline_kernelINS0_14default_configENS1_35adjacent_difference_config_selectorILb0EdEEZNS1_24adjacent_difference_implIS3_Lb0ELb0EPdS7_N6thrust23THRUST_200600_302600_NS5minusIdEEEE10hipError_tPvRmT2_T3_mT4_P12ihipStream_tbEUlT_E_NS1_11comp_targetILNS1_3genE10ELNS1_11target_archE1201ELNS1_3gpuE5ELNS1_3repE0EEENS1_30default_config_static_selectorELNS0_4arch9wavefront6targetE1EEEvT1_
; %bb.0:
	.section	.rodata,"a",@progbits
	.p2align	6, 0x0
	.amdhsa_kernel _ZN7rocprim17ROCPRIM_400000_NS6detail17trampoline_kernelINS0_14default_configENS1_35adjacent_difference_config_selectorILb0EdEEZNS1_24adjacent_difference_implIS3_Lb0ELb0EPdS7_N6thrust23THRUST_200600_302600_NS5minusIdEEEE10hipError_tPvRmT2_T3_mT4_P12ihipStream_tbEUlT_E_NS1_11comp_targetILNS1_3genE10ELNS1_11target_archE1201ELNS1_3gpuE5ELNS1_3repE0EEENS1_30default_config_static_selectorELNS0_4arch9wavefront6targetE1EEEvT1_
		.amdhsa_group_segment_fixed_size 0
		.amdhsa_private_segment_fixed_size 0
		.amdhsa_kernarg_size 56
		.amdhsa_user_sgpr_count 2
		.amdhsa_user_sgpr_dispatch_ptr 0
		.amdhsa_user_sgpr_queue_ptr 0
		.amdhsa_user_sgpr_kernarg_segment_ptr 1
		.amdhsa_user_sgpr_dispatch_id 0
		.amdhsa_user_sgpr_kernarg_preload_length 0
		.amdhsa_user_sgpr_kernarg_preload_offset 0
		.amdhsa_user_sgpr_private_segment_size 0
		.amdhsa_uses_dynamic_stack 0
		.amdhsa_enable_private_segment 0
		.amdhsa_system_sgpr_workgroup_id_x 1
		.amdhsa_system_sgpr_workgroup_id_y 0
		.amdhsa_system_sgpr_workgroup_id_z 0
		.amdhsa_system_sgpr_workgroup_info 0
		.amdhsa_system_vgpr_workitem_id 0
		.amdhsa_next_free_vgpr 1
		.amdhsa_next_free_sgpr 0
		.amdhsa_accum_offset 4
		.amdhsa_reserve_vcc 0
		.amdhsa_float_round_mode_32 0
		.amdhsa_float_round_mode_16_64 0
		.amdhsa_float_denorm_mode_32 3
		.amdhsa_float_denorm_mode_16_64 3
		.amdhsa_dx10_clamp 1
		.amdhsa_ieee_mode 1
		.amdhsa_fp16_overflow 0
		.amdhsa_tg_split 0
		.amdhsa_exception_fp_ieee_invalid_op 0
		.amdhsa_exception_fp_denorm_src 0
		.amdhsa_exception_fp_ieee_div_zero 0
		.amdhsa_exception_fp_ieee_overflow 0
		.amdhsa_exception_fp_ieee_underflow 0
		.amdhsa_exception_fp_ieee_inexact 0
		.amdhsa_exception_int_div_zero 0
	.end_amdhsa_kernel
	.section	.text._ZN7rocprim17ROCPRIM_400000_NS6detail17trampoline_kernelINS0_14default_configENS1_35adjacent_difference_config_selectorILb0EdEEZNS1_24adjacent_difference_implIS3_Lb0ELb0EPdS7_N6thrust23THRUST_200600_302600_NS5minusIdEEEE10hipError_tPvRmT2_T3_mT4_P12ihipStream_tbEUlT_E_NS1_11comp_targetILNS1_3genE10ELNS1_11target_archE1201ELNS1_3gpuE5ELNS1_3repE0EEENS1_30default_config_static_selectorELNS0_4arch9wavefront6targetE1EEEvT1_,"axG",@progbits,_ZN7rocprim17ROCPRIM_400000_NS6detail17trampoline_kernelINS0_14default_configENS1_35adjacent_difference_config_selectorILb0EdEEZNS1_24adjacent_difference_implIS3_Lb0ELb0EPdS7_N6thrust23THRUST_200600_302600_NS5minusIdEEEE10hipError_tPvRmT2_T3_mT4_P12ihipStream_tbEUlT_E_NS1_11comp_targetILNS1_3genE10ELNS1_11target_archE1201ELNS1_3gpuE5ELNS1_3repE0EEENS1_30default_config_static_selectorELNS0_4arch9wavefront6targetE1EEEvT1_,comdat
.Lfunc_end417:
	.size	_ZN7rocprim17ROCPRIM_400000_NS6detail17trampoline_kernelINS0_14default_configENS1_35adjacent_difference_config_selectorILb0EdEEZNS1_24adjacent_difference_implIS3_Lb0ELb0EPdS7_N6thrust23THRUST_200600_302600_NS5minusIdEEEE10hipError_tPvRmT2_T3_mT4_P12ihipStream_tbEUlT_E_NS1_11comp_targetILNS1_3genE10ELNS1_11target_archE1201ELNS1_3gpuE5ELNS1_3repE0EEENS1_30default_config_static_selectorELNS0_4arch9wavefront6targetE1EEEvT1_, .Lfunc_end417-_ZN7rocprim17ROCPRIM_400000_NS6detail17trampoline_kernelINS0_14default_configENS1_35adjacent_difference_config_selectorILb0EdEEZNS1_24adjacent_difference_implIS3_Lb0ELb0EPdS7_N6thrust23THRUST_200600_302600_NS5minusIdEEEE10hipError_tPvRmT2_T3_mT4_P12ihipStream_tbEUlT_E_NS1_11comp_targetILNS1_3genE10ELNS1_11target_archE1201ELNS1_3gpuE5ELNS1_3repE0EEENS1_30default_config_static_selectorELNS0_4arch9wavefront6targetE1EEEvT1_
                                        ; -- End function
	.section	.AMDGPU.csdata,"",@progbits
; Kernel info:
; codeLenInByte = 0
; NumSgprs: 6
; NumVgprs: 0
; NumAgprs: 0
; TotalNumVgprs: 0
; ScratchSize: 0
; MemoryBound: 0
; FloatMode: 240
; IeeeMode: 1
; LDSByteSize: 0 bytes/workgroup (compile time only)
; SGPRBlocks: 0
; VGPRBlocks: 0
; NumSGPRsForWavesPerEU: 6
; NumVGPRsForWavesPerEU: 1
; AccumOffset: 4
; Occupancy: 8
; WaveLimiterHint : 0
; COMPUTE_PGM_RSRC2:SCRATCH_EN: 0
; COMPUTE_PGM_RSRC2:USER_SGPR: 2
; COMPUTE_PGM_RSRC2:TRAP_HANDLER: 0
; COMPUTE_PGM_RSRC2:TGID_X_EN: 1
; COMPUTE_PGM_RSRC2:TGID_Y_EN: 0
; COMPUTE_PGM_RSRC2:TGID_Z_EN: 0
; COMPUTE_PGM_RSRC2:TIDIG_COMP_CNT: 0
; COMPUTE_PGM_RSRC3_GFX90A:ACCUM_OFFSET: 0
; COMPUTE_PGM_RSRC3_GFX90A:TG_SPLIT: 0
	.section	.text._ZN7rocprim17ROCPRIM_400000_NS6detail17trampoline_kernelINS0_14default_configENS1_35adjacent_difference_config_selectorILb0EdEEZNS1_24adjacent_difference_implIS3_Lb0ELb0EPdS7_N6thrust23THRUST_200600_302600_NS5minusIdEEEE10hipError_tPvRmT2_T3_mT4_P12ihipStream_tbEUlT_E_NS1_11comp_targetILNS1_3genE5ELNS1_11target_archE942ELNS1_3gpuE9ELNS1_3repE0EEENS1_30default_config_static_selectorELNS0_4arch9wavefront6targetE1EEEvT1_,"axG",@progbits,_ZN7rocprim17ROCPRIM_400000_NS6detail17trampoline_kernelINS0_14default_configENS1_35adjacent_difference_config_selectorILb0EdEEZNS1_24adjacent_difference_implIS3_Lb0ELb0EPdS7_N6thrust23THRUST_200600_302600_NS5minusIdEEEE10hipError_tPvRmT2_T3_mT4_P12ihipStream_tbEUlT_E_NS1_11comp_targetILNS1_3genE5ELNS1_11target_archE942ELNS1_3gpuE9ELNS1_3repE0EEENS1_30default_config_static_selectorELNS0_4arch9wavefront6targetE1EEEvT1_,comdat
	.protected	_ZN7rocprim17ROCPRIM_400000_NS6detail17trampoline_kernelINS0_14default_configENS1_35adjacent_difference_config_selectorILb0EdEEZNS1_24adjacent_difference_implIS3_Lb0ELb0EPdS7_N6thrust23THRUST_200600_302600_NS5minusIdEEEE10hipError_tPvRmT2_T3_mT4_P12ihipStream_tbEUlT_E_NS1_11comp_targetILNS1_3genE5ELNS1_11target_archE942ELNS1_3gpuE9ELNS1_3repE0EEENS1_30default_config_static_selectorELNS0_4arch9wavefront6targetE1EEEvT1_ ; -- Begin function _ZN7rocprim17ROCPRIM_400000_NS6detail17trampoline_kernelINS0_14default_configENS1_35adjacent_difference_config_selectorILb0EdEEZNS1_24adjacent_difference_implIS3_Lb0ELb0EPdS7_N6thrust23THRUST_200600_302600_NS5minusIdEEEE10hipError_tPvRmT2_T3_mT4_P12ihipStream_tbEUlT_E_NS1_11comp_targetILNS1_3genE5ELNS1_11target_archE942ELNS1_3gpuE9ELNS1_3repE0EEENS1_30default_config_static_selectorELNS0_4arch9wavefront6targetE1EEEvT1_
	.globl	_ZN7rocprim17ROCPRIM_400000_NS6detail17trampoline_kernelINS0_14default_configENS1_35adjacent_difference_config_selectorILb0EdEEZNS1_24adjacent_difference_implIS3_Lb0ELb0EPdS7_N6thrust23THRUST_200600_302600_NS5minusIdEEEE10hipError_tPvRmT2_T3_mT4_P12ihipStream_tbEUlT_E_NS1_11comp_targetILNS1_3genE5ELNS1_11target_archE942ELNS1_3gpuE9ELNS1_3repE0EEENS1_30default_config_static_selectorELNS0_4arch9wavefront6targetE1EEEvT1_
	.p2align	8
	.type	_ZN7rocprim17ROCPRIM_400000_NS6detail17trampoline_kernelINS0_14default_configENS1_35adjacent_difference_config_selectorILb0EdEEZNS1_24adjacent_difference_implIS3_Lb0ELb0EPdS7_N6thrust23THRUST_200600_302600_NS5minusIdEEEE10hipError_tPvRmT2_T3_mT4_P12ihipStream_tbEUlT_E_NS1_11comp_targetILNS1_3genE5ELNS1_11target_archE942ELNS1_3gpuE9ELNS1_3repE0EEENS1_30default_config_static_selectorELNS0_4arch9wavefront6targetE1EEEvT1_,@function
_ZN7rocprim17ROCPRIM_400000_NS6detail17trampoline_kernelINS0_14default_configENS1_35adjacent_difference_config_selectorILb0EdEEZNS1_24adjacent_difference_implIS3_Lb0ELb0EPdS7_N6thrust23THRUST_200600_302600_NS5minusIdEEEE10hipError_tPvRmT2_T3_mT4_P12ihipStream_tbEUlT_E_NS1_11comp_targetILNS1_3genE5ELNS1_11target_archE942ELNS1_3gpuE9ELNS1_3repE0EEENS1_30default_config_static_selectorELNS0_4arch9wavefront6targetE1EEEvT1_: ; @_ZN7rocprim17ROCPRIM_400000_NS6detail17trampoline_kernelINS0_14default_configENS1_35adjacent_difference_config_selectorILb0EdEEZNS1_24adjacent_difference_implIS3_Lb0ELb0EPdS7_N6thrust23THRUST_200600_302600_NS5minusIdEEEE10hipError_tPvRmT2_T3_mT4_P12ihipStream_tbEUlT_E_NS1_11comp_targetILNS1_3genE5ELNS1_11target_archE942ELNS1_3gpuE9ELNS1_3repE0EEENS1_30default_config_static_selectorELNS0_4arch9wavefront6targetE1EEEvT1_
; %bb.0:
	s_load_dwordx8 s[4:11], s[0:1], 0x0
	s_mov_b32 s12, 0xcec4e8e0
	v_bfrev_b32_e32 v1, 1
	s_movk_i32 s3, 0x340
	s_load_dwordx2 s[0:1], s[0:1], 0x30
	s_waitcnt lgkmcnt(0)
	s_lshl_b64 s[6:7], s[6:7], 3
	s_add_u32 s20, s4, s6
	s_addc_u32 s21, s5, s7
	s_add_u32 s12, 0x150, s12
	s_addc_u32 s13, 0, 0
	v_add_co_u32_e32 v1, vcc, s12, v1
	s_cmp_lg_u64 vcc, 0
	v_readfirstlane_b32 s14, v1
	s_addc_u32 s12, s13, 0x4ec4eb
	s_mul_hi_u32 s15, s14, 0xfffffcc0
	s_mul_i32 s13, s12, 0xfffffcc0
	s_sub_i32 s15, s15, s14
	s_add_i32 s15, s15, s13
	s_mul_i32 s17, s14, 0xfffffcc0
	s_mul_hi_u32 s13, s14, s15
	s_mul_i32 s16, s14, s15
	s_mul_hi_u32 s14, s14, s17
	s_add_u32 s14, s14, s16
	s_addc_u32 s13, 0, s13
	s_mul_hi_u32 s18, s12, s17
	s_mul_i32 s17, s12, s17
	s_add_u32 s14, s14, s17
	s_mul_hi_u32 s16, s12, s15
	s_addc_u32 s13, s13, s18
	s_addc_u32 s14, s16, 0
	s_mul_i32 s15, s12, s15
	s_add_u32 s13, s13, s15
	s_addc_u32 s14, 0, s14
	v_add_co_u32_e32 v1, vcc, s13, v1
	s_cmp_lg_u64 vcc, 0
	s_addc_u32 s12, s12, s14
	v_readfirstlane_b32 s15, v1
	s_mul_i32 s14, s10, s12
	s_mul_hi_u32 s16, s10, s15
	s_mul_hi_u32 s13, s10, s12
	s_add_u32 s14, s16, s14
	s_addc_u32 s13, 0, s13
	s_mul_hi_u32 s17, s11, s15
	s_mul_i32 s15, s11, s15
	s_add_u32 s14, s14, s15
	s_mul_hi_u32 s16, s11, s12
	s_addc_u32 s13, s13, s17
	s_addc_u32 s14, s16, 0
	s_mul_i32 s12, s11, s12
	s_add_u32 s12, s13, s12
	s_addc_u32 s13, 0, s14
	s_add_u32 s14, s12, 1
	s_addc_u32 s15, s13, 0
	s_add_u32 s16, s12, 2
	s_mul_i32 s18, s13, 0x340
	s_mul_hi_u32 s19, s12, 0x340
	s_addc_u32 s17, s13, 0
	s_add_i32 s19, s19, s18
	s_mul_i32 s18, s12, 0x340
	v_mov_b32_e32 v1, s18
	v_sub_co_u32_e32 v1, vcc, s10, v1
	s_cmp_lg_u64 vcc, 0
	s_subb_u32 s18, s11, s19
	v_subrev_co_u32_e32 v2, vcc, s3, v1
	s_cmp_lg_u64 vcc, 0
	s_subb_u32 s3, s18, 0
	v_readfirstlane_b32 s19, v2
	s_cmpk_gt_u32 s19, 0x33f
	s_cselect_b32 s19, -1, 0
	s_cmp_eq_u32 s3, 0
	s_cselect_b32 s3, s19, -1
	s_cmp_lg_u32 s3, 0
	s_cselect_b32 s3, s16, s14
	s_cselect_b32 s14, s17, s15
	v_readfirstlane_b32 s15, v1
	s_cmpk_gt_u32 s15, 0x33f
	s_cselect_b32 s15, -1, 0
	s_cmp_eq_u32 s18, 0
	s_cselect_b32 s15, s15, -1
	s_cmp_lg_u32 s15, 0
	s_cselect_b32 s14, s14, s13
	s_cselect_b32 s3, s3, s12
	s_mul_i32 s12, s14, 0x340
	s_mul_hi_u32 s13, s3, 0x340
	s_add_i32 s13, s13, s12
	s_mul_i32 s12, s3, 0x340
	s_sub_u32 s12, s10, s12
	s_subb_u32 s13, s11, s13
	s_cmp_lg_u64 s[12:13], 0
	s_cselect_b64 s[12:13], -1, 0
	v_cndmask_b32_e64 v1, 0, 1, s[12:13]
	s_mul_i32 s4, s2, 0x340
	v_readfirstlane_b32 s11, v1
	s_add_u32 s12, s3, s11
	s_addc_u32 s13, s14, 0
	s_add_u32 s2, s0, s2
	s_addc_u32 s3, s1, 0
	s_add_u32 s14, s12, -1
	s_addc_u32 s15, s13, -1
	v_mov_b64_e32 v[2:3], s[14:15]
	v_cmp_ge_u64_e64 s[0:1], s[2:3], v[2:3]
	s_mov_b32 s5, 0
	s_mov_b64 s[16:17], -1
	s_and_b64 vcc, exec, s[0:1]
	s_mul_i32 s11, s14, 0xfffffcc0
	s_cbranch_vccz .LBB418_28
; %bb.1:
	s_add_i32 s22, s11, s10
	s_lshl_b64 s[16:17], s[4:5], 3
	s_add_u32 s16, s20, s16
	s_addc_u32 s17, s21, s17
	v_cmp_gt_u32_e32 vcc, s22, v0
                                        ; implicit-def: $vgpr2_vgpr3_vgpr4_vgpr5_vgpr6_vgpr7_vgpr8_vgpr9_vgpr10_vgpr11_vgpr12_vgpr13_vgpr14_vgpr15_vgpr16_vgpr17_vgpr18_vgpr19_vgpr20_vgpr21_vgpr22_vgpr23_vgpr24_vgpr25_vgpr26_vgpr27_vgpr28_vgpr29_vgpr30_vgpr31_vgpr32_vgpr33
	s_and_saveexec_b64 s[18:19], vcc
	s_cbranch_execz .LBB418_3
; %bb.2:
	v_lshlrev_b32_e32 v1, 3, v0
	global_load_dwordx2 v[2:3], v1, s[16:17]
.LBB418_3:
	s_or_b64 exec, exec, s[18:19]
	v_or_b32_e32 v1, 64, v0
	v_cmp_gt_u32_e32 vcc, s22, v1
	s_and_saveexec_b64 s[18:19], vcc
	s_cbranch_execz .LBB418_5
; %bb.4:
	v_lshlrev_b32_e32 v1, 3, v0
	global_load_dwordx2 v[4:5], v1, s[16:17] offset:512
.LBB418_5:
	s_or_b64 exec, exec, s[18:19]
	v_or_b32_e32 v1, 0x80, v0
	v_cmp_gt_u32_e32 vcc, s22, v1
	s_and_saveexec_b64 s[18:19], vcc
	s_cbranch_execz .LBB418_7
; %bb.6:
	v_lshlrev_b32_e32 v1, 3, v0
	global_load_dwordx2 v[6:7], v1, s[16:17] offset:1024
.LBB418_7:
	;; [unrolled: 9-line block ×7, first 2 shown]
	s_or_b64 exec, exec, s[18:19]
	v_or_b32_e32 v1, 0x200, v0
	v_cmp_gt_u32_e32 vcc, s22, v1
	s_and_saveexec_b64 s[18:19], vcc
	s_cbranch_execz .LBB418_19
; %bb.18:
	v_lshlrev_b32_e32 v1, 3, v1
	global_load_dwordx2 v[18:19], v1, s[16:17]
.LBB418_19:
	s_or_b64 exec, exec, s[18:19]
	v_or_b32_e32 v1, 0x240, v0
	v_cmp_gt_u32_e32 vcc, s22, v1
	s_and_saveexec_b64 s[18:19], vcc
	s_cbranch_execz .LBB418_21
; %bb.20:
	v_lshlrev_b32_e32 v1, 3, v1
	global_load_dwordx2 v[20:21], v1, s[16:17]
.LBB418_21:
	;; [unrolled: 9-line block ×5, first 2 shown]
	s_or_b64 exec, exec, s[18:19]
	v_lshlrev_b32_e32 v1, 3, v0
	s_mov_b64 s[16:17], 0
	s_waitcnt vmcnt(0)
	ds_write2st64_b64 v1, v[2:3], v[4:5] offset1:1
	ds_write2st64_b64 v1, v[6:7], v[8:9] offset0:2 offset1:3
	ds_write2st64_b64 v1, v[10:11], v[12:13] offset0:4 offset1:5
	;; [unrolled: 1-line block ×5, first 2 shown]
	ds_write_b64 v1, v[26:27] offset:6144
	s_waitcnt lgkmcnt(0)
	; wave barrier
.LBB418_28:
	s_and_b64 vcc, exec, s[16:17]
	v_lshlrev_b32_e32 v52, 3, v0
	s_cbranch_vccz .LBB418_30
; %bb.29:
	s_lshl_b64 s[16:17], s[4:5], 3
	s_add_u32 s16, s20, s16
	s_addc_u32 s17, s21, s17
	v_mov_b32_e32 v53, 0
	v_lshl_add_u64 v[2:3], s[16:17], 0, v[52:53]
	s_movk_i32 s5, 0x1000
	v_add_co_u32_e32 v2, vcc, s5, v2
	global_load_dwordx2 v[4:5], v52, s[16:17]
	global_load_dwordx2 v[6:7], v52, s[16:17] offset:512
	global_load_dwordx2 v[8:9], v52, s[16:17] offset:1024
	;; [unrolled: 1-line block ×7, first 2 shown]
	v_addc_co_u32_e32 v3, vcc, 0, v3, vcc
	global_load_dwordx2 v[20:21], v[2:3], off
	global_load_dwordx2 v[22:23], v[2:3], off offset:512
	global_load_dwordx2 v[24:25], v[2:3], off offset:1024
	;; [unrolled: 1-line block ×4, first 2 shown]
	s_waitcnt vmcnt(11)
	ds_write2st64_b64 v52, v[4:5], v[6:7] offset1:1
	s_waitcnt vmcnt(9)
	ds_write2st64_b64 v52, v[8:9], v[10:11] offset0:2 offset1:3
	s_waitcnt vmcnt(7)
	ds_write2st64_b64 v52, v[12:13], v[14:15] offset0:4 offset1:5
	;; [unrolled: 2-line block ×5, first 2 shown]
	s_waitcnt vmcnt(0)
	ds_write_b64 v52, v[28:29] offset:6144
	s_waitcnt lgkmcnt(0)
	; wave barrier
.LBB418_30:
	v_mul_u32_u24_e32 v1, 13, v0
	v_lshlrev_b32_e32 v1, 3, v1
	s_waitcnt lgkmcnt(0)
	ds_read2_b64 v[24:27], v1 offset1:1
	ds_read2_b64 v[32:35], v1 offset0:2 offset1:3
	ds_read2_b64 v[36:39], v1 offset0:4 offset1:5
	;; [unrolled: 1-line block ×5, first 2 shown]
	ds_read_b64 v[66:67], v1 offset:96
	s_cmp_eq_u64 s[2:3], 0
	s_waitcnt lgkmcnt(0)
	; wave barrier
	s_waitcnt lgkmcnt(0)
	s_cbranch_scc1 .LBB418_35
; %bb.31:
	s_mov_b32 s5, 0
	s_lshl_b64 s[16:17], s[4:5], 3
	s_add_u32 s5, s20, s16
	s_addc_u32 s17, s21, s17
	s_add_u32 s16, s5, -8
	s_addc_u32 s17, s17, -1
	s_load_dwordx2 s[16:17], s[16:17], 0x0
	s_cmp_eq_u64 s[2:3], s[14:15]
	s_cbranch_scc1 .LBB418_36
; %bb.32:
	v_cmp_ne_u32_e32 vcc, 0, v0
	s_waitcnt lgkmcnt(0)
	v_mov_b64_e32 v[4:5], s[16:17]
	ds_write_b64 v52, v[66:67]
	s_waitcnt lgkmcnt(0)
	; wave barrier
	s_waitcnt lgkmcnt(0)
	s_and_saveexec_b64 s[14:15], vcc
	s_cbranch_execz .LBB418_34
; %bb.33:
	v_add_u32_e32 v1, -8, v52
	ds_read_b64 v[4:5], v1
.LBB418_34:
	s_or_b64 exec, exec, s[14:15]
	v_add_f64 v[54:55], v[66:67], -v[50:51]
	v_add_f64 v[56:57], v[50:51], -v[48:49]
	;; [unrolled: 1-line block ×12, first 2 shown]
	s_waitcnt lgkmcnt(0)
	v_add_f64 v[28:29], v[24:25], -v[4:5]
	s_branch .LBB418_40
.LBB418_35:
                                        ; implicit-def: $vgpr2_vgpr3_vgpr4_vgpr5
                                        ; implicit-def: $vgpr54_vgpr55
                                        ; implicit-def: $vgpr56_vgpr57
                                        ; implicit-def: $vgpr28_vgpr29
                                        ; implicit-def: $vgpr64_vgpr65
                                        ; implicit-def: $vgpr62_vgpr63
                                        ; implicit-def: $vgpr60_vgpr61
                                        ; implicit-def: $vgpr58_vgpr59
                                        ; implicit-def: $vgpr4_vgpr5_vgpr6_vgpr7
                                        ; implicit-def: $vgpr8_vgpr9_vgpr10_vgpr11
                                        ; implicit-def: $vgpr12_vgpr13_vgpr14_vgpr15
                                        ; implicit-def: $vgpr16_vgpr17_vgpr18_vgpr19
                                        ; implicit-def: $vgpr20_vgpr21_vgpr22_vgpr23
	s_branch .LBB418_41
.LBB418_36:
                                        ; implicit-def: $vgpr2_vgpr3_vgpr4_vgpr5
                                        ; implicit-def: $vgpr54_vgpr55
                                        ; implicit-def: $vgpr56_vgpr57
                                        ; implicit-def: $vgpr28_vgpr29
                                        ; implicit-def: $vgpr64_vgpr65
                                        ; implicit-def: $vgpr62_vgpr63
                                        ; implicit-def: $vgpr60_vgpr61
                                        ; implicit-def: $vgpr58_vgpr59
                                        ; implicit-def: $vgpr4_vgpr5_vgpr6_vgpr7
                                        ; implicit-def: $vgpr8_vgpr9_vgpr10_vgpr11
                                        ; implicit-def: $vgpr12_vgpr13_vgpr14_vgpr15
                                        ; implicit-def: $vgpr16_vgpr17_vgpr18_vgpr19
                                        ; implicit-def: $vgpr20_vgpr21_vgpr22_vgpr23
	s_cbranch_execz .LBB418_40
; %bb.37:
	v_mul_u32_u24_e32 v1, 13, v0
	v_cmp_ne_u32_e32 vcc, 0, v0
	s_waitcnt lgkmcnt(0)
	v_mov_b64_e32 v[4:5], s[16:17]
	ds_write_b64 v52, v[66:67]
	s_waitcnt lgkmcnt(0)
	; wave barrier
	s_waitcnt lgkmcnt(0)
	s_and_saveexec_b64 s[14:15], vcc
	s_cbranch_execz .LBB418_39
; %bb.38:
	v_add_u32_e32 v2, -8, v52
	ds_read_b64 v[4:5], v2
.LBB418_39:
	s_or_b64 exec, exec, s[14:15]
	s_mulk_i32 s2, 0xfcc0
	s_add_i32 s2, s2, s10
	v_add_u32_e32 v6, 12, v1
	v_add_f64 v[2:3], v[66:67], -v[50:51]
	v_cmp_gt_u32_e32 vcc, s2, v6
	v_add_u32_e32 v6, 11, v1
	v_add_u32_e32 v8, 9, v1
	v_cndmask_b32_e32 v55, v67, v3, vcc
	v_cndmask_b32_e32 v54, v66, v2, vcc
	v_add_f64 v[2:3], v[50:51], -v[48:49]
	v_cmp_gt_u32_e32 vcc, s2, v6
	v_add_u32_e32 v6, 10, v1
	v_add_u32_e32 v10, 8, v1
	v_cndmask_b32_e32 v57, v51, v3, vcc
	v_cndmask_b32_e32 v56, v50, v2, vcc
	v_add_f64 v[2:3], v[48:49], -v[46:47]
	v_cmp_gt_u32_e32 vcc, s2, v6
	v_add_f64 v[6:7], v[46:47], -v[44:45]
	v_add_u32_e32 v12, 6, v1
	v_cndmask_b32_e32 v3, v49, v3, vcc
	v_cndmask_b32_e32 v2, v48, v2, vcc
	v_cmp_gt_u32_e32 vcc, s2, v8
	v_add_f64 v[8:9], v[44:45], -v[42:43]
	s_waitcnt lgkmcnt(0)
	v_add_f64 v[4:5], v[24:25], -v[4:5]
	v_cndmask_b32_e32 v7, v47, v7, vcc
	v_cndmask_b32_e32 v6, v46, v6, vcc
	v_cmp_gt_u32_e32 vcc, s2, v10
	v_add_u32_e32 v10, 7, v1
	s_nop 0
	v_cndmask_b32_e32 v59, v45, v9, vcc
	v_cndmask_b32_e32 v58, v44, v8, vcc
	v_add_f64 v[8:9], v[42:43], -v[40:41]
	v_cmp_gt_u32_e32 vcc, s2, v10
	s_nop 1
	v_cndmask_b32_e32 v11, v43, v9, vcc
	v_cndmask_b32_e32 v10, v42, v8, vcc
	v_add_f64 v[8:9], v[40:41], -v[38:39]
	v_cmp_gt_u32_e32 vcc, s2, v12
	v_add_u32_e32 v12, 5, v1
	s_nop 0
	v_cndmask_b32_e32 v61, v41, v9, vcc
	v_cndmask_b32_e32 v60, v40, v8, vcc
	v_add_f64 v[8:9], v[38:39], -v[36:37]
	v_cmp_gt_u32_e32 vcc, s2, v12
	v_add_u32_e32 v12, 4, v1
	;; [unrolled: 6-line block ×5, first 2 shown]
	s_nop 0
	v_cndmask_b32_e32 v65, v33, v9, vcc
	v_cndmask_b32_e32 v64, v32, v8, vcc
	v_add_f64 v[8:9], v[26:27], -v[24:25]
	v_cmp_gt_u32_e32 vcc, s2, v12
	s_nop 1
	v_cndmask_b32_e32 v23, v27, v9, vcc
	v_cndmask_b32_e32 v22, v26, v8, vcc
	v_cmp_gt_u32_e32 vcc, s2, v1
	s_nop 1
	v_cndmask_b32_e32 v29, v25, v5, vcc
	v_cndmask_b32_e32 v28, v24, v4, vcc
.LBB418_40:
	s_cbranch_execnz .LBB418_49
.LBB418_41:
	s_cmp_eq_u64 s[12:13], 1
	v_add_f64 v[54:55], v[66:67], -v[50:51]
	v_add_f64 v[56:57], v[50:51], -v[48:49]
	;; [unrolled: 1-line block ×12, first 2 shown]
	v_cmp_ne_u32_e32 vcc, 0, v0
	s_cbranch_scc1 .LBB418_45
; %bb.42:
	v_mov_b64_e32 v[28:29], v[24:25]
	ds_write_b64 v52, v[66:67]
	s_waitcnt lgkmcnt(0)
	; wave barrier
	s_waitcnt lgkmcnt(0)
	s_and_saveexec_b64 s[2:3], vcc
	s_cbranch_execz .LBB418_44
; %bb.43:
	v_add_u32_e32 v1, -8, v52
	ds_read_b64 v[4:5], v1
	s_waitcnt lgkmcnt(0)
	v_add_f64 v[28:29], v[24:25], -v[4:5]
.LBB418_44:
	s_or_b64 exec, exec, s[2:3]
	s_cbranch_execz .LBB418_46
	s_branch .LBB418_49
.LBB418_45:
                                        ; implicit-def: $vgpr28_vgpr29_vgpr30_vgpr31
.LBB418_46:
	v_mad_u32_u24 v4, v0, 13, 12
	v_cmp_gt_u32_e32 vcc, s10, v4
	v_mad_u32_u24 v4, v0, 13, 11
	v_mul_u32_u24_e32 v1, 13, v0
	v_cndmask_b32_e32 v55, v67, v55, vcc
	v_cndmask_b32_e32 v54, v66, v54, vcc
	v_cmp_gt_u32_e32 vcc, s10, v4
	v_mad_u32_u24 v4, v0, 13, 10
	v_cmp_gt_u32_e64 s[2:3], s10, v1
	v_cndmask_b32_e32 v57, v51, v57, vcc
	v_cndmask_b32_e32 v56, v50, v56, vcc
	v_cmp_gt_u32_e32 vcc, s10, v4
	v_mad_u32_u24 v4, v0, 13, 9
	ds_write_b64 v52, v[66:67]
	v_cndmask_b32_e32 v3, v49, v3, vcc
	v_cndmask_b32_e32 v2, v48, v2, vcc
	v_cmp_gt_u32_e32 vcc, s10, v4
	v_mad_u32_u24 v4, v0, 13, 8
	s_waitcnt lgkmcnt(0)
	v_cndmask_b32_e32 v7, v47, v7, vcc
	v_cndmask_b32_e32 v6, v46, v6, vcc
	v_cmp_gt_u32_e32 vcc, s10, v4
	v_mad_u32_u24 v4, v0, 13, 7
	; wave barrier
	s_nop 0
	v_cndmask_b32_e32 v59, v45, v59, vcc
	v_cndmask_b32_e32 v58, v44, v58, vcc
	v_cmp_gt_u32_e32 vcc, s10, v4
	v_mad_u32_u24 v4, v0, 13, 6
	s_nop 0
	v_cndmask_b32_e32 v11, v43, v11, vcc
	v_cndmask_b32_e32 v10, v42, v10, vcc
	v_cmp_gt_u32_e32 vcc, s10, v4
	v_mad_u32_u24 v4, v0, 13, 5
	;; [unrolled: 5-line block ×6, first 2 shown]
	s_nop 0
	v_cndmask_b32_e32 v65, v33, v65, vcc
	v_cndmask_b32_e32 v64, v32, v64, vcc
	v_cmp_gt_u32_e32 vcc, s10, v4
	s_nop 1
	v_cndmask_b32_e32 v23, v27, v23, vcc
	v_cndmask_b32_e32 v22, v26, v22, vcc
	v_cmp_ne_u32_e32 vcc, 0, v0
	s_and_b64 s[12:13], vcc, s[2:3]
	s_and_saveexec_b64 s[2:3], s[12:13]
	s_cbranch_execz .LBB418_48
; %bb.47:
	v_add_u32_e32 v1, -8, v52
	ds_read_b64 v[4:5], v1
	s_waitcnt lgkmcnt(0)
	v_add_f64 v[24:25], v[24:25], -v[4:5]
.LBB418_48:
	s_or_b64 exec, exec, s[2:3]
	v_mov_b64_e32 v[28:29], v[24:25]
.LBB418_49:
	s_add_u32 s6, s8, s6
	s_addc_u32 s7, s9, s7
	s_and_b64 vcc, exec, s[0:1]
	s_waitcnt lgkmcnt(0)
	; wave barrier
	s_waitcnt lgkmcnt(0)
	s_cbranch_vccz .LBB418_75
; %bb.50:
	s_movk_i32 s2, 0x68
	v_mul_i32_i24_e32 v8, 0xffffffa0, v0
	v_mul_u32_u24_e32 v1, 0x68, v0
	v_mad_u32_u24 v4, v0, s2, v8
	ds_write2_b64 v1, v[28:29], v[22:23] offset1:1
	ds_write2_b64 v1, v[64:65], v[18:19] offset0:2 offset1:3
	ds_write2_b64 v1, v[62:63], v[14:15] offset0:4 offset1:5
	;; [unrolled: 1-line block ×5, first 2 shown]
	ds_write_b64 v1, v[54:55] offset:96
	s_waitcnt lgkmcnt(0)
	; wave barrier
	s_waitcnt lgkmcnt(0)
	ds_read2st64_b64 v[46:49], v4 offset0:1 offset1:2
	ds_read2st64_b64 v[42:45], v4 offset0:3 offset1:4
	;; [unrolled: 1-line block ×6, first 2 shown]
	s_mov_b32 s5, 0
	s_add_i32 s11, s11, s10
	s_lshl_b64 s[0:1], s[4:5], 3
	s_add_u32 s0, s6, s0
	s_addc_u32 s1, s7, s1
	v_mov_b32_e32 v53, 0
	v_lshl_add_u64 v[4:5], s[0:1], 0, v[52:53]
	v_cmp_gt_u32_e32 vcc, s11, v0
	s_and_saveexec_b64 s[0:1], vcc
	s_cbranch_execz .LBB418_52
; %bb.51:
	v_add_u32_e32 v1, v1, v8
	ds_read_b64 v[8:9], v1
	s_waitcnt lgkmcnt(0)
	global_store_dwordx2 v[4:5], v[8:9], off
.LBB418_52:
	s_or_b64 exec, exec, s[0:1]
	v_or_b32_e32 v1, 64, v0
	v_cmp_gt_u32_e32 vcc, s11, v1
	s_and_saveexec_b64 s[0:1], vcc
	s_cbranch_execz .LBB418_54
; %bb.53:
	s_waitcnt lgkmcnt(5)
	global_store_dwordx2 v[4:5], v[46:47], off offset:512
.LBB418_54:
	s_or_b64 exec, exec, s[0:1]
	v_or_b32_e32 v1, 0x80, v0
	v_cmp_gt_u32_e32 vcc, s11, v1
	s_and_saveexec_b64 s[0:1], vcc
	s_cbranch_execz .LBB418_56
; %bb.55:
	s_waitcnt lgkmcnt(5)
	global_store_dwordx2 v[4:5], v[48:49], off offset:1024
.LBB418_56:
	;; [unrolled: 9-line block ×7, first 2 shown]
	s_or_b64 exec, exec, s[0:1]
	v_or_b32_e32 v1, 0x200, v0
	v_cmp_gt_u32_e32 vcc, s11, v1
	s_and_saveexec_b64 s[0:1], vcc
	s_cbranch_execz .LBB418_68
; %bb.67:
	v_add_co_u32_e32 v8, vcc, 0x1000, v4
	s_nop 1
	v_addc_co_u32_e32 v9, vcc, 0, v5, vcc
	s_waitcnt lgkmcnt(2)
	global_store_dwordx2 v[8:9], v[36:37], off
.LBB418_68:
	s_or_b64 exec, exec, s[0:1]
	v_or_b32_e32 v1, 0x240, v0
	v_cmp_gt_u32_e32 vcc, s11, v1
	s_and_saveexec_b64 s[0:1], vcc
	s_cbranch_execz .LBB418_70
; %bb.69:
	v_add_co_u32_e32 v8, vcc, 0x1000, v4
	s_nop 1
	v_addc_co_u32_e32 v9, vcc, 0, v5, vcc
	s_waitcnt lgkmcnt(1)
	global_store_dwordx2 v[8:9], v[30:31], off offset:512
.LBB418_70:
	s_or_b64 exec, exec, s[0:1]
	v_or_b32_e32 v1, 0x280, v0
	v_cmp_gt_u32_e32 vcc, s11, v1
	s_and_saveexec_b64 s[0:1], vcc
	s_cbranch_execz .LBB418_72
; %bb.71:
	v_add_co_u32_e32 v8, vcc, 0x1000, v4
	s_nop 1
	v_addc_co_u32_e32 v9, vcc, 0, v5, vcc
	s_waitcnt lgkmcnt(1)
	global_store_dwordx2 v[8:9], v[32:33], off offset:1024
.LBB418_72:
	;; [unrolled: 12-line block ×3, first 2 shown]
	s_or_b64 exec, exec, s[0:1]
	v_or_b32_e32 v1, 0x300, v0
	v_cmp_gt_u32_e64 s[0:1], s11, v1
	s_branch .LBB418_77
.LBB418_75:
	s_mov_b64 s[0:1], 0
                                        ; implicit-def: $vgpr26_vgpr27
                                        ; implicit-def: $vgpr4_vgpr5
	s_cbranch_execz .LBB418_77
; %bb.76:
	s_mov_b32 s5, 0
	v_mul_u32_u24_e32 v1, 0x68, v0
	s_lshl_b64 s[2:3], s[4:5], 3
	s_movk_i32 s4, 0x68
	ds_write2_b64 v1, v[28:29], v[22:23] offset1:1
	ds_write2_b64 v1, v[64:65], v[18:19] offset0:2 offset1:3
	ds_write2_b64 v1, v[62:63], v[14:15] offset0:4 offset1:5
	;; [unrolled: 1-line block ×5, first 2 shown]
	ds_write_b64 v1, v[54:55] offset:96
	v_mul_i32_i24_e32 v1, 0xffffffa0, v0
	s_add_u32 s2, s6, s2
	v_mad_u32_u24 v4, v0, s4, v1
	s_addc_u32 s3, s7, s3
	s_waitcnt lgkmcnt(0)
	; wave barrier
	s_waitcnt lgkmcnt(0)
	ds_read2st64_b64 v[0:3], v4 offset1:1
	ds_read2st64_b64 v[6:9], v4 offset0:2 offset1:3
	ds_read2st64_b64 v[10:13], v4 offset0:4 offset1:5
	;; [unrolled: 1-line block ×5, first 2 shown]
	ds_read_b64 v[26:27], v4 offset:6144
	v_mov_b32_e32 v53, 0
	v_lshl_add_u64 v[4:5], s[2:3], 0, v[52:53]
	s_waitcnt lgkmcnt(6)
	global_store_dwordx2 v52, v[0:1], s[2:3]
	global_store_dwordx2 v52, v[2:3], s[2:3] offset:512
	s_waitcnt lgkmcnt(5)
	global_store_dwordx2 v52, v[6:7], s[2:3] offset:1024
	global_store_dwordx2 v52, v[8:9], s[2:3] offset:1536
	s_waitcnt lgkmcnt(4)
	global_store_dwordx2 v52, v[10:11], s[2:3] offset:2048
	;; [unrolled: 3-line block ×3, first 2 shown]
	global_store_dwordx2 v52, v[16:17], s[2:3] offset:3584
	v_add_co_u32_e32 v0, vcc, 0x1000, v4
	s_or_b64 s[0:1], s[0:1], exec
	s_nop 0
	v_addc_co_u32_e32 v1, vcc, 0, v5, vcc
	s_waitcnt lgkmcnt(2)
	global_store_dwordx2 v[0:1], v[18:19], off
	global_store_dwordx2 v[0:1], v[20:21], off offset:512
	s_waitcnt lgkmcnt(1)
	global_store_dwordx2 v[0:1], v[22:23], off offset:1024
	global_store_dwordx2 v[0:1], v[24:25], off offset:1536
.LBB418_77:
	s_and_saveexec_b64 s[2:3], s[0:1]
	s_cbranch_execnz .LBB418_79
; %bb.78:
	s_endpgm
.LBB418_79:
	v_add_co_u32_e32 v0, vcc, 0x1000, v4
	s_nop 1
	v_addc_co_u32_e32 v1, vcc, 0, v5, vcc
	s_waitcnt lgkmcnt(0)
	global_store_dwordx2 v[0:1], v[26:27], off offset:2048
	s_endpgm
	.section	.rodata,"a",@progbits
	.p2align	6, 0x0
	.amdhsa_kernel _ZN7rocprim17ROCPRIM_400000_NS6detail17trampoline_kernelINS0_14default_configENS1_35adjacent_difference_config_selectorILb0EdEEZNS1_24adjacent_difference_implIS3_Lb0ELb0EPdS7_N6thrust23THRUST_200600_302600_NS5minusIdEEEE10hipError_tPvRmT2_T3_mT4_P12ihipStream_tbEUlT_E_NS1_11comp_targetILNS1_3genE5ELNS1_11target_archE942ELNS1_3gpuE9ELNS1_3repE0EEENS1_30default_config_static_selectorELNS0_4arch9wavefront6targetE1EEEvT1_
		.amdhsa_group_segment_fixed_size 6656
		.amdhsa_private_segment_fixed_size 0
		.amdhsa_kernarg_size 56
		.amdhsa_user_sgpr_count 2
		.amdhsa_user_sgpr_dispatch_ptr 0
		.amdhsa_user_sgpr_queue_ptr 0
		.amdhsa_user_sgpr_kernarg_segment_ptr 1
		.amdhsa_user_sgpr_dispatch_id 0
		.amdhsa_user_sgpr_kernarg_preload_length 0
		.amdhsa_user_sgpr_kernarg_preload_offset 0
		.amdhsa_user_sgpr_private_segment_size 0
		.amdhsa_uses_dynamic_stack 0
		.amdhsa_enable_private_segment 0
		.amdhsa_system_sgpr_workgroup_id_x 1
		.amdhsa_system_sgpr_workgroup_id_y 0
		.amdhsa_system_sgpr_workgroup_id_z 0
		.amdhsa_system_sgpr_workgroup_info 0
		.amdhsa_system_vgpr_workitem_id 0
		.amdhsa_next_free_vgpr 68
		.amdhsa_next_free_sgpr 23
		.amdhsa_accum_offset 68
		.amdhsa_reserve_vcc 1
		.amdhsa_float_round_mode_32 0
		.amdhsa_float_round_mode_16_64 0
		.amdhsa_float_denorm_mode_32 3
		.amdhsa_float_denorm_mode_16_64 3
		.amdhsa_dx10_clamp 1
		.amdhsa_ieee_mode 1
		.amdhsa_fp16_overflow 0
		.amdhsa_tg_split 0
		.amdhsa_exception_fp_ieee_invalid_op 0
		.amdhsa_exception_fp_denorm_src 0
		.amdhsa_exception_fp_ieee_div_zero 0
		.amdhsa_exception_fp_ieee_overflow 0
		.amdhsa_exception_fp_ieee_underflow 0
		.amdhsa_exception_fp_ieee_inexact 0
		.amdhsa_exception_int_div_zero 0
	.end_amdhsa_kernel
	.section	.text._ZN7rocprim17ROCPRIM_400000_NS6detail17trampoline_kernelINS0_14default_configENS1_35adjacent_difference_config_selectorILb0EdEEZNS1_24adjacent_difference_implIS3_Lb0ELb0EPdS7_N6thrust23THRUST_200600_302600_NS5minusIdEEEE10hipError_tPvRmT2_T3_mT4_P12ihipStream_tbEUlT_E_NS1_11comp_targetILNS1_3genE5ELNS1_11target_archE942ELNS1_3gpuE9ELNS1_3repE0EEENS1_30default_config_static_selectorELNS0_4arch9wavefront6targetE1EEEvT1_,"axG",@progbits,_ZN7rocprim17ROCPRIM_400000_NS6detail17trampoline_kernelINS0_14default_configENS1_35adjacent_difference_config_selectorILb0EdEEZNS1_24adjacent_difference_implIS3_Lb0ELb0EPdS7_N6thrust23THRUST_200600_302600_NS5minusIdEEEE10hipError_tPvRmT2_T3_mT4_P12ihipStream_tbEUlT_E_NS1_11comp_targetILNS1_3genE5ELNS1_11target_archE942ELNS1_3gpuE9ELNS1_3repE0EEENS1_30default_config_static_selectorELNS0_4arch9wavefront6targetE1EEEvT1_,comdat
.Lfunc_end418:
	.size	_ZN7rocprim17ROCPRIM_400000_NS6detail17trampoline_kernelINS0_14default_configENS1_35adjacent_difference_config_selectorILb0EdEEZNS1_24adjacent_difference_implIS3_Lb0ELb0EPdS7_N6thrust23THRUST_200600_302600_NS5minusIdEEEE10hipError_tPvRmT2_T3_mT4_P12ihipStream_tbEUlT_E_NS1_11comp_targetILNS1_3genE5ELNS1_11target_archE942ELNS1_3gpuE9ELNS1_3repE0EEENS1_30default_config_static_selectorELNS0_4arch9wavefront6targetE1EEEvT1_, .Lfunc_end418-_ZN7rocprim17ROCPRIM_400000_NS6detail17trampoline_kernelINS0_14default_configENS1_35adjacent_difference_config_selectorILb0EdEEZNS1_24adjacent_difference_implIS3_Lb0ELb0EPdS7_N6thrust23THRUST_200600_302600_NS5minusIdEEEE10hipError_tPvRmT2_T3_mT4_P12ihipStream_tbEUlT_E_NS1_11comp_targetILNS1_3genE5ELNS1_11target_archE942ELNS1_3gpuE9ELNS1_3repE0EEENS1_30default_config_static_selectorELNS0_4arch9wavefront6targetE1EEEvT1_
                                        ; -- End function
	.section	.AMDGPU.csdata,"",@progbits
; Kernel info:
; codeLenInByte = 3592
; NumSgprs: 29
; NumVgprs: 68
; NumAgprs: 0
; TotalNumVgprs: 68
; ScratchSize: 0
; MemoryBound: 0
; FloatMode: 240
; IeeeMode: 1
; LDSByteSize: 6656 bytes/workgroup (compile time only)
; SGPRBlocks: 3
; VGPRBlocks: 8
; NumSGPRsForWavesPerEU: 29
; NumVGPRsForWavesPerEU: 68
; AccumOffset: 68
; Occupancy: 3
; WaveLimiterHint : 1
; COMPUTE_PGM_RSRC2:SCRATCH_EN: 0
; COMPUTE_PGM_RSRC2:USER_SGPR: 2
; COMPUTE_PGM_RSRC2:TRAP_HANDLER: 0
; COMPUTE_PGM_RSRC2:TGID_X_EN: 1
; COMPUTE_PGM_RSRC2:TGID_Y_EN: 0
; COMPUTE_PGM_RSRC2:TGID_Z_EN: 0
; COMPUTE_PGM_RSRC2:TIDIG_COMP_CNT: 0
; COMPUTE_PGM_RSRC3_GFX90A:ACCUM_OFFSET: 16
; COMPUTE_PGM_RSRC3_GFX90A:TG_SPLIT: 0
	.section	.text._ZN7rocprim17ROCPRIM_400000_NS6detail17trampoline_kernelINS0_14default_configENS1_35adjacent_difference_config_selectorILb0EdEEZNS1_24adjacent_difference_implIS3_Lb0ELb0EPdS7_N6thrust23THRUST_200600_302600_NS5minusIdEEEE10hipError_tPvRmT2_T3_mT4_P12ihipStream_tbEUlT_E_NS1_11comp_targetILNS1_3genE4ELNS1_11target_archE910ELNS1_3gpuE8ELNS1_3repE0EEENS1_30default_config_static_selectorELNS0_4arch9wavefront6targetE1EEEvT1_,"axG",@progbits,_ZN7rocprim17ROCPRIM_400000_NS6detail17trampoline_kernelINS0_14default_configENS1_35adjacent_difference_config_selectorILb0EdEEZNS1_24adjacent_difference_implIS3_Lb0ELb0EPdS7_N6thrust23THRUST_200600_302600_NS5minusIdEEEE10hipError_tPvRmT2_T3_mT4_P12ihipStream_tbEUlT_E_NS1_11comp_targetILNS1_3genE4ELNS1_11target_archE910ELNS1_3gpuE8ELNS1_3repE0EEENS1_30default_config_static_selectorELNS0_4arch9wavefront6targetE1EEEvT1_,comdat
	.protected	_ZN7rocprim17ROCPRIM_400000_NS6detail17trampoline_kernelINS0_14default_configENS1_35adjacent_difference_config_selectorILb0EdEEZNS1_24adjacent_difference_implIS3_Lb0ELb0EPdS7_N6thrust23THRUST_200600_302600_NS5minusIdEEEE10hipError_tPvRmT2_T3_mT4_P12ihipStream_tbEUlT_E_NS1_11comp_targetILNS1_3genE4ELNS1_11target_archE910ELNS1_3gpuE8ELNS1_3repE0EEENS1_30default_config_static_selectorELNS0_4arch9wavefront6targetE1EEEvT1_ ; -- Begin function _ZN7rocprim17ROCPRIM_400000_NS6detail17trampoline_kernelINS0_14default_configENS1_35adjacent_difference_config_selectorILb0EdEEZNS1_24adjacent_difference_implIS3_Lb0ELb0EPdS7_N6thrust23THRUST_200600_302600_NS5minusIdEEEE10hipError_tPvRmT2_T3_mT4_P12ihipStream_tbEUlT_E_NS1_11comp_targetILNS1_3genE4ELNS1_11target_archE910ELNS1_3gpuE8ELNS1_3repE0EEENS1_30default_config_static_selectorELNS0_4arch9wavefront6targetE1EEEvT1_
	.globl	_ZN7rocprim17ROCPRIM_400000_NS6detail17trampoline_kernelINS0_14default_configENS1_35adjacent_difference_config_selectorILb0EdEEZNS1_24adjacent_difference_implIS3_Lb0ELb0EPdS7_N6thrust23THRUST_200600_302600_NS5minusIdEEEE10hipError_tPvRmT2_T3_mT4_P12ihipStream_tbEUlT_E_NS1_11comp_targetILNS1_3genE4ELNS1_11target_archE910ELNS1_3gpuE8ELNS1_3repE0EEENS1_30default_config_static_selectorELNS0_4arch9wavefront6targetE1EEEvT1_
	.p2align	8
	.type	_ZN7rocprim17ROCPRIM_400000_NS6detail17trampoline_kernelINS0_14default_configENS1_35adjacent_difference_config_selectorILb0EdEEZNS1_24adjacent_difference_implIS3_Lb0ELb0EPdS7_N6thrust23THRUST_200600_302600_NS5minusIdEEEE10hipError_tPvRmT2_T3_mT4_P12ihipStream_tbEUlT_E_NS1_11comp_targetILNS1_3genE4ELNS1_11target_archE910ELNS1_3gpuE8ELNS1_3repE0EEENS1_30default_config_static_selectorELNS0_4arch9wavefront6targetE1EEEvT1_,@function
_ZN7rocprim17ROCPRIM_400000_NS6detail17trampoline_kernelINS0_14default_configENS1_35adjacent_difference_config_selectorILb0EdEEZNS1_24adjacent_difference_implIS3_Lb0ELb0EPdS7_N6thrust23THRUST_200600_302600_NS5minusIdEEEE10hipError_tPvRmT2_T3_mT4_P12ihipStream_tbEUlT_E_NS1_11comp_targetILNS1_3genE4ELNS1_11target_archE910ELNS1_3gpuE8ELNS1_3repE0EEENS1_30default_config_static_selectorELNS0_4arch9wavefront6targetE1EEEvT1_: ; @_ZN7rocprim17ROCPRIM_400000_NS6detail17trampoline_kernelINS0_14default_configENS1_35adjacent_difference_config_selectorILb0EdEEZNS1_24adjacent_difference_implIS3_Lb0ELb0EPdS7_N6thrust23THRUST_200600_302600_NS5minusIdEEEE10hipError_tPvRmT2_T3_mT4_P12ihipStream_tbEUlT_E_NS1_11comp_targetILNS1_3genE4ELNS1_11target_archE910ELNS1_3gpuE8ELNS1_3repE0EEENS1_30default_config_static_selectorELNS0_4arch9wavefront6targetE1EEEvT1_
; %bb.0:
	.section	.rodata,"a",@progbits
	.p2align	6, 0x0
	.amdhsa_kernel _ZN7rocprim17ROCPRIM_400000_NS6detail17trampoline_kernelINS0_14default_configENS1_35adjacent_difference_config_selectorILb0EdEEZNS1_24adjacent_difference_implIS3_Lb0ELb0EPdS7_N6thrust23THRUST_200600_302600_NS5minusIdEEEE10hipError_tPvRmT2_T3_mT4_P12ihipStream_tbEUlT_E_NS1_11comp_targetILNS1_3genE4ELNS1_11target_archE910ELNS1_3gpuE8ELNS1_3repE0EEENS1_30default_config_static_selectorELNS0_4arch9wavefront6targetE1EEEvT1_
		.amdhsa_group_segment_fixed_size 0
		.amdhsa_private_segment_fixed_size 0
		.amdhsa_kernarg_size 56
		.amdhsa_user_sgpr_count 2
		.amdhsa_user_sgpr_dispatch_ptr 0
		.amdhsa_user_sgpr_queue_ptr 0
		.amdhsa_user_sgpr_kernarg_segment_ptr 1
		.amdhsa_user_sgpr_dispatch_id 0
		.amdhsa_user_sgpr_kernarg_preload_length 0
		.amdhsa_user_sgpr_kernarg_preload_offset 0
		.amdhsa_user_sgpr_private_segment_size 0
		.amdhsa_uses_dynamic_stack 0
		.amdhsa_enable_private_segment 0
		.amdhsa_system_sgpr_workgroup_id_x 1
		.amdhsa_system_sgpr_workgroup_id_y 0
		.amdhsa_system_sgpr_workgroup_id_z 0
		.amdhsa_system_sgpr_workgroup_info 0
		.amdhsa_system_vgpr_workitem_id 0
		.amdhsa_next_free_vgpr 1
		.amdhsa_next_free_sgpr 0
		.amdhsa_accum_offset 4
		.amdhsa_reserve_vcc 0
		.amdhsa_float_round_mode_32 0
		.amdhsa_float_round_mode_16_64 0
		.amdhsa_float_denorm_mode_32 3
		.amdhsa_float_denorm_mode_16_64 3
		.amdhsa_dx10_clamp 1
		.amdhsa_ieee_mode 1
		.amdhsa_fp16_overflow 0
		.amdhsa_tg_split 0
		.amdhsa_exception_fp_ieee_invalid_op 0
		.amdhsa_exception_fp_denorm_src 0
		.amdhsa_exception_fp_ieee_div_zero 0
		.amdhsa_exception_fp_ieee_overflow 0
		.amdhsa_exception_fp_ieee_underflow 0
		.amdhsa_exception_fp_ieee_inexact 0
		.amdhsa_exception_int_div_zero 0
	.end_amdhsa_kernel
	.section	.text._ZN7rocprim17ROCPRIM_400000_NS6detail17trampoline_kernelINS0_14default_configENS1_35adjacent_difference_config_selectorILb0EdEEZNS1_24adjacent_difference_implIS3_Lb0ELb0EPdS7_N6thrust23THRUST_200600_302600_NS5minusIdEEEE10hipError_tPvRmT2_T3_mT4_P12ihipStream_tbEUlT_E_NS1_11comp_targetILNS1_3genE4ELNS1_11target_archE910ELNS1_3gpuE8ELNS1_3repE0EEENS1_30default_config_static_selectorELNS0_4arch9wavefront6targetE1EEEvT1_,"axG",@progbits,_ZN7rocprim17ROCPRIM_400000_NS6detail17trampoline_kernelINS0_14default_configENS1_35adjacent_difference_config_selectorILb0EdEEZNS1_24adjacent_difference_implIS3_Lb0ELb0EPdS7_N6thrust23THRUST_200600_302600_NS5minusIdEEEE10hipError_tPvRmT2_T3_mT4_P12ihipStream_tbEUlT_E_NS1_11comp_targetILNS1_3genE4ELNS1_11target_archE910ELNS1_3gpuE8ELNS1_3repE0EEENS1_30default_config_static_selectorELNS0_4arch9wavefront6targetE1EEEvT1_,comdat
.Lfunc_end419:
	.size	_ZN7rocprim17ROCPRIM_400000_NS6detail17trampoline_kernelINS0_14default_configENS1_35adjacent_difference_config_selectorILb0EdEEZNS1_24adjacent_difference_implIS3_Lb0ELb0EPdS7_N6thrust23THRUST_200600_302600_NS5minusIdEEEE10hipError_tPvRmT2_T3_mT4_P12ihipStream_tbEUlT_E_NS1_11comp_targetILNS1_3genE4ELNS1_11target_archE910ELNS1_3gpuE8ELNS1_3repE0EEENS1_30default_config_static_selectorELNS0_4arch9wavefront6targetE1EEEvT1_, .Lfunc_end419-_ZN7rocprim17ROCPRIM_400000_NS6detail17trampoline_kernelINS0_14default_configENS1_35adjacent_difference_config_selectorILb0EdEEZNS1_24adjacent_difference_implIS3_Lb0ELb0EPdS7_N6thrust23THRUST_200600_302600_NS5minusIdEEEE10hipError_tPvRmT2_T3_mT4_P12ihipStream_tbEUlT_E_NS1_11comp_targetILNS1_3genE4ELNS1_11target_archE910ELNS1_3gpuE8ELNS1_3repE0EEENS1_30default_config_static_selectorELNS0_4arch9wavefront6targetE1EEEvT1_
                                        ; -- End function
	.section	.AMDGPU.csdata,"",@progbits
; Kernel info:
; codeLenInByte = 0
; NumSgprs: 6
; NumVgprs: 0
; NumAgprs: 0
; TotalNumVgprs: 0
; ScratchSize: 0
; MemoryBound: 0
; FloatMode: 240
; IeeeMode: 1
; LDSByteSize: 0 bytes/workgroup (compile time only)
; SGPRBlocks: 0
; VGPRBlocks: 0
; NumSGPRsForWavesPerEU: 6
; NumVGPRsForWavesPerEU: 1
; AccumOffset: 4
; Occupancy: 8
; WaveLimiterHint : 0
; COMPUTE_PGM_RSRC2:SCRATCH_EN: 0
; COMPUTE_PGM_RSRC2:USER_SGPR: 2
; COMPUTE_PGM_RSRC2:TRAP_HANDLER: 0
; COMPUTE_PGM_RSRC2:TGID_X_EN: 1
; COMPUTE_PGM_RSRC2:TGID_Y_EN: 0
; COMPUTE_PGM_RSRC2:TGID_Z_EN: 0
; COMPUTE_PGM_RSRC2:TIDIG_COMP_CNT: 0
; COMPUTE_PGM_RSRC3_GFX90A:ACCUM_OFFSET: 0
; COMPUTE_PGM_RSRC3_GFX90A:TG_SPLIT: 0
	.section	.text._ZN7rocprim17ROCPRIM_400000_NS6detail17trampoline_kernelINS0_14default_configENS1_35adjacent_difference_config_selectorILb0EdEEZNS1_24adjacent_difference_implIS3_Lb0ELb0EPdS7_N6thrust23THRUST_200600_302600_NS5minusIdEEEE10hipError_tPvRmT2_T3_mT4_P12ihipStream_tbEUlT_E_NS1_11comp_targetILNS1_3genE3ELNS1_11target_archE908ELNS1_3gpuE7ELNS1_3repE0EEENS1_30default_config_static_selectorELNS0_4arch9wavefront6targetE1EEEvT1_,"axG",@progbits,_ZN7rocprim17ROCPRIM_400000_NS6detail17trampoline_kernelINS0_14default_configENS1_35adjacent_difference_config_selectorILb0EdEEZNS1_24adjacent_difference_implIS3_Lb0ELb0EPdS7_N6thrust23THRUST_200600_302600_NS5minusIdEEEE10hipError_tPvRmT2_T3_mT4_P12ihipStream_tbEUlT_E_NS1_11comp_targetILNS1_3genE3ELNS1_11target_archE908ELNS1_3gpuE7ELNS1_3repE0EEENS1_30default_config_static_selectorELNS0_4arch9wavefront6targetE1EEEvT1_,comdat
	.protected	_ZN7rocprim17ROCPRIM_400000_NS6detail17trampoline_kernelINS0_14default_configENS1_35adjacent_difference_config_selectorILb0EdEEZNS1_24adjacent_difference_implIS3_Lb0ELb0EPdS7_N6thrust23THRUST_200600_302600_NS5minusIdEEEE10hipError_tPvRmT2_T3_mT4_P12ihipStream_tbEUlT_E_NS1_11comp_targetILNS1_3genE3ELNS1_11target_archE908ELNS1_3gpuE7ELNS1_3repE0EEENS1_30default_config_static_selectorELNS0_4arch9wavefront6targetE1EEEvT1_ ; -- Begin function _ZN7rocprim17ROCPRIM_400000_NS6detail17trampoline_kernelINS0_14default_configENS1_35adjacent_difference_config_selectorILb0EdEEZNS1_24adjacent_difference_implIS3_Lb0ELb0EPdS7_N6thrust23THRUST_200600_302600_NS5minusIdEEEE10hipError_tPvRmT2_T3_mT4_P12ihipStream_tbEUlT_E_NS1_11comp_targetILNS1_3genE3ELNS1_11target_archE908ELNS1_3gpuE7ELNS1_3repE0EEENS1_30default_config_static_selectorELNS0_4arch9wavefront6targetE1EEEvT1_
	.globl	_ZN7rocprim17ROCPRIM_400000_NS6detail17trampoline_kernelINS0_14default_configENS1_35adjacent_difference_config_selectorILb0EdEEZNS1_24adjacent_difference_implIS3_Lb0ELb0EPdS7_N6thrust23THRUST_200600_302600_NS5minusIdEEEE10hipError_tPvRmT2_T3_mT4_P12ihipStream_tbEUlT_E_NS1_11comp_targetILNS1_3genE3ELNS1_11target_archE908ELNS1_3gpuE7ELNS1_3repE0EEENS1_30default_config_static_selectorELNS0_4arch9wavefront6targetE1EEEvT1_
	.p2align	8
	.type	_ZN7rocprim17ROCPRIM_400000_NS6detail17trampoline_kernelINS0_14default_configENS1_35adjacent_difference_config_selectorILb0EdEEZNS1_24adjacent_difference_implIS3_Lb0ELb0EPdS7_N6thrust23THRUST_200600_302600_NS5minusIdEEEE10hipError_tPvRmT2_T3_mT4_P12ihipStream_tbEUlT_E_NS1_11comp_targetILNS1_3genE3ELNS1_11target_archE908ELNS1_3gpuE7ELNS1_3repE0EEENS1_30default_config_static_selectorELNS0_4arch9wavefront6targetE1EEEvT1_,@function
_ZN7rocprim17ROCPRIM_400000_NS6detail17trampoline_kernelINS0_14default_configENS1_35adjacent_difference_config_selectorILb0EdEEZNS1_24adjacent_difference_implIS3_Lb0ELb0EPdS7_N6thrust23THRUST_200600_302600_NS5minusIdEEEE10hipError_tPvRmT2_T3_mT4_P12ihipStream_tbEUlT_E_NS1_11comp_targetILNS1_3genE3ELNS1_11target_archE908ELNS1_3gpuE7ELNS1_3repE0EEENS1_30default_config_static_selectorELNS0_4arch9wavefront6targetE1EEEvT1_: ; @_ZN7rocprim17ROCPRIM_400000_NS6detail17trampoline_kernelINS0_14default_configENS1_35adjacent_difference_config_selectorILb0EdEEZNS1_24adjacent_difference_implIS3_Lb0ELb0EPdS7_N6thrust23THRUST_200600_302600_NS5minusIdEEEE10hipError_tPvRmT2_T3_mT4_P12ihipStream_tbEUlT_E_NS1_11comp_targetILNS1_3genE3ELNS1_11target_archE908ELNS1_3gpuE7ELNS1_3repE0EEENS1_30default_config_static_selectorELNS0_4arch9wavefront6targetE1EEEvT1_
; %bb.0:
	.section	.rodata,"a",@progbits
	.p2align	6, 0x0
	.amdhsa_kernel _ZN7rocprim17ROCPRIM_400000_NS6detail17trampoline_kernelINS0_14default_configENS1_35adjacent_difference_config_selectorILb0EdEEZNS1_24adjacent_difference_implIS3_Lb0ELb0EPdS7_N6thrust23THRUST_200600_302600_NS5minusIdEEEE10hipError_tPvRmT2_T3_mT4_P12ihipStream_tbEUlT_E_NS1_11comp_targetILNS1_3genE3ELNS1_11target_archE908ELNS1_3gpuE7ELNS1_3repE0EEENS1_30default_config_static_selectorELNS0_4arch9wavefront6targetE1EEEvT1_
		.amdhsa_group_segment_fixed_size 0
		.amdhsa_private_segment_fixed_size 0
		.amdhsa_kernarg_size 56
		.amdhsa_user_sgpr_count 2
		.amdhsa_user_sgpr_dispatch_ptr 0
		.amdhsa_user_sgpr_queue_ptr 0
		.amdhsa_user_sgpr_kernarg_segment_ptr 1
		.amdhsa_user_sgpr_dispatch_id 0
		.amdhsa_user_sgpr_kernarg_preload_length 0
		.amdhsa_user_sgpr_kernarg_preload_offset 0
		.amdhsa_user_sgpr_private_segment_size 0
		.amdhsa_uses_dynamic_stack 0
		.amdhsa_enable_private_segment 0
		.amdhsa_system_sgpr_workgroup_id_x 1
		.amdhsa_system_sgpr_workgroup_id_y 0
		.amdhsa_system_sgpr_workgroup_id_z 0
		.amdhsa_system_sgpr_workgroup_info 0
		.amdhsa_system_vgpr_workitem_id 0
		.amdhsa_next_free_vgpr 1
		.amdhsa_next_free_sgpr 0
		.amdhsa_accum_offset 4
		.amdhsa_reserve_vcc 0
		.amdhsa_float_round_mode_32 0
		.amdhsa_float_round_mode_16_64 0
		.amdhsa_float_denorm_mode_32 3
		.amdhsa_float_denorm_mode_16_64 3
		.amdhsa_dx10_clamp 1
		.amdhsa_ieee_mode 1
		.amdhsa_fp16_overflow 0
		.amdhsa_tg_split 0
		.amdhsa_exception_fp_ieee_invalid_op 0
		.amdhsa_exception_fp_denorm_src 0
		.amdhsa_exception_fp_ieee_div_zero 0
		.amdhsa_exception_fp_ieee_overflow 0
		.amdhsa_exception_fp_ieee_underflow 0
		.amdhsa_exception_fp_ieee_inexact 0
		.amdhsa_exception_int_div_zero 0
	.end_amdhsa_kernel
	.section	.text._ZN7rocprim17ROCPRIM_400000_NS6detail17trampoline_kernelINS0_14default_configENS1_35adjacent_difference_config_selectorILb0EdEEZNS1_24adjacent_difference_implIS3_Lb0ELb0EPdS7_N6thrust23THRUST_200600_302600_NS5minusIdEEEE10hipError_tPvRmT2_T3_mT4_P12ihipStream_tbEUlT_E_NS1_11comp_targetILNS1_3genE3ELNS1_11target_archE908ELNS1_3gpuE7ELNS1_3repE0EEENS1_30default_config_static_selectorELNS0_4arch9wavefront6targetE1EEEvT1_,"axG",@progbits,_ZN7rocprim17ROCPRIM_400000_NS6detail17trampoline_kernelINS0_14default_configENS1_35adjacent_difference_config_selectorILb0EdEEZNS1_24adjacent_difference_implIS3_Lb0ELb0EPdS7_N6thrust23THRUST_200600_302600_NS5minusIdEEEE10hipError_tPvRmT2_T3_mT4_P12ihipStream_tbEUlT_E_NS1_11comp_targetILNS1_3genE3ELNS1_11target_archE908ELNS1_3gpuE7ELNS1_3repE0EEENS1_30default_config_static_selectorELNS0_4arch9wavefront6targetE1EEEvT1_,comdat
.Lfunc_end420:
	.size	_ZN7rocprim17ROCPRIM_400000_NS6detail17trampoline_kernelINS0_14default_configENS1_35adjacent_difference_config_selectorILb0EdEEZNS1_24adjacent_difference_implIS3_Lb0ELb0EPdS7_N6thrust23THRUST_200600_302600_NS5minusIdEEEE10hipError_tPvRmT2_T3_mT4_P12ihipStream_tbEUlT_E_NS1_11comp_targetILNS1_3genE3ELNS1_11target_archE908ELNS1_3gpuE7ELNS1_3repE0EEENS1_30default_config_static_selectorELNS0_4arch9wavefront6targetE1EEEvT1_, .Lfunc_end420-_ZN7rocprim17ROCPRIM_400000_NS6detail17trampoline_kernelINS0_14default_configENS1_35adjacent_difference_config_selectorILb0EdEEZNS1_24adjacent_difference_implIS3_Lb0ELb0EPdS7_N6thrust23THRUST_200600_302600_NS5minusIdEEEE10hipError_tPvRmT2_T3_mT4_P12ihipStream_tbEUlT_E_NS1_11comp_targetILNS1_3genE3ELNS1_11target_archE908ELNS1_3gpuE7ELNS1_3repE0EEENS1_30default_config_static_selectorELNS0_4arch9wavefront6targetE1EEEvT1_
                                        ; -- End function
	.section	.AMDGPU.csdata,"",@progbits
; Kernel info:
; codeLenInByte = 0
; NumSgprs: 6
; NumVgprs: 0
; NumAgprs: 0
; TotalNumVgprs: 0
; ScratchSize: 0
; MemoryBound: 0
; FloatMode: 240
; IeeeMode: 1
; LDSByteSize: 0 bytes/workgroup (compile time only)
; SGPRBlocks: 0
; VGPRBlocks: 0
; NumSGPRsForWavesPerEU: 6
; NumVGPRsForWavesPerEU: 1
; AccumOffset: 4
; Occupancy: 8
; WaveLimiterHint : 0
; COMPUTE_PGM_RSRC2:SCRATCH_EN: 0
; COMPUTE_PGM_RSRC2:USER_SGPR: 2
; COMPUTE_PGM_RSRC2:TRAP_HANDLER: 0
; COMPUTE_PGM_RSRC2:TGID_X_EN: 1
; COMPUTE_PGM_RSRC2:TGID_Y_EN: 0
; COMPUTE_PGM_RSRC2:TGID_Z_EN: 0
; COMPUTE_PGM_RSRC2:TIDIG_COMP_CNT: 0
; COMPUTE_PGM_RSRC3_GFX90A:ACCUM_OFFSET: 0
; COMPUTE_PGM_RSRC3_GFX90A:TG_SPLIT: 0
	.section	.text._ZN7rocprim17ROCPRIM_400000_NS6detail17trampoline_kernelINS0_14default_configENS1_35adjacent_difference_config_selectorILb0EdEEZNS1_24adjacent_difference_implIS3_Lb0ELb0EPdS7_N6thrust23THRUST_200600_302600_NS5minusIdEEEE10hipError_tPvRmT2_T3_mT4_P12ihipStream_tbEUlT_E_NS1_11comp_targetILNS1_3genE2ELNS1_11target_archE906ELNS1_3gpuE6ELNS1_3repE0EEENS1_30default_config_static_selectorELNS0_4arch9wavefront6targetE1EEEvT1_,"axG",@progbits,_ZN7rocprim17ROCPRIM_400000_NS6detail17trampoline_kernelINS0_14default_configENS1_35adjacent_difference_config_selectorILb0EdEEZNS1_24adjacent_difference_implIS3_Lb0ELb0EPdS7_N6thrust23THRUST_200600_302600_NS5minusIdEEEE10hipError_tPvRmT2_T3_mT4_P12ihipStream_tbEUlT_E_NS1_11comp_targetILNS1_3genE2ELNS1_11target_archE906ELNS1_3gpuE6ELNS1_3repE0EEENS1_30default_config_static_selectorELNS0_4arch9wavefront6targetE1EEEvT1_,comdat
	.protected	_ZN7rocprim17ROCPRIM_400000_NS6detail17trampoline_kernelINS0_14default_configENS1_35adjacent_difference_config_selectorILb0EdEEZNS1_24adjacent_difference_implIS3_Lb0ELb0EPdS7_N6thrust23THRUST_200600_302600_NS5minusIdEEEE10hipError_tPvRmT2_T3_mT4_P12ihipStream_tbEUlT_E_NS1_11comp_targetILNS1_3genE2ELNS1_11target_archE906ELNS1_3gpuE6ELNS1_3repE0EEENS1_30default_config_static_selectorELNS0_4arch9wavefront6targetE1EEEvT1_ ; -- Begin function _ZN7rocprim17ROCPRIM_400000_NS6detail17trampoline_kernelINS0_14default_configENS1_35adjacent_difference_config_selectorILb0EdEEZNS1_24adjacent_difference_implIS3_Lb0ELb0EPdS7_N6thrust23THRUST_200600_302600_NS5minusIdEEEE10hipError_tPvRmT2_T3_mT4_P12ihipStream_tbEUlT_E_NS1_11comp_targetILNS1_3genE2ELNS1_11target_archE906ELNS1_3gpuE6ELNS1_3repE0EEENS1_30default_config_static_selectorELNS0_4arch9wavefront6targetE1EEEvT1_
	.globl	_ZN7rocprim17ROCPRIM_400000_NS6detail17trampoline_kernelINS0_14default_configENS1_35adjacent_difference_config_selectorILb0EdEEZNS1_24adjacent_difference_implIS3_Lb0ELb0EPdS7_N6thrust23THRUST_200600_302600_NS5minusIdEEEE10hipError_tPvRmT2_T3_mT4_P12ihipStream_tbEUlT_E_NS1_11comp_targetILNS1_3genE2ELNS1_11target_archE906ELNS1_3gpuE6ELNS1_3repE0EEENS1_30default_config_static_selectorELNS0_4arch9wavefront6targetE1EEEvT1_
	.p2align	8
	.type	_ZN7rocprim17ROCPRIM_400000_NS6detail17trampoline_kernelINS0_14default_configENS1_35adjacent_difference_config_selectorILb0EdEEZNS1_24adjacent_difference_implIS3_Lb0ELb0EPdS7_N6thrust23THRUST_200600_302600_NS5minusIdEEEE10hipError_tPvRmT2_T3_mT4_P12ihipStream_tbEUlT_E_NS1_11comp_targetILNS1_3genE2ELNS1_11target_archE906ELNS1_3gpuE6ELNS1_3repE0EEENS1_30default_config_static_selectorELNS0_4arch9wavefront6targetE1EEEvT1_,@function
_ZN7rocprim17ROCPRIM_400000_NS6detail17trampoline_kernelINS0_14default_configENS1_35adjacent_difference_config_selectorILb0EdEEZNS1_24adjacent_difference_implIS3_Lb0ELb0EPdS7_N6thrust23THRUST_200600_302600_NS5minusIdEEEE10hipError_tPvRmT2_T3_mT4_P12ihipStream_tbEUlT_E_NS1_11comp_targetILNS1_3genE2ELNS1_11target_archE906ELNS1_3gpuE6ELNS1_3repE0EEENS1_30default_config_static_selectorELNS0_4arch9wavefront6targetE1EEEvT1_: ; @_ZN7rocprim17ROCPRIM_400000_NS6detail17trampoline_kernelINS0_14default_configENS1_35adjacent_difference_config_selectorILb0EdEEZNS1_24adjacent_difference_implIS3_Lb0ELb0EPdS7_N6thrust23THRUST_200600_302600_NS5minusIdEEEE10hipError_tPvRmT2_T3_mT4_P12ihipStream_tbEUlT_E_NS1_11comp_targetILNS1_3genE2ELNS1_11target_archE906ELNS1_3gpuE6ELNS1_3repE0EEENS1_30default_config_static_selectorELNS0_4arch9wavefront6targetE1EEEvT1_
; %bb.0:
	.section	.rodata,"a",@progbits
	.p2align	6, 0x0
	.amdhsa_kernel _ZN7rocprim17ROCPRIM_400000_NS6detail17trampoline_kernelINS0_14default_configENS1_35adjacent_difference_config_selectorILb0EdEEZNS1_24adjacent_difference_implIS3_Lb0ELb0EPdS7_N6thrust23THRUST_200600_302600_NS5minusIdEEEE10hipError_tPvRmT2_T3_mT4_P12ihipStream_tbEUlT_E_NS1_11comp_targetILNS1_3genE2ELNS1_11target_archE906ELNS1_3gpuE6ELNS1_3repE0EEENS1_30default_config_static_selectorELNS0_4arch9wavefront6targetE1EEEvT1_
		.amdhsa_group_segment_fixed_size 0
		.amdhsa_private_segment_fixed_size 0
		.amdhsa_kernarg_size 56
		.amdhsa_user_sgpr_count 2
		.amdhsa_user_sgpr_dispatch_ptr 0
		.amdhsa_user_sgpr_queue_ptr 0
		.amdhsa_user_sgpr_kernarg_segment_ptr 1
		.amdhsa_user_sgpr_dispatch_id 0
		.amdhsa_user_sgpr_kernarg_preload_length 0
		.amdhsa_user_sgpr_kernarg_preload_offset 0
		.amdhsa_user_sgpr_private_segment_size 0
		.amdhsa_uses_dynamic_stack 0
		.amdhsa_enable_private_segment 0
		.amdhsa_system_sgpr_workgroup_id_x 1
		.amdhsa_system_sgpr_workgroup_id_y 0
		.amdhsa_system_sgpr_workgroup_id_z 0
		.amdhsa_system_sgpr_workgroup_info 0
		.amdhsa_system_vgpr_workitem_id 0
		.amdhsa_next_free_vgpr 1
		.amdhsa_next_free_sgpr 0
		.amdhsa_accum_offset 4
		.amdhsa_reserve_vcc 0
		.amdhsa_float_round_mode_32 0
		.amdhsa_float_round_mode_16_64 0
		.amdhsa_float_denorm_mode_32 3
		.amdhsa_float_denorm_mode_16_64 3
		.amdhsa_dx10_clamp 1
		.amdhsa_ieee_mode 1
		.amdhsa_fp16_overflow 0
		.amdhsa_tg_split 0
		.amdhsa_exception_fp_ieee_invalid_op 0
		.amdhsa_exception_fp_denorm_src 0
		.amdhsa_exception_fp_ieee_div_zero 0
		.amdhsa_exception_fp_ieee_overflow 0
		.amdhsa_exception_fp_ieee_underflow 0
		.amdhsa_exception_fp_ieee_inexact 0
		.amdhsa_exception_int_div_zero 0
	.end_amdhsa_kernel
	.section	.text._ZN7rocprim17ROCPRIM_400000_NS6detail17trampoline_kernelINS0_14default_configENS1_35adjacent_difference_config_selectorILb0EdEEZNS1_24adjacent_difference_implIS3_Lb0ELb0EPdS7_N6thrust23THRUST_200600_302600_NS5minusIdEEEE10hipError_tPvRmT2_T3_mT4_P12ihipStream_tbEUlT_E_NS1_11comp_targetILNS1_3genE2ELNS1_11target_archE906ELNS1_3gpuE6ELNS1_3repE0EEENS1_30default_config_static_selectorELNS0_4arch9wavefront6targetE1EEEvT1_,"axG",@progbits,_ZN7rocprim17ROCPRIM_400000_NS6detail17trampoline_kernelINS0_14default_configENS1_35adjacent_difference_config_selectorILb0EdEEZNS1_24adjacent_difference_implIS3_Lb0ELb0EPdS7_N6thrust23THRUST_200600_302600_NS5minusIdEEEE10hipError_tPvRmT2_T3_mT4_P12ihipStream_tbEUlT_E_NS1_11comp_targetILNS1_3genE2ELNS1_11target_archE906ELNS1_3gpuE6ELNS1_3repE0EEENS1_30default_config_static_selectorELNS0_4arch9wavefront6targetE1EEEvT1_,comdat
.Lfunc_end421:
	.size	_ZN7rocprim17ROCPRIM_400000_NS6detail17trampoline_kernelINS0_14default_configENS1_35adjacent_difference_config_selectorILb0EdEEZNS1_24adjacent_difference_implIS3_Lb0ELb0EPdS7_N6thrust23THRUST_200600_302600_NS5minusIdEEEE10hipError_tPvRmT2_T3_mT4_P12ihipStream_tbEUlT_E_NS1_11comp_targetILNS1_3genE2ELNS1_11target_archE906ELNS1_3gpuE6ELNS1_3repE0EEENS1_30default_config_static_selectorELNS0_4arch9wavefront6targetE1EEEvT1_, .Lfunc_end421-_ZN7rocprim17ROCPRIM_400000_NS6detail17trampoline_kernelINS0_14default_configENS1_35adjacent_difference_config_selectorILb0EdEEZNS1_24adjacent_difference_implIS3_Lb0ELb0EPdS7_N6thrust23THRUST_200600_302600_NS5minusIdEEEE10hipError_tPvRmT2_T3_mT4_P12ihipStream_tbEUlT_E_NS1_11comp_targetILNS1_3genE2ELNS1_11target_archE906ELNS1_3gpuE6ELNS1_3repE0EEENS1_30default_config_static_selectorELNS0_4arch9wavefront6targetE1EEEvT1_
                                        ; -- End function
	.section	.AMDGPU.csdata,"",@progbits
; Kernel info:
; codeLenInByte = 0
; NumSgprs: 6
; NumVgprs: 0
; NumAgprs: 0
; TotalNumVgprs: 0
; ScratchSize: 0
; MemoryBound: 0
; FloatMode: 240
; IeeeMode: 1
; LDSByteSize: 0 bytes/workgroup (compile time only)
; SGPRBlocks: 0
; VGPRBlocks: 0
; NumSGPRsForWavesPerEU: 6
; NumVGPRsForWavesPerEU: 1
; AccumOffset: 4
; Occupancy: 8
; WaveLimiterHint : 0
; COMPUTE_PGM_RSRC2:SCRATCH_EN: 0
; COMPUTE_PGM_RSRC2:USER_SGPR: 2
; COMPUTE_PGM_RSRC2:TRAP_HANDLER: 0
; COMPUTE_PGM_RSRC2:TGID_X_EN: 1
; COMPUTE_PGM_RSRC2:TGID_Y_EN: 0
; COMPUTE_PGM_RSRC2:TGID_Z_EN: 0
; COMPUTE_PGM_RSRC2:TIDIG_COMP_CNT: 0
; COMPUTE_PGM_RSRC3_GFX90A:ACCUM_OFFSET: 0
; COMPUTE_PGM_RSRC3_GFX90A:TG_SPLIT: 0
	.section	.text._ZN7rocprim17ROCPRIM_400000_NS6detail17trampoline_kernelINS0_14default_configENS1_35adjacent_difference_config_selectorILb0EdEEZNS1_24adjacent_difference_implIS3_Lb0ELb0EPdS7_N6thrust23THRUST_200600_302600_NS5minusIdEEEE10hipError_tPvRmT2_T3_mT4_P12ihipStream_tbEUlT_E_NS1_11comp_targetILNS1_3genE9ELNS1_11target_archE1100ELNS1_3gpuE3ELNS1_3repE0EEENS1_30default_config_static_selectorELNS0_4arch9wavefront6targetE1EEEvT1_,"axG",@progbits,_ZN7rocprim17ROCPRIM_400000_NS6detail17trampoline_kernelINS0_14default_configENS1_35adjacent_difference_config_selectorILb0EdEEZNS1_24adjacent_difference_implIS3_Lb0ELb0EPdS7_N6thrust23THRUST_200600_302600_NS5minusIdEEEE10hipError_tPvRmT2_T3_mT4_P12ihipStream_tbEUlT_E_NS1_11comp_targetILNS1_3genE9ELNS1_11target_archE1100ELNS1_3gpuE3ELNS1_3repE0EEENS1_30default_config_static_selectorELNS0_4arch9wavefront6targetE1EEEvT1_,comdat
	.protected	_ZN7rocprim17ROCPRIM_400000_NS6detail17trampoline_kernelINS0_14default_configENS1_35adjacent_difference_config_selectorILb0EdEEZNS1_24adjacent_difference_implIS3_Lb0ELb0EPdS7_N6thrust23THRUST_200600_302600_NS5minusIdEEEE10hipError_tPvRmT2_T3_mT4_P12ihipStream_tbEUlT_E_NS1_11comp_targetILNS1_3genE9ELNS1_11target_archE1100ELNS1_3gpuE3ELNS1_3repE0EEENS1_30default_config_static_selectorELNS0_4arch9wavefront6targetE1EEEvT1_ ; -- Begin function _ZN7rocprim17ROCPRIM_400000_NS6detail17trampoline_kernelINS0_14default_configENS1_35adjacent_difference_config_selectorILb0EdEEZNS1_24adjacent_difference_implIS3_Lb0ELb0EPdS7_N6thrust23THRUST_200600_302600_NS5minusIdEEEE10hipError_tPvRmT2_T3_mT4_P12ihipStream_tbEUlT_E_NS1_11comp_targetILNS1_3genE9ELNS1_11target_archE1100ELNS1_3gpuE3ELNS1_3repE0EEENS1_30default_config_static_selectorELNS0_4arch9wavefront6targetE1EEEvT1_
	.globl	_ZN7rocprim17ROCPRIM_400000_NS6detail17trampoline_kernelINS0_14default_configENS1_35adjacent_difference_config_selectorILb0EdEEZNS1_24adjacent_difference_implIS3_Lb0ELb0EPdS7_N6thrust23THRUST_200600_302600_NS5minusIdEEEE10hipError_tPvRmT2_T3_mT4_P12ihipStream_tbEUlT_E_NS1_11comp_targetILNS1_3genE9ELNS1_11target_archE1100ELNS1_3gpuE3ELNS1_3repE0EEENS1_30default_config_static_selectorELNS0_4arch9wavefront6targetE1EEEvT1_
	.p2align	8
	.type	_ZN7rocprim17ROCPRIM_400000_NS6detail17trampoline_kernelINS0_14default_configENS1_35adjacent_difference_config_selectorILb0EdEEZNS1_24adjacent_difference_implIS3_Lb0ELb0EPdS7_N6thrust23THRUST_200600_302600_NS5minusIdEEEE10hipError_tPvRmT2_T3_mT4_P12ihipStream_tbEUlT_E_NS1_11comp_targetILNS1_3genE9ELNS1_11target_archE1100ELNS1_3gpuE3ELNS1_3repE0EEENS1_30default_config_static_selectorELNS0_4arch9wavefront6targetE1EEEvT1_,@function
_ZN7rocprim17ROCPRIM_400000_NS6detail17trampoline_kernelINS0_14default_configENS1_35adjacent_difference_config_selectorILb0EdEEZNS1_24adjacent_difference_implIS3_Lb0ELb0EPdS7_N6thrust23THRUST_200600_302600_NS5minusIdEEEE10hipError_tPvRmT2_T3_mT4_P12ihipStream_tbEUlT_E_NS1_11comp_targetILNS1_3genE9ELNS1_11target_archE1100ELNS1_3gpuE3ELNS1_3repE0EEENS1_30default_config_static_selectorELNS0_4arch9wavefront6targetE1EEEvT1_: ; @_ZN7rocprim17ROCPRIM_400000_NS6detail17trampoline_kernelINS0_14default_configENS1_35adjacent_difference_config_selectorILb0EdEEZNS1_24adjacent_difference_implIS3_Lb0ELb0EPdS7_N6thrust23THRUST_200600_302600_NS5minusIdEEEE10hipError_tPvRmT2_T3_mT4_P12ihipStream_tbEUlT_E_NS1_11comp_targetILNS1_3genE9ELNS1_11target_archE1100ELNS1_3gpuE3ELNS1_3repE0EEENS1_30default_config_static_selectorELNS0_4arch9wavefront6targetE1EEEvT1_
; %bb.0:
	.section	.rodata,"a",@progbits
	.p2align	6, 0x0
	.amdhsa_kernel _ZN7rocprim17ROCPRIM_400000_NS6detail17trampoline_kernelINS0_14default_configENS1_35adjacent_difference_config_selectorILb0EdEEZNS1_24adjacent_difference_implIS3_Lb0ELb0EPdS7_N6thrust23THRUST_200600_302600_NS5minusIdEEEE10hipError_tPvRmT2_T3_mT4_P12ihipStream_tbEUlT_E_NS1_11comp_targetILNS1_3genE9ELNS1_11target_archE1100ELNS1_3gpuE3ELNS1_3repE0EEENS1_30default_config_static_selectorELNS0_4arch9wavefront6targetE1EEEvT1_
		.amdhsa_group_segment_fixed_size 0
		.amdhsa_private_segment_fixed_size 0
		.amdhsa_kernarg_size 56
		.amdhsa_user_sgpr_count 2
		.amdhsa_user_sgpr_dispatch_ptr 0
		.amdhsa_user_sgpr_queue_ptr 0
		.amdhsa_user_sgpr_kernarg_segment_ptr 1
		.amdhsa_user_sgpr_dispatch_id 0
		.amdhsa_user_sgpr_kernarg_preload_length 0
		.amdhsa_user_sgpr_kernarg_preload_offset 0
		.amdhsa_user_sgpr_private_segment_size 0
		.amdhsa_uses_dynamic_stack 0
		.amdhsa_enable_private_segment 0
		.amdhsa_system_sgpr_workgroup_id_x 1
		.amdhsa_system_sgpr_workgroup_id_y 0
		.amdhsa_system_sgpr_workgroup_id_z 0
		.amdhsa_system_sgpr_workgroup_info 0
		.amdhsa_system_vgpr_workitem_id 0
		.amdhsa_next_free_vgpr 1
		.amdhsa_next_free_sgpr 0
		.amdhsa_accum_offset 4
		.amdhsa_reserve_vcc 0
		.amdhsa_float_round_mode_32 0
		.amdhsa_float_round_mode_16_64 0
		.amdhsa_float_denorm_mode_32 3
		.amdhsa_float_denorm_mode_16_64 3
		.amdhsa_dx10_clamp 1
		.amdhsa_ieee_mode 1
		.amdhsa_fp16_overflow 0
		.amdhsa_tg_split 0
		.amdhsa_exception_fp_ieee_invalid_op 0
		.amdhsa_exception_fp_denorm_src 0
		.amdhsa_exception_fp_ieee_div_zero 0
		.amdhsa_exception_fp_ieee_overflow 0
		.amdhsa_exception_fp_ieee_underflow 0
		.amdhsa_exception_fp_ieee_inexact 0
		.amdhsa_exception_int_div_zero 0
	.end_amdhsa_kernel
	.section	.text._ZN7rocprim17ROCPRIM_400000_NS6detail17trampoline_kernelINS0_14default_configENS1_35adjacent_difference_config_selectorILb0EdEEZNS1_24adjacent_difference_implIS3_Lb0ELb0EPdS7_N6thrust23THRUST_200600_302600_NS5minusIdEEEE10hipError_tPvRmT2_T3_mT4_P12ihipStream_tbEUlT_E_NS1_11comp_targetILNS1_3genE9ELNS1_11target_archE1100ELNS1_3gpuE3ELNS1_3repE0EEENS1_30default_config_static_selectorELNS0_4arch9wavefront6targetE1EEEvT1_,"axG",@progbits,_ZN7rocprim17ROCPRIM_400000_NS6detail17trampoline_kernelINS0_14default_configENS1_35adjacent_difference_config_selectorILb0EdEEZNS1_24adjacent_difference_implIS3_Lb0ELb0EPdS7_N6thrust23THRUST_200600_302600_NS5minusIdEEEE10hipError_tPvRmT2_T3_mT4_P12ihipStream_tbEUlT_E_NS1_11comp_targetILNS1_3genE9ELNS1_11target_archE1100ELNS1_3gpuE3ELNS1_3repE0EEENS1_30default_config_static_selectorELNS0_4arch9wavefront6targetE1EEEvT1_,comdat
.Lfunc_end422:
	.size	_ZN7rocprim17ROCPRIM_400000_NS6detail17trampoline_kernelINS0_14default_configENS1_35adjacent_difference_config_selectorILb0EdEEZNS1_24adjacent_difference_implIS3_Lb0ELb0EPdS7_N6thrust23THRUST_200600_302600_NS5minusIdEEEE10hipError_tPvRmT2_T3_mT4_P12ihipStream_tbEUlT_E_NS1_11comp_targetILNS1_3genE9ELNS1_11target_archE1100ELNS1_3gpuE3ELNS1_3repE0EEENS1_30default_config_static_selectorELNS0_4arch9wavefront6targetE1EEEvT1_, .Lfunc_end422-_ZN7rocprim17ROCPRIM_400000_NS6detail17trampoline_kernelINS0_14default_configENS1_35adjacent_difference_config_selectorILb0EdEEZNS1_24adjacent_difference_implIS3_Lb0ELb0EPdS7_N6thrust23THRUST_200600_302600_NS5minusIdEEEE10hipError_tPvRmT2_T3_mT4_P12ihipStream_tbEUlT_E_NS1_11comp_targetILNS1_3genE9ELNS1_11target_archE1100ELNS1_3gpuE3ELNS1_3repE0EEENS1_30default_config_static_selectorELNS0_4arch9wavefront6targetE1EEEvT1_
                                        ; -- End function
	.section	.AMDGPU.csdata,"",@progbits
; Kernel info:
; codeLenInByte = 0
; NumSgprs: 6
; NumVgprs: 0
; NumAgprs: 0
; TotalNumVgprs: 0
; ScratchSize: 0
; MemoryBound: 0
; FloatMode: 240
; IeeeMode: 1
; LDSByteSize: 0 bytes/workgroup (compile time only)
; SGPRBlocks: 0
; VGPRBlocks: 0
; NumSGPRsForWavesPerEU: 6
; NumVGPRsForWavesPerEU: 1
; AccumOffset: 4
; Occupancy: 8
; WaveLimiterHint : 0
; COMPUTE_PGM_RSRC2:SCRATCH_EN: 0
; COMPUTE_PGM_RSRC2:USER_SGPR: 2
; COMPUTE_PGM_RSRC2:TRAP_HANDLER: 0
; COMPUTE_PGM_RSRC2:TGID_X_EN: 1
; COMPUTE_PGM_RSRC2:TGID_Y_EN: 0
; COMPUTE_PGM_RSRC2:TGID_Z_EN: 0
; COMPUTE_PGM_RSRC2:TIDIG_COMP_CNT: 0
; COMPUTE_PGM_RSRC3_GFX90A:ACCUM_OFFSET: 0
; COMPUTE_PGM_RSRC3_GFX90A:TG_SPLIT: 0
	.section	.text._ZN7rocprim17ROCPRIM_400000_NS6detail17trampoline_kernelINS0_14default_configENS1_35adjacent_difference_config_selectorILb0EdEEZNS1_24adjacent_difference_implIS3_Lb0ELb0EPdS7_N6thrust23THRUST_200600_302600_NS5minusIdEEEE10hipError_tPvRmT2_T3_mT4_P12ihipStream_tbEUlT_E_NS1_11comp_targetILNS1_3genE8ELNS1_11target_archE1030ELNS1_3gpuE2ELNS1_3repE0EEENS1_30default_config_static_selectorELNS0_4arch9wavefront6targetE1EEEvT1_,"axG",@progbits,_ZN7rocprim17ROCPRIM_400000_NS6detail17trampoline_kernelINS0_14default_configENS1_35adjacent_difference_config_selectorILb0EdEEZNS1_24adjacent_difference_implIS3_Lb0ELb0EPdS7_N6thrust23THRUST_200600_302600_NS5minusIdEEEE10hipError_tPvRmT2_T3_mT4_P12ihipStream_tbEUlT_E_NS1_11comp_targetILNS1_3genE8ELNS1_11target_archE1030ELNS1_3gpuE2ELNS1_3repE0EEENS1_30default_config_static_selectorELNS0_4arch9wavefront6targetE1EEEvT1_,comdat
	.protected	_ZN7rocprim17ROCPRIM_400000_NS6detail17trampoline_kernelINS0_14default_configENS1_35adjacent_difference_config_selectorILb0EdEEZNS1_24adjacent_difference_implIS3_Lb0ELb0EPdS7_N6thrust23THRUST_200600_302600_NS5minusIdEEEE10hipError_tPvRmT2_T3_mT4_P12ihipStream_tbEUlT_E_NS1_11comp_targetILNS1_3genE8ELNS1_11target_archE1030ELNS1_3gpuE2ELNS1_3repE0EEENS1_30default_config_static_selectorELNS0_4arch9wavefront6targetE1EEEvT1_ ; -- Begin function _ZN7rocprim17ROCPRIM_400000_NS6detail17trampoline_kernelINS0_14default_configENS1_35adjacent_difference_config_selectorILb0EdEEZNS1_24adjacent_difference_implIS3_Lb0ELb0EPdS7_N6thrust23THRUST_200600_302600_NS5minusIdEEEE10hipError_tPvRmT2_T3_mT4_P12ihipStream_tbEUlT_E_NS1_11comp_targetILNS1_3genE8ELNS1_11target_archE1030ELNS1_3gpuE2ELNS1_3repE0EEENS1_30default_config_static_selectorELNS0_4arch9wavefront6targetE1EEEvT1_
	.globl	_ZN7rocprim17ROCPRIM_400000_NS6detail17trampoline_kernelINS0_14default_configENS1_35adjacent_difference_config_selectorILb0EdEEZNS1_24adjacent_difference_implIS3_Lb0ELb0EPdS7_N6thrust23THRUST_200600_302600_NS5minusIdEEEE10hipError_tPvRmT2_T3_mT4_P12ihipStream_tbEUlT_E_NS1_11comp_targetILNS1_3genE8ELNS1_11target_archE1030ELNS1_3gpuE2ELNS1_3repE0EEENS1_30default_config_static_selectorELNS0_4arch9wavefront6targetE1EEEvT1_
	.p2align	8
	.type	_ZN7rocprim17ROCPRIM_400000_NS6detail17trampoline_kernelINS0_14default_configENS1_35adjacent_difference_config_selectorILb0EdEEZNS1_24adjacent_difference_implIS3_Lb0ELb0EPdS7_N6thrust23THRUST_200600_302600_NS5minusIdEEEE10hipError_tPvRmT2_T3_mT4_P12ihipStream_tbEUlT_E_NS1_11comp_targetILNS1_3genE8ELNS1_11target_archE1030ELNS1_3gpuE2ELNS1_3repE0EEENS1_30default_config_static_selectorELNS0_4arch9wavefront6targetE1EEEvT1_,@function
_ZN7rocprim17ROCPRIM_400000_NS6detail17trampoline_kernelINS0_14default_configENS1_35adjacent_difference_config_selectorILb0EdEEZNS1_24adjacent_difference_implIS3_Lb0ELb0EPdS7_N6thrust23THRUST_200600_302600_NS5minusIdEEEE10hipError_tPvRmT2_T3_mT4_P12ihipStream_tbEUlT_E_NS1_11comp_targetILNS1_3genE8ELNS1_11target_archE1030ELNS1_3gpuE2ELNS1_3repE0EEENS1_30default_config_static_selectorELNS0_4arch9wavefront6targetE1EEEvT1_: ; @_ZN7rocprim17ROCPRIM_400000_NS6detail17trampoline_kernelINS0_14default_configENS1_35adjacent_difference_config_selectorILb0EdEEZNS1_24adjacent_difference_implIS3_Lb0ELb0EPdS7_N6thrust23THRUST_200600_302600_NS5minusIdEEEE10hipError_tPvRmT2_T3_mT4_P12ihipStream_tbEUlT_E_NS1_11comp_targetILNS1_3genE8ELNS1_11target_archE1030ELNS1_3gpuE2ELNS1_3repE0EEENS1_30default_config_static_selectorELNS0_4arch9wavefront6targetE1EEEvT1_
; %bb.0:
	.section	.rodata,"a",@progbits
	.p2align	6, 0x0
	.amdhsa_kernel _ZN7rocprim17ROCPRIM_400000_NS6detail17trampoline_kernelINS0_14default_configENS1_35adjacent_difference_config_selectorILb0EdEEZNS1_24adjacent_difference_implIS3_Lb0ELb0EPdS7_N6thrust23THRUST_200600_302600_NS5minusIdEEEE10hipError_tPvRmT2_T3_mT4_P12ihipStream_tbEUlT_E_NS1_11comp_targetILNS1_3genE8ELNS1_11target_archE1030ELNS1_3gpuE2ELNS1_3repE0EEENS1_30default_config_static_selectorELNS0_4arch9wavefront6targetE1EEEvT1_
		.amdhsa_group_segment_fixed_size 0
		.amdhsa_private_segment_fixed_size 0
		.amdhsa_kernarg_size 56
		.amdhsa_user_sgpr_count 2
		.amdhsa_user_sgpr_dispatch_ptr 0
		.amdhsa_user_sgpr_queue_ptr 0
		.amdhsa_user_sgpr_kernarg_segment_ptr 1
		.amdhsa_user_sgpr_dispatch_id 0
		.amdhsa_user_sgpr_kernarg_preload_length 0
		.amdhsa_user_sgpr_kernarg_preload_offset 0
		.amdhsa_user_sgpr_private_segment_size 0
		.amdhsa_uses_dynamic_stack 0
		.amdhsa_enable_private_segment 0
		.amdhsa_system_sgpr_workgroup_id_x 1
		.amdhsa_system_sgpr_workgroup_id_y 0
		.amdhsa_system_sgpr_workgroup_id_z 0
		.amdhsa_system_sgpr_workgroup_info 0
		.amdhsa_system_vgpr_workitem_id 0
		.amdhsa_next_free_vgpr 1
		.amdhsa_next_free_sgpr 0
		.amdhsa_accum_offset 4
		.amdhsa_reserve_vcc 0
		.amdhsa_float_round_mode_32 0
		.amdhsa_float_round_mode_16_64 0
		.amdhsa_float_denorm_mode_32 3
		.amdhsa_float_denorm_mode_16_64 3
		.amdhsa_dx10_clamp 1
		.amdhsa_ieee_mode 1
		.amdhsa_fp16_overflow 0
		.amdhsa_tg_split 0
		.amdhsa_exception_fp_ieee_invalid_op 0
		.amdhsa_exception_fp_denorm_src 0
		.amdhsa_exception_fp_ieee_div_zero 0
		.amdhsa_exception_fp_ieee_overflow 0
		.amdhsa_exception_fp_ieee_underflow 0
		.amdhsa_exception_fp_ieee_inexact 0
		.amdhsa_exception_int_div_zero 0
	.end_amdhsa_kernel
	.section	.text._ZN7rocprim17ROCPRIM_400000_NS6detail17trampoline_kernelINS0_14default_configENS1_35adjacent_difference_config_selectorILb0EdEEZNS1_24adjacent_difference_implIS3_Lb0ELb0EPdS7_N6thrust23THRUST_200600_302600_NS5minusIdEEEE10hipError_tPvRmT2_T3_mT4_P12ihipStream_tbEUlT_E_NS1_11comp_targetILNS1_3genE8ELNS1_11target_archE1030ELNS1_3gpuE2ELNS1_3repE0EEENS1_30default_config_static_selectorELNS0_4arch9wavefront6targetE1EEEvT1_,"axG",@progbits,_ZN7rocprim17ROCPRIM_400000_NS6detail17trampoline_kernelINS0_14default_configENS1_35adjacent_difference_config_selectorILb0EdEEZNS1_24adjacent_difference_implIS3_Lb0ELb0EPdS7_N6thrust23THRUST_200600_302600_NS5minusIdEEEE10hipError_tPvRmT2_T3_mT4_P12ihipStream_tbEUlT_E_NS1_11comp_targetILNS1_3genE8ELNS1_11target_archE1030ELNS1_3gpuE2ELNS1_3repE0EEENS1_30default_config_static_selectorELNS0_4arch9wavefront6targetE1EEEvT1_,comdat
.Lfunc_end423:
	.size	_ZN7rocprim17ROCPRIM_400000_NS6detail17trampoline_kernelINS0_14default_configENS1_35adjacent_difference_config_selectorILb0EdEEZNS1_24adjacent_difference_implIS3_Lb0ELb0EPdS7_N6thrust23THRUST_200600_302600_NS5minusIdEEEE10hipError_tPvRmT2_T3_mT4_P12ihipStream_tbEUlT_E_NS1_11comp_targetILNS1_3genE8ELNS1_11target_archE1030ELNS1_3gpuE2ELNS1_3repE0EEENS1_30default_config_static_selectorELNS0_4arch9wavefront6targetE1EEEvT1_, .Lfunc_end423-_ZN7rocprim17ROCPRIM_400000_NS6detail17trampoline_kernelINS0_14default_configENS1_35adjacent_difference_config_selectorILb0EdEEZNS1_24adjacent_difference_implIS3_Lb0ELb0EPdS7_N6thrust23THRUST_200600_302600_NS5minusIdEEEE10hipError_tPvRmT2_T3_mT4_P12ihipStream_tbEUlT_E_NS1_11comp_targetILNS1_3genE8ELNS1_11target_archE1030ELNS1_3gpuE2ELNS1_3repE0EEENS1_30default_config_static_selectorELNS0_4arch9wavefront6targetE1EEEvT1_
                                        ; -- End function
	.section	.AMDGPU.csdata,"",@progbits
; Kernel info:
; codeLenInByte = 0
; NumSgprs: 6
; NumVgprs: 0
; NumAgprs: 0
; TotalNumVgprs: 0
; ScratchSize: 0
; MemoryBound: 0
; FloatMode: 240
; IeeeMode: 1
; LDSByteSize: 0 bytes/workgroup (compile time only)
; SGPRBlocks: 0
; VGPRBlocks: 0
; NumSGPRsForWavesPerEU: 6
; NumVGPRsForWavesPerEU: 1
; AccumOffset: 4
; Occupancy: 8
; WaveLimiterHint : 0
; COMPUTE_PGM_RSRC2:SCRATCH_EN: 0
; COMPUTE_PGM_RSRC2:USER_SGPR: 2
; COMPUTE_PGM_RSRC2:TRAP_HANDLER: 0
; COMPUTE_PGM_RSRC2:TGID_X_EN: 1
; COMPUTE_PGM_RSRC2:TGID_Y_EN: 0
; COMPUTE_PGM_RSRC2:TGID_Z_EN: 0
; COMPUTE_PGM_RSRC2:TIDIG_COMP_CNT: 0
; COMPUTE_PGM_RSRC3_GFX90A:ACCUM_OFFSET: 0
; COMPUTE_PGM_RSRC3_GFX90A:TG_SPLIT: 0
	.section	.text._ZN7rocprim17ROCPRIM_400000_NS6detail17trampoline_kernelINS0_14default_configENS1_25transform_config_selectorIdLb0EEEZNS1_14transform_implILb0ES3_S5_NS0_18transform_iteratorINS0_17counting_iteratorImlEEZNS1_24adjacent_difference_implIS3_Lb1ELb0EPdSB_N6thrust23THRUST_200600_302600_NS5minusIdEEEE10hipError_tPvRmT2_T3_mT4_P12ihipStream_tbEUlmE_dEESB_NS0_8identityIvEEEESG_SJ_SK_mSL_SN_bEUlT_E_NS1_11comp_targetILNS1_3genE0ELNS1_11target_archE4294967295ELNS1_3gpuE0ELNS1_3repE0EEENS1_30default_config_static_selectorELNS0_4arch9wavefront6targetE1EEEvT1_,"axG",@progbits,_ZN7rocprim17ROCPRIM_400000_NS6detail17trampoline_kernelINS0_14default_configENS1_25transform_config_selectorIdLb0EEEZNS1_14transform_implILb0ES3_S5_NS0_18transform_iteratorINS0_17counting_iteratorImlEEZNS1_24adjacent_difference_implIS3_Lb1ELb0EPdSB_N6thrust23THRUST_200600_302600_NS5minusIdEEEE10hipError_tPvRmT2_T3_mT4_P12ihipStream_tbEUlmE_dEESB_NS0_8identityIvEEEESG_SJ_SK_mSL_SN_bEUlT_E_NS1_11comp_targetILNS1_3genE0ELNS1_11target_archE4294967295ELNS1_3gpuE0ELNS1_3repE0EEENS1_30default_config_static_selectorELNS0_4arch9wavefront6targetE1EEEvT1_,comdat
	.protected	_ZN7rocprim17ROCPRIM_400000_NS6detail17trampoline_kernelINS0_14default_configENS1_25transform_config_selectorIdLb0EEEZNS1_14transform_implILb0ES3_S5_NS0_18transform_iteratorINS0_17counting_iteratorImlEEZNS1_24adjacent_difference_implIS3_Lb1ELb0EPdSB_N6thrust23THRUST_200600_302600_NS5minusIdEEEE10hipError_tPvRmT2_T3_mT4_P12ihipStream_tbEUlmE_dEESB_NS0_8identityIvEEEESG_SJ_SK_mSL_SN_bEUlT_E_NS1_11comp_targetILNS1_3genE0ELNS1_11target_archE4294967295ELNS1_3gpuE0ELNS1_3repE0EEENS1_30default_config_static_selectorELNS0_4arch9wavefront6targetE1EEEvT1_ ; -- Begin function _ZN7rocprim17ROCPRIM_400000_NS6detail17trampoline_kernelINS0_14default_configENS1_25transform_config_selectorIdLb0EEEZNS1_14transform_implILb0ES3_S5_NS0_18transform_iteratorINS0_17counting_iteratorImlEEZNS1_24adjacent_difference_implIS3_Lb1ELb0EPdSB_N6thrust23THRUST_200600_302600_NS5minusIdEEEE10hipError_tPvRmT2_T3_mT4_P12ihipStream_tbEUlmE_dEESB_NS0_8identityIvEEEESG_SJ_SK_mSL_SN_bEUlT_E_NS1_11comp_targetILNS1_3genE0ELNS1_11target_archE4294967295ELNS1_3gpuE0ELNS1_3repE0EEENS1_30default_config_static_selectorELNS0_4arch9wavefront6targetE1EEEvT1_
	.globl	_ZN7rocprim17ROCPRIM_400000_NS6detail17trampoline_kernelINS0_14default_configENS1_25transform_config_selectorIdLb0EEEZNS1_14transform_implILb0ES3_S5_NS0_18transform_iteratorINS0_17counting_iteratorImlEEZNS1_24adjacent_difference_implIS3_Lb1ELb0EPdSB_N6thrust23THRUST_200600_302600_NS5minusIdEEEE10hipError_tPvRmT2_T3_mT4_P12ihipStream_tbEUlmE_dEESB_NS0_8identityIvEEEESG_SJ_SK_mSL_SN_bEUlT_E_NS1_11comp_targetILNS1_3genE0ELNS1_11target_archE4294967295ELNS1_3gpuE0ELNS1_3repE0EEENS1_30default_config_static_selectorELNS0_4arch9wavefront6targetE1EEEvT1_
	.p2align	8
	.type	_ZN7rocprim17ROCPRIM_400000_NS6detail17trampoline_kernelINS0_14default_configENS1_25transform_config_selectorIdLb0EEEZNS1_14transform_implILb0ES3_S5_NS0_18transform_iteratorINS0_17counting_iteratorImlEEZNS1_24adjacent_difference_implIS3_Lb1ELb0EPdSB_N6thrust23THRUST_200600_302600_NS5minusIdEEEE10hipError_tPvRmT2_T3_mT4_P12ihipStream_tbEUlmE_dEESB_NS0_8identityIvEEEESG_SJ_SK_mSL_SN_bEUlT_E_NS1_11comp_targetILNS1_3genE0ELNS1_11target_archE4294967295ELNS1_3gpuE0ELNS1_3repE0EEENS1_30default_config_static_selectorELNS0_4arch9wavefront6targetE1EEEvT1_,@function
_ZN7rocprim17ROCPRIM_400000_NS6detail17trampoline_kernelINS0_14default_configENS1_25transform_config_selectorIdLb0EEEZNS1_14transform_implILb0ES3_S5_NS0_18transform_iteratorINS0_17counting_iteratorImlEEZNS1_24adjacent_difference_implIS3_Lb1ELb0EPdSB_N6thrust23THRUST_200600_302600_NS5minusIdEEEE10hipError_tPvRmT2_T3_mT4_P12ihipStream_tbEUlmE_dEESB_NS0_8identityIvEEEESG_SJ_SK_mSL_SN_bEUlT_E_NS1_11comp_targetILNS1_3genE0ELNS1_11target_archE4294967295ELNS1_3gpuE0ELNS1_3repE0EEENS1_30default_config_static_selectorELNS0_4arch9wavefront6targetE1EEEvT1_: ; @_ZN7rocprim17ROCPRIM_400000_NS6detail17trampoline_kernelINS0_14default_configENS1_25transform_config_selectorIdLb0EEEZNS1_14transform_implILb0ES3_S5_NS0_18transform_iteratorINS0_17counting_iteratorImlEEZNS1_24adjacent_difference_implIS3_Lb1ELb0EPdSB_N6thrust23THRUST_200600_302600_NS5minusIdEEEE10hipError_tPvRmT2_T3_mT4_P12ihipStream_tbEUlmE_dEESB_NS0_8identityIvEEEESG_SJ_SK_mSL_SN_bEUlT_E_NS1_11comp_targetILNS1_3genE0ELNS1_11target_archE4294967295ELNS1_3gpuE0ELNS1_3repE0EEENS1_30default_config_static_selectorELNS0_4arch9wavefront6targetE1EEEvT1_
; %bb.0:
	.section	.rodata,"a",@progbits
	.p2align	6, 0x0
	.amdhsa_kernel _ZN7rocprim17ROCPRIM_400000_NS6detail17trampoline_kernelINS0_14default_configENS1_25transform_config_selectorIdLb0EEEZNS1_14transform_implILb0ES3_S5_NS0_18transform_iteratorINS0_17counting_iteratorImlEEZNS1_24adjacent_difference_implIS3_Lb1ELb0EPdSB_N6thrust23THRUST_200600_302600_NS5minusIdEEEE10hipError_tPvRmT2_T3_mT4_P12ihipStream_tbEUlmE_dEESB_NS0_8identityIvEEEESG_SJ_SK_mSL_SN_bEUlT_E_NS1_11comp_targetILNS1_3genE0ELNS1_11target_archE4294967295ELNS1_3gpuE0ELNS1_3repE0EEENS1_30default_config_static_selectorELNS0_4arch9wavefront6targetE1EEEvT1_
		.amdhsa_group_segment_fixed_size 0
		.amdhsa_private_segment_fixed_size 0
		.amdhsa_kernarg_size 56
		.amdhsa_user_sgpr_count 2
		.amdhsa_user_sgpr_dispatch_ptr 0
		.amdhsa_user_sgpr_queue_ptr 0
		.amdhsa_user_sgpr_kernarg_segment_ptr 1
		.amdhsa_user_sgpr_dispatch_id 0
		.amdhsa_user_sgpr_kernarg_preload_length 0
		.amdhsa_user_sgpr_kernarg_preload_offset 0
		.amdhsa_user_sgpr_private_segment_size 0
		.amdhsa_uses_dynamic_stack 0
		.amdhsa_enable_private_segment 0
		.amdhsa_system_sgpr_workgroup_id_x 1
		.amdhsa_system_sgpr_workgroup_id_y 0
		.amdhsa_system_sgpr_workgroup_id_z 0
		.amdhsa_system_sgpr_workgroup_info 0
		.amdhsa_system_vgpr_workitem_id 0
		.amdhsa_next_free_vgpr 1
		.amdhsa_next_free_sgpr 0
		.amdhsa_accum_offset 4
		.amdhsa_reserve_vcc 0
		.amdhsa_float_round_mode_32 0
		.amdhsa_float_round_mode_16_64 0
		.amdhsa_float_denorm_mode_32 3
		.amdhsa_float_denorm_mode_16_64 3
		.amdhsa_dx10_clamp 1
		.amdhsa_ieee_mode 1
		.amdhsa_fp16_overflow 0
		.amdhsa_tg_split 0
		.amdhsa_exception_fp_ieee_invalid_op 0
		.amdhsa_exception_fp_denorm_src 0
		.amdhsa_exception_fp_ieee_div_zero 0
		.amdhsa_exception_fp_ieee_overflow 0
		.amdhsa_exception_fp_ieee_underflow 0
		.amdhsa_exception_fp_ieee_inexact 0
		.amdhsa_exception_int_div_zero 0
	.end_amdhsa_kernel
	.section	.text._ZN7rocprim17ROCPRIM_400000_NS6detail17trampoline_kernelINS0_14default_configENS1_25transform_config_selectorIdLb0EEEZNS1_14transform_implILb0ES3_S5_NS0_18transform_iteratorINS0_17counting_iteratorImlEEZNS1_24adjacent_difference_implIS3_Lb1ELb0EPdSB_N6thrust23THRUST_200600_302600_NS5minusIdEEEE10hipError_tPvRmT2_T3_mT4_P12ihipStream_tbEUlmE_dEESB_NS0_8identityIvEEEESG_SJ_SK_mSL_SN_bEUlT_E_NS1_11comp_targetILNS1_3genE0ELNS1_11target_archE4294967295ELNS1_3gpuE0ELNS1_3repE0EEENS1_30default_config_static_selectorELNS0_4arch9wavefront6targetE1EEEvT1_,"axG",@progbits,_ZN7rocprim17ROCPRIM_400000_NS6detail17trampoline_kernelINS0_14default_configENS1_25transform_config_selectorIdLb0EEEZNS1_14transform_implILb0ES3_S5_NS0_18transform_iteratorINS0_17counting_iteratorImlEEZNS1_24adjacent_difference_implIS3_Lb1ELb0EPdSB_N6thrust23THRUST_200600_302600_NS5minusIdEEEE10hipError_tPvRmT2_T3_mT4_P12ihipStream_tbEUlmE_dEESB_NS0_8identityIvEEEESG_SJ_SK_mSL_SN_bEUlT_E_NS1_11comp_targetILNS1_3genE0ELNS1_11target_archE4294967295ELNS1_3gpuE0ELNS1_3repE0EEENS1_30default_config_static_selectorELNS0_4arch9wavefront6targetE1EEEvT1_,comdat
.Lfunc_end424:
	.size	_ZN7rocprim17ROCPRIM_400000_NS6detail17trampoline_kernelINS0_14default_configENS1_25transform_config_selectorIdLb0EEEZNS1_14transform_implILb0ES3_S5_NS0_18transform_iteratorINS0_17counting_iteratorImlEEZNS1_24adjacent_difference_implIS3_Lb1ELb0EPdSB_N6thrust23THRUST_200600_302600_NS5minusIdEEEE10hipError_tPvRmT2_T3_mT4_P12ihipStream_tbEUlmE_dEESB_NS0_8identityIvEEEESG_SJ_SK_mSL_SN_bEUlT_E_NS1_11comp_targetILNS1_3genE0ELNS1_11target_archE4294967295ELNS1_3gpuE0ELNS1_3repE0EEENS1_30default_config_static_selectorELNS0_4arch9wavefront6targetE1EEEvT1_, .Lfunc_end424-_ZN7rocprim17ROCPRIM_400000_NS6detail17trampoline_kernelINS0_14default_configENS1_25transform_config_selectorIdLb0EEEZNS1_14transform_implILb0ES3_S5_NS0_18transform_iteratorINS0_17counting_iteratorImlEEZNS1_24adjacent_difference_implIS3_Lb1ELb0EPdSB_N6thrust23THRUST_200600_302600_NS5minusIdEEEE10hipError_tPvRmT2_T3_mT4_P12ihipStream_tbEUlmE_dEESB_NS0_8identityIvEEEESG_SJ_SK_mSL_SN_bEUlT_E_NS1_11comp_targetILNS1_3genE0ELNS1_11target_archE4294967295ELNS1_3gpuE0ELNS1_3repE0EEENS1_30default_config_static_selectorELNS0_4arch9wavefront6targetE1EEEvT1_
                                        ; -- End function
	.section	.AMDGPU.csdata,"",@progbits
; Kernel info:
; codeLenInByte = 0
; NumSgprs: 6
; NumVgprs: 0
; NumAgprs: 0
; TotalNumVgprs: 0
; ScratchSize: 0
; MemoryBound: 0
; FloatMode: 240
; IeeeMode: 1
; LDSByteSize: 0 bytes/workgroup (compile time only)
; SGPRBlocks: 0
; VGPRBlocks: 0
; NumSGPRsForWavesPerEU: 6
; NumVGPRsForWavesPerEU: 1
; AccumOffset: 4
; Occupancy: 8
; WaveLimiterHint : 0
; COMPUTE_PGM_RSRC2:SCRATCH_EN: 0
; COMPUTE_PGM_RSRC2:USER_SGPR: 2
; COMPUTE_PGM_RSRC2:TRAP_HANDLER: 0
; COMPUTE_PGM_RSRC2:TGID_X_EN: 1
; COMPUTE_PGM_RSRC2:TGID_Y_EN: 0
; COMPUTE_PGM_RSRC2:TGID_Z_EN: 0
; COMPUTE_PGM_RSRC2:TIDIG_COMP_CNT: 0
; COMPUTE_PGM_RSRC3_GFX90A:ACCUM_OFFSET: 0
; COMPUTE_PGM_RSRC3_GFX90A:TG_SPLIT: 0
	.section	.text._ZN7rocprim17ROCPRIM_400000_NS6detail17trampoline_kernelINS0_14default_configENS1_25transform_config_selectorIdLb0EEEZNS1_14transform_implILb0ES3_S5_NS0_18transform_iteratorINS0_17counting_iteratorImlEEZNS1_24adjacent_difference_implIS3_Lb1ELb0EPdSB_N6thrust23THRUST_200600_302600_NS5minusIdEEEE10hipError_tPvRmT2_T3_mT4_P12ihipStream_tbEUlmE_dEESB_NS0_8identityIvEEEESG_SJ_SK_mSL_SN_bEUlT_E_NS1_11comp_targetILNS1_3genE5ELNS1_11target_archE942ELNS1_3gpuE9ELNS1_3repE0EEENS1_30default_config_static_selectorELNS0_4arch9wavefront6targetE1EEEvT1_,"axG",@progbits,_ZN7rocprim17ROCPRIM_400000_NS6detail17trampoline_kernelINS0_14default_configENS1_25transform_config_selectorIdLb0EEEZNS1_14transform_implILb0ES3_S5_NS0_18transform_iteratorINS0_17counting_iteratorImlEEZNS1_24adjacent_difference_implIS3_Lb1ELb0EPdSB_N6thrust23THRUST_200600_302600_NS5minusIdEEEE10hipError_tPvRmT2_T3_mT4_P12ihipStream_tbEUlmE_dEESB_NS0_8identityIvEEEESG_SJ_SK_mSL_SN_bEUlT_E_NS1_11comp_targetILNS1_3genE5ELNS1_11target_archE942ELNS1_3gpuE9ELNS1_3repE0EEENS1_30default_config_static_selectorELNS0_4arch9wavefront6targetE1EEEvT1_,comdat
	.protected	_ZN7rocprim17ROCPRIM_400000_NS6detail17trampoline_kernelINS0_14default_configENS1_25transform_config_selectorIdLb0EEEZNS1_14transform_implILb0ES3_S5_NS0_18transform_iteratorINS0_17counting_iteratorImlEEZNS1_24adjacent_difference_implIS3_Lb1ELb0EPdSB_N6thrust23THRUST_200600_302600_NS5minusIdEEEE10hipError_tPvRmT2_T3_mT4_P12ihipStream_tbEUlmE_dEESB_NS0_8identityIvEEEESG_SJ_SK_mSL_SN_bEUlT_E_NS1_11comp_targetILNS1_3genE5ELNS1_11target_archE942ELNS1_3gpuE9ELNS1_3repE0EEENS1_30default_config_static_selectorELNS0_4arch9wavefront6targetE1EEEvT1_ ; -- Begin function _ZN7rocprim17ROCPRIM_400000_NS6detail17trampoline_kernelINS0_14default_configENS1_25transform_config_selectorIdLb0EEEZNS1_14transform_implILb0ES3_S5_NS0_18transform_iteratorINS0_17counting_iteratorImlEEZNS1_24adjacent_difference_implIS3_Lb1ELb0EPdSB_N6thrust23THRUST_200600_302600_NS5minusIdEEEE10hipError_tPvRmT2_T3_mT4_P12ihipStream_tbEUlmE_dEESB_NS0_8identityIvEEEESG_SJ_SK_mSL_SN_bEUlT_E_NS1_11comp_targetILNS1_3genE5ELNS1_11target_archE942ELNS1_3gpuE9ELNS1_3repE0EEENS1_30default_config_static_selectorELNS0_4arch9wavefront6targetE1EEEvT1_
	.globl	_ZN7rocprim17ROCPRIM_400000_NS6detail17trampoline_kernelINS0_14default_configENS1_25transform_config_selectorIdLb0EEEZNS1_14transform_implILb0ES3_S5_NS0_18transform_iteratorINS0_17counting_iteratorImlEEZNS1_24adjacent_difference_implIS3_Lb1ELb0EPdSB_N6thrust23THRUST_200600_302600_NS5minusIdEEEE10hipError_tPvRmT2_T3_mT4_P12ihipStream_tbEUlmE_dEESB_NS0_8identityIvEEEESG_SJ_SK_mSL_SN_bEUlT_E_NS1_11comp_targetILNS1_3genE5ELNS1_11target_archE942ELNS1_3gpuE9ELNS1_3repE0EEENS1_30default_config_static_selectorELNS0_4arch9wavefront6targetE1EEEvT1_
	.p2align	8
	.type	_ZN7rocprim17ROCPRIM_400000_NS6detail17trampoline_kernelINS0_14default_configENS1_25transform_config_selectorIdLb0EEEZNS1_14transform_implILb0ES3_S5_NS0_18transform_iteratorINS0_17counting_iteratorImlEEZNS1_24adjacent_difference_implIS3_Lb1ELb0EPdSB_N6thrust23THRUST_200600_302600_NS5minusIdEEEE10hipError_tPvRmT2_T3_mT4_P12ihipStream_tbEUlmE_dEESB_NS0_8identityIvEEEESG_SJ_SK_mSL_SN_bEUlT_E_NS1_11comp_targetILNS1_3genE5ELNS1_11target_archE942ELNS1_3gpuE9ELNS1_3repE0EEENS1_30default_config_static_selectorELNS0_4arch9wavefront6targetE1EEEvT1_,@function
_ZN7rocprim17ROCPRIM_400000_NS6detail17trampoline_kernelINS0_14default_configENS1_25transform_config_selectorIdLb0EEEZNS1_14transform_implILb0ES3_S5_NS0_18transform_iteratorINS0_17counting_iteratorImlEEZNS1_24adjacent_difference_implIS3_Lb1ELb0EPdSB_N6thrust23THRUST_200600_302600_NS5minusIdEEEE10hipError_tPvRmT2_T3_mT4_P12ihipStream_tbEUlmE_dEESB_NS0_8identityIvEEEESG_SJ_SK_mSL_SN_bEUlT_E_NS1_11comp_targetILNS1_3genE5ELNS1_11target_archE942ELNS1_3gpuE9ELNS1_3repE0EEENS1_30default_config_static_selectorELNS0_4arch9wavefront6targetE1EEEvT1_: ; @_ZN7rocprim17ROCPRIM_400000_NS6detail17trampoline_kernelINS0_14default_configENS1_25transform_config_selectorIdLb0EEEZNS1_14transform_implILb0ES3_S5_NS0_18transform_iteratorINS0_17counting_iteratorImlEEZNS1_24adjacent_difference_implIS3_Lb1ELb0EPdSB_N6thrust23THRUST_200600_302600_NS5minusIdEEEE10hipError_tPvRmT2_T3_mT4_P12ihipStream_tbEUlmE_dEESB_NS0_8identityIvEEEESG_SJ_SK_mSL_SN_bEUlT_E_NS1_11comp_targetILNS1_3genE5ELNS1_11target_archE942ELNS1_3gpuE9ELNS1_3repE0EEENS1_30default_config_static_selectorELNS0_4arch9wavefront6targetE1EEEvT1_
; %bb.0:
	s_load_dwordx4 s[8:11], s[0:1], 0x18
	s_load_dwordx2 s[14:15], s[0:1], 0x28
	s_load_dwordx4 s[4:7], s[0:1], 0x0
	s_load_dword s12, s[0:1], 0x10
	s_load_dword s3, s[0:1], 0x38
	s_waitcnt lgkmcnt(0)
	s_lshl_b64 s[0:1], s[8:9], 3
	s_add_u32 s16, s14, s0
	s_addc_u32 s17, s15, s1
	s_lshl_b32 s14, s2, 11
	s_add_i32 s3, s3, -1
	s_add_u32 s0, s4, s14
	s_addc_u32 s1, s5, 0
	s_add_u32 s4, s0, s8
	s_addc_u32 s5, s1, s9
	s_mov_b32 s15, 0
	s_cmp_lg_u32 s2, s3
	v_lshlrev_b32_e32 v10, 3, v0
	s_cbranch_scc0 .LBB425_2
; %bb.1:
	v_mov_b32_e32 v1, 0
	v_lshl_add_u64 v[2:3], s[4:5], 0, v[0:1]
	v_mad_u64_u32 v[4:5], s[0:1], v2, s12, 0
	v_mov_b32_e32 v2, v5
	v_mad_u64_u32 v[2:3], s[0:1], v3, s12, v[2:3]
	s_mov_b32 s13, s15
	v_mov_b32_e32 v5, v2
	v_lshl_add_u64 v[2:3], v[4:5], 3, s[6:7]
	s_lshl_b64 s[0:1], s[12:13], 12
	v_lshl_add_u64 v[4:5], v[2:3], 0, s[0:1]
	v_lshl_add_u64 v[6:7], v[4:5], 0, s[0:1]
	global_load_dwordx2 v[14:15], v[2:3], off
	global_load_dwordx2 v[16:17], v[4:5], off
	;; [unrolled: 1-line block ×3, first 2 shown]
	v_lshl_add_u64 v[2:3], v[6:7], 0, s[0:1]
	global_load_dwordx2 v[8:9], v[2:3], off
	s_lshl_b64 s[2:3], s[14:15], 3
	s_add_u32 s2, s16, s2
	v_mov_b32_e32 v11, v1
	s_addc_u32 s3, s17, s3
	v_lshl_add_u64 v[12:13], s[2:3], 0, v[10:11]
	v_add_co_u32_e32 v2, vcc, 0x1000, v12
	s_nop 1
	v_addc_co_u32_e32 v3, vcc, 0, v13, vcc
	v_add_co_u32_e32 v4, vcc, 0x2000, v12
	s_mov_b64 s[8:9], -1
	s_nop 0
	v_addc_co_u32_e32 v5, vcc, 0, v13, vcc
	s_waitcnt vmcnt(3)
	global_store_dwordx2 v10, v[14:15], s[2:3]
	s_waitcnt vmcnt(3)
	global_store_dwordx2 v[2:3], v[16:17], off
	s_waitcnt vmcnt(3)
	global_store_dwordx2 v[4:5], v[18:19], off
	s_cbranch_execz .LBB425_3
	s_branch .LBB425_16
.LBB425_2:
	s_mov_b64 s[8:9], 0
                                        ; implicit-def: $vgpr8_vgpr9
                                        ; implicit-def: $vgpr12_vgpr13
.LBB425_3:
	s_sub_i32 s10, s10, s14
	v_cmp_gt_u32_e32 vcc, s10, v0
                                        ; implicit-def: $vgpr2_vgpr3_vgpr4_vgpr5_vgpr6_vgpr7_vgpr8_vgpr9
	s_and_saveexec_b64 s[0:1], vcc
	s_cbranch_execz .LBB425_5
; %bb.4:
	v_mov_b32_e32 v1, 0
	v_lshl_add_u64 v[2:3], s[4:5], 0, v[0:1]
	v_mad_u64_u32 v[4:5], s[2:3], v2, s12, 0
	v_mov_b32_e32 v2, v5
	v_mad_u64_u32 v[2:3], s[2:3], v3, s12, v[2:3]
	v_mov_b32_e32 v5, v2
	v_lshl_add_u64 v[2:3], v[4:5], 3, s[6:7]
	global_load_dwordx2 v[2:3], v[2:3], off
.LBB425_5:
	s_or_b64 exec, exec, s[0:1]
	v_or_b32_e32 v12, 0x200, v0
	v_cmp_gt_u32_e64 s[0:1], s10, v12
	s_and_saveexec_b64 s[2:3], s[0:1]
	s_cbranch_execz .LBB425_7
; %bb.6:
	v_mov_b32_e32 v13, 0
	v_lshl_add_u64 v[4:5], s[4:5], 0, v[12:13]
	v_mad_u64_u32 v[12:13], s[8:9], v4, s12, 0
	v_mov_b32_e32 v4, v13
	v_mad_u64_u32 v[4:5], s[8:9], v5, s12, v[4:5]
	v_mov_b32_e32 v13, v4
	v_lshl_add_u64 v[4:5], v[12:13], 3, s[6:7]
	global_load_dwordx2 v[4:5], v[4:5], off
.LBB425_7:
	s_or_b64 exec, exec, s[2:3]
	v_or_b32_e32 v12, 0x400, v0
	v_cmp_gt_u32_e64 s[2:3], s10, v12
	s_and_saveexec_b64 s[8:9], s[2:3]
	;; [unrolled: 15-line block ×3, first 2 shown]
	s_cbranch_execz .LBB425_11
; %bb.10:
	v_mov_b32_e32 v1, 0
	v_lshl_add_u64 v[0:1], s[4:5], 0, v[0:1]
	s_waitcnt vmcnt(3)
	v_mad_u64_u32 v[8:9], s[4:5], v0, s12, 0
	v_mov_b32_e32 v0, v9
	v_mad_u64_u32 v[0:1], s[4:5], v1, s12, v[0:1]
	v_mov_b32_e32 v9, v0
	v_lshl_add_u64 v[0:1], v[8:9], 3, s[6:7]
	global_load_dwordx2 v[8:9], v[0:1], off
.LBB425_11:
	s_or_b64 exec, exec, s[10:11]
	s_lshl_b64 s[4:5], s[14:15], 3
	s_add_u32 s4, s16, s4
	s_addc_u32 s5, s17, s5
	v_mov_b32_e32 v11, 0
	v_lshl_add_u64 v[12:13], s[4:5], 0, v[10:11]
	s_and_saveexec_b64 s[4:5], vcc
	s_cbranch_execnz .LBB425_19
; %bb.12:
	s_or_b64 exec, exec, s[4:5]
	s_and_saveexec_b64 s[4:5], s[0:1]
	s_cbranch_execnz .LBB425_20
.LBB425_13:
	s_or_b64 exec, exec, s[4:5]
	s_and_saveexec_b64 s[0:1], s[2:3]
	s_cbranch_execz .LBB425_15
.LBB425_14:
	v_add_co_u32_e32 v0, vcc, 0x2000, v12
	s_nop 1
	v_addc_co_u32_e32 v1, vcc, 0, v13, vcc
	s_waitcnt vmcnt(0)
	global_store_dwordx2 v[0:1], v[6:7], off
.LBB425_15:
	s_or_b64 exec, exec, s[0:1]
.LBB425_16:
	s_and_saveexec_b64 s[0:1], s[8:9]
	s_cbranch_execnz .LBB425_18
; %bb.17:
	s_endpgm
.LBB425_18:
	v_add_co_u32_e32 v0, vcc, 0x3000, v12
	s_nop 1
	v_addc_co_u32_e32 v1, vcc, 0, v13, vcc
	s_waitcnt vmcnt(0)
	global_store_dwordx2 v[0:1], v[8:9], off
	s_endpgm
.LBB425_19:
	s_waitcnt vmcnt(0)
	global_store_dwordx2 v[12:13], v[2:3], off
	s_or_b64 exec, exec, s[4:5]
	s_and_saveexec_b64 s[4:5], s[0:1]
	s_cbranch_execz .LBB425_13
.LBB425_20:
	v_add_co_u32_e32 v0, vcc, 0x1000, v12
	s_nop 1
	v_addc_co_u32_e32 v1, vcc, 0, v13, vcc
	s_waitcnt vmcnt(0)
	global_store_dwordx2 v[0:1], v[4:5], off
	s_or_b64 exec, exec, s[4:5]
	s_and_saveexec_b64 s[0:1], s[2:3]
	s_cbranch_execnz .LBB425_14
	s_branch .LBB425_15
	.section	.rodata,"a",@progbits
	.p2align	6, 0x0
	.amdhsa_kernel _ZN7rocprim17ROCPRIM_400000_NS6detail17trampoline_kernelINS0_14default_configENS1_25transform_config_selectorIdLb0EEEZNS1_14transform_implILb0ES3_S5_NS0_18transform_iteratorINS0_17counting_iteratorImlEEZNS1_24adjacent_difference_implIS3_Lb1ELb0EPdSB_N6thrust23THRUST_200600_302600_NS5minusIdEEEE10hipError_tPvRmT2_T3_mT4_P12ihipStream_tbEUlmE_dEESB_NS0_8identityIvEEEESG_SJ_SK_mSL_SN_bEUlT_E_NS1_11comp_targetILNS1_3genE5ELNS1_11target_archE942ELNS1_3gpuE9ELNS1_3repE0EEENS1_30default_config_static_selectorELNS0_4arch9wavefront6targetE1EEEvT1_
		.amdhsa_group_segment_fixed_size 0
		.amdhsa_private_segment_fixed_size 0
		.amdhsa_kernarg_size 312
		.amdhsa_user_sgpr_count 2
		.amdhsa_user_sgpr_dispatch_ptr 0
		.amdhsa_user_sgpr_queue_ptr 0
		.amdhsa_user_sgpr_kernarg_segment_ptr 1
		.amdhsa_user_sgpr_dispatch_id 0
		.amdhsa_user_sgpr_kernarg_preload_length 0
		.amdhsa_user_sgpr_kernarg_preload_offset 0
		.amdhsa_user_sgpr_private_segment_size 0
		.amdhsa_uses_dynamic_stack 0
		.amdhsa_enable_private_segment 0
		.amdhsa_system_sgpr_workgroup_id_x 1
		.amdhsa_system_sgpr_workgroup_id_y 0
		.amdhsa_system_sgpr_workgroup_id_z 0
		.amdhsa_system_sgpr_workgroup_info 0
		.amdhsa_system_vgpr_workitem_id 0
		.amdhsa_next_free_vgpr 20
		.amdhsa_next_free_sgpr 20
		.amdhsa_accum_offset 20
		.amdhsa_reserve_vcc 1
		.amdhsa_float_round_mode_32 0
		.amdhsa_float_round_mode_16_64 0
		.amdhsa_float_denorm_mode_32 3
		.amdhsa_float_denorm_mode_16_64 3
		.amdhsa_dx10_clamp 1
		.amdhsa_ieee_mode 1
		.amdhsa_fp16_overflow 0
		.amdhsa_tg_split 0
		.amdhsa_exception_fp_ieee_invalid_op 0
		.amdhsa_exception_fp_denorm_src 0
		.amdhsa_exception_fp_ieee_div_zero 0
		.amdhsa_exception_fp_ieee_overflow 0
		.amdhsa_exception_fp_ieee_underflow 0
		.amdhsa_exception_fp_ieee_inexact 0
		.amdhsa_exception_int_div_zero 0
	.end_amdhsa_kernel
	.section	.text._ZN7rocprim17ROCPRIM_400000_NS6detail17trampoline_kernelINS0_14default_configENS1_25transform_config_selectorIdLb0EEEZNS1_14transform_implILb0ES3_S5_NS0_18transform_iteratorINS0_17counting_iteratorImlEEZNS1_24adjacent_difference_implIS3_Lb1ELb0EPdSB_N6thrust23THRUST_200600_302600_NS5minusIdEEEE10hipError_tPvRmT2_T3_mT4_P12ihipStream_tbEUlmE_dEESB_NS0_8identityIvEEEESG_SJ_SK_mSL_SN_bEUlT_E_NS1_11comp_targetILNS1_3genE5ELNS1_11target_archE942ELNS1_3gpuE9ELNS1_3repE0EEENS1_30default_config_static_selectorELNS0_4arch9wavefront6targetE1EEEvT1_,"axG",@progbits,_ZN7rocprim17ROCPRIM_400000_NS6detail17trampoline_kernelINS0_14default_configENS1_25transform_config_selectorIdLb0EEEZNS1_14transform_implILb0ES3_S5_NS0_18transform_iteratorINS0_17counting_iteratorImlEEZNS1_24adjacent_difference_implIS3_Lb1ELb0EPdSB_N6thrust23THRUST_200600_302600_NS5minusIdEEEE10hipError_tPvRmT2_T3_mT4_P12ihipStream_tbEUlmE_dEESB_NS0_8identityIvEEEESG_SJ_SK_mSL_SN_bEUlT_E_NS1_11comp_targetILNS1_3genE5ELNS1_11target_archE942ELNS1_3gpuE9ELNS1_3repE0EEENS1_30default_config_static_selectorELNS0_4arch9wavefront6targetE1EEEvT1_,comdat
.Lfunc_end425:
	.size	_ZN7rocprim17ROCPRIM_400000_NS6detail17trampoline_kernelINS0_14default_configENS1_25transform_config_selectorIdLb0EEEZNS1_14transform_implILb0ES3_S5_NS0_18transform_iteratorINS0_17counting_iteratorImlEEZNS1_24adjacent_difference_implIS3_Lb1ELb0EPdSB_N6thrust23THRUST_200600_302600_NS5minusIdEEEE10hipError_tPvRmT2_T3_mT4_P12ihipStream_tbEUlmE_dEESB_NS0_8identityIvEEEESG_SJ_SK_mSL_SN_bEUlT_E_NS1_11comp_targetILNS1_3genE5ELNS1_11target_archE942ELNS1_3gpuE9ELNS1_3repE0EEENS1_30default_config_static_selectorELNS0_4arch9wavefront6targetE1EEEvT1_, .Lfunc_end425-_ZN7rocprim17ROCPRIM_400000_NS6detail17trampoline_kernelINS0_14default_configENS1_25transform_config_selectorIdLb0EEEZNS1_14transform_implILb0ES3_S5_NS0_18transform_iteratorINS0_17counting_iteratorImlEEZNS1_24adjacent_difference_implIS3_Lb1ELb0EPdSB_N6thrust23THRUST_200600_302600_NS5minusIdEEEE10hipError_tPvRmT2_T3_mT4_P12ihipStream_tbEUlmE_dEESB_NS0_8identityIvEEEESG_SJ_SK_mSL_SN_bEUlT_E_NS1_11comp_targetILNS1_3genE5ELNS1_11target_archE942ELNS1_3gpuE9ELNS1_3repE0EEENS1_30default_config_static_selectorELNS0_4arch9wavefront6targetE1EEEvT1_
                                        ; -- End function
	.section	.AMDGPU.csdata,"",@progbits
; Kernel info:
; codeLenInByte = 828
; NumSgprs: 26
; NumVgprs: 20
; NumAgprs: 0
; TotalNumVgprs: 20
; ScratchSize: 0
; MemoryBound: 0
; FloatMode: 240
; IeeeMode: 1
; LDSByteSize: 0 bytes/workgroup (compile time only)
; SGPRBlocks: 3
; VGPRBlocks: 2
; NumSGPRsForWavesPerEU: 26
; NumVGPRsForWavesPerEU: 20
; AccumOffset: 20
; Occupancy: 8
; WaveLimiterHint : 1
; COMPUTE_PGM_RSRC2:SCRATCH_EN: 0
; COMPUTE_PGM_RSRC2:USER_SGPR: 2
; COMPUTE_PGM_RSRC2:TRAP_HANDLER: 0
; COMPUTE_PGM_RSRC2:TGID_X_EN: 1
; COMPUTE_PGM_RSRC2:TGID_Y_EN: 0
; COMPUTE_PGM_RSRC2:TGID_Z_EN: 0
; COMPUTE_PGM_RSRC2:TIDIG_COMP_CNT: 0
; COMPUTE_PGM_RSRC3_GFX90A:ACCUM_OFFSET: 4
; COMPUTE_PGM_RSRC3_GFX90A:TG_SPLIT: 0
	.section	.text._ZN7rocprim17ROCPRIM_400000_NS6detail17trampoline_kernelINS0_14default_configENS1_25transform_config_selectorIdLb0EEEZNS1_14transform_implILb0ES3_S5_NS0_18transform_iteratorINS0_17counting_iteratorImlEEZNS1_24adjacent_difference_implIS3_Lb1ELb0EPdSB_N6thrust23THRUST_200600_302600_NS5minusIdEEEE10hipError_tPvRmT2_T3_mT4_P12ihipStream_tbEUlmE_dEESB_NS0_8identityIvEEEESG_SJ_SK_mSL_SN_bEUlT_E_NS1_11comp_targetILNS1_3genE4ELNS1_11target_archE910ELNS1_3gpuE8ELNS1_3repE0EEENS1_30default_config_static_selectorELNS0_4arch9wavefront6targetE1EEEvT1_,"axG",@progbits,_ZN7rocprim17ROCPRIM_400000_NS6detail17trampoline_kernelINS0_14default_configENS1_25transform_config_selectorIdLb0EEEZNS1_14transform_implILb0ES3_S5_NS0_18transform_iteratorINS0_17counting_iteratorImlEEZNS1_24adjacent_difference_implIS3_Lb1ELb0EPdSB_N6thrust23THRUST_200600_302600_NS5minusIdEEEE10hipError_tPvRmT2_T3_mT4_P12ihipStream_tbEUlmE_dEESB_NS0_8identityIvEEEESG_SJ_SK_mSL_SN_bEUlT_E_NS1_11comp_targetILNS1_3genE4ELNS1_11target_archE910ELNS1_3gpuE8ELNS1_3repE0EEENS1_30default_config_static_selectorELNS0_4arch9wavefront6targetE1EEEvT1_,comdat
	.protected	_ZN7rocprim17ROCPRIM_400000_NS6detail17trampoline_kernelINS0_14default_configENS1_25transform_config_selectorIdLb0EEEZNS1_14transform_implILb0ES3_S5_NS0_18transform_iteratorINS0_17counting_iteratorImlEEZNS1_24adjacent_difference_implIS3_Lb1ELb0EPdSB_N6thrust23THRUST_200600_302600_NS5minusIdEEEE10hipError_tPvRmT2_T3_mT4_P12ihipStream_tbEUlmE_dEESB_NS0_8identityIvEEEESG_SJ_SK_mSL_SN_bEUlT_E_NS1_11comp_targetILNS1_3genE4ELNS1_11target_archE910ELNS1_3gpuE8ELNS1_3repE0EEENS1_30default_config_static_selectorELNS0_4arch9wavefront6targetE1EEEvT1_ ; -- Begin function _ZN7rocprim17ROCPRIM_400000_NS6detail17trampoline_kernelINS0_14default_configENS1_25transform_config_selectorIdLb0EEEZNS1_14transform_implILb0ES3_S5_NS0_18transform_iteratorINS0_17counting_iteratorImlEEZNS1_24adjacent_difference_implIS3_Lb1ELb0EPdSB_N6thrust23THRUST_200600_302600_NS5minusIdEEEE10hipError_tPvRmT2_T3_mT4_P12ihipStream_tbEUlmE_dEESB_NS0_8identityIvEEEESG_SJ_SK_mSL_SN_bEUlT_E_NS1_11comp_targetILNS1_3genE4ELNS1_11target_archE910ELNS1_3gpuE8ELNS1_3repE0EEENS1_30default_config_static_selectorELNS0_4arch9wavefront6targetE1EEEvT1_
	.globl	_ZN7rocprim17ROCPRIM_400000_NS6detail17trampoline_kernelINS0_14default_configENS1_25transform_config_selectorIdLb0EEEZNS1_14transform_implILb0ES3_S5_NS0_18transform_iteratorINS0_17counting_iteratorImlEEZNS1_24adjacent_difference_implIS3_Lb1ELb0EPdSB_N6thrust23THRUST_200600_302600_NS5minusIdEEEE10hipError_tPvRmT2_T3_mT4_P12ihipStream_tbEUlmE_dEESB_NS0_8identityIvEEEESG_SJ_SK_mSL_SN_bEUlT_E_NS1_11comp_targetILNS1_3genE4ELNS1_11target_archE910ELNS1_3gpuE8ELNS1_3repE0EEENS1_30default_config_static_selectorELNS0_4arch9wavefront6targetE1EEEvT1_
	.p2align	8
	.type	_ZN7rocprim17ROCPRIM_400000_NS6detail17trampoline_kernelINS0_14default_configENS1_25transform_config_selectorIdLb0EEEZNS1_14transform_implILb0ES3_S5_NS0_18transform_iteratorINS0_17counting_iteratorImlEEZNS1_24adjacent_difference_implIS3_Lb1ELb0EPdSB_N6thrust23THRUST_200600_302600_NS5minusIdEEEE10hipError_tPvRmT2_T3_mT4_P12ihipStream_tbEUlmE_dEESB_NS0_8identityIvEEEESG_SJ_SK_mSL_SN_bEUlT_E_NS1_11comp_targetILNS1_3genE4ELNS1_11target_archE910ELNS1_3gpuE8ELNS1_3repE0EEENS1_30default_config_static_selectorELNS0_4arch9wavefront6targetE1EEEvT1_,@function
_ZN7rocprim17ROCPRIM_400000_NS6detail17trampoline_kernelINS0_14default_configENS1_25transform_config_selectorIdLb0EEEZNS1_14transform_implILb0ES3_S5_NS0_18transform_iteratorINS0_17counting_iteratorImlEEZNS1_24adjacent_difference_implIS3_Lb1ELb0EPdSB_N6thrust23THRUST_200600_302600_NS5minusIdEEEE10hipError_tPvRmT2_T3_mT4_P12ihipStream_tbEUlmE_dEESB_NS0_8identityIvEEEESG_SJ_SK_mSL_SN_bEUlT_E_NS1_11comp_targetILNS1_3genE4ELNS1_11target_archE910ELNS1_3gpuE8ELNS1_3repE0EEENS1_30default_config_static_selectorELNS0_4arch9wavefront6targetE1EEEvT1_: ; @_ZN7rocprim17ROCPRIM_400000_NS6detail17trampoline_kernelINS0_14default_configENS1_25transform_config_selectorIdLb0EEEZNS1_14transform_implILb0ES3_S5_NS0_18transform_iteratorINS0_17counting_iteratorImlEEZNS1_24adjacent_difference_implIS3_Lb1ELb0EPdSB_N6thrust23THRUST_200600_302600_NS5minusIdEEEE10hipError_tPvRmT2_T3_mT4_P12ihipStream_tbEUlmE_dEESB_NS0_8identityIvEEEESG_SJ_SK_mSL_SN_bEUlT_E_NS1_11comp_targetILNS1_3genE4ELNS1_11target_archE910ELNS1_3gpuE8ELNS1_3repE0EEENS1_30default_config_static_selectorELNS0_4arch9wavefront6targetE1EEEvT1_
; %bb.0:
	.section	.rodata,"a",@progbits
	.p2align	6, 0x0
	.amdhsa_kernel _ZN7rocprim17ROCPRIM_400000_NS6detail17trampoline_kernelINS0_14default_configENS1_25transform_config_selectorIdLb0EEEZNS1_14transform_implILb0ES3_S5_NS0_18transform_iteratorINS0_17counting_iteratorImlEEZNS1_24adjacent_difference_implIS3_Lb1ELb0EPdSB_N6thrust23THRUST_200600_302600_NS5minusIdEEEE10hipError_tPvRmT2_T3_mT4_P12ihipStream_tbEUlmE_dEESB_NS0_8identityIvEEEESG_SJ_SK_mSL_SN_bEUlT_E_NS1_11comp_targetILNS1_3genE4ELNS1_11target_archE910ELNS1_3gpuE8ELNS1_3repE0EEENS1_30default_config_static_selectorELNS0_4arch9wavefront6targetE1EEEvT1_
		.amdhsa_group_segment_fixed_size 0
		.amdhsa_private_segment_fixed_size 0
		.amdhsa_kernarg_size 56
		.amdhsa_user_sgpr_count 2
		.amdhsa_user_sgpr_dispatch_ptr 0
		.amdhsa_user_sgpr_queue_ptr 0
		.amdhsa_user_sgpr_kernarg_segment_ptr 1
		.amdhsa_user_sgpr_dispatch_id 0
		.amdhsa_user_sgpr_kernarg_preload_length 0
		.amdhsa_user_sgpr_kernarg_preload_offset 0
		.amdhsa_user_sgpr_private_segment_size 0
		.amdhsa_uses_dynamic_stack 0
		.amdhsa_enable_private_segment 0
		.amdhsa_system_sgpr_workgroup_id_x 1
		.amdhsa_system_sgpr_workgroup_id_y 0
		.amdhsa_system_sgpr_workgroup_id_z 0
		.amdhsa_system_sgpr_workgroup_info 0
		.amdhsa_system_vgpr_workitem_id 0
		.amdhsa_next_free_vgpr 1
		.amdhsa_next_free_sgpr 0
		.amdhsa_accum_offset 4
		.amdhsa_reserve_vcc 0
		.amdhsa_float_round_mode_32 0
		.amdhsa_float_round_mode_16_64 0
		.amdhsa_float_denorm_mode_32 3
		.amdhsa_float_denorm_mode_16_64 3
		.amdhsa_dx10_clamp 1
		.amdhsa_ieee_mode 1
		.amdhsa_fp16_overflow 0
		.amdhsa_tg_split 0
		.amdhsa_exception_fp_ieee_invalid_op 0
		.amdhsa_exception_fp_denorm_src 0
		.amdhsa_exception_fp_ieee_div_zero 0
		.amdhsa_exception_fp_ieee_overflow 0
		.amdhsa_exception_fp_ieee_underflow 0
		.amdhsa_exception_fp_ieee_inexact 0
		.amdhsa_exception_int_div_zero 0
	.end_amdhsa_kernel
	.section	.text._ZN7rocprim17ROCPRIM_400000_NS6detail17trampoline_kernelINS0_14default_configENS1_25transform_config_selectorIdLb0EEEZNS1_14transform_implILb0ES3_S5_NS0_18transform_iteratorINS0_17counting_iteratorImlEEZNS1_24adjacent_difference_implIS3_Lb1ELb0EPdSB_N6thrust23THRUST_200600_302600_NS5minusIdEEEE10hipError_tPvRmT2_T3_mT4_P12ihipStream_tbEUlmE_dEESB_NS0_8identityIvEEEESG_SJ_SK_mSL_SN_bEUlT_E_NS1_11comp_targetILNS1_3genE4ELNS1_11target_archE910ELNS1_3gpuE8ELNS1_3repE0EEENS1_30default_config_static_selectorELNS0_4arch9wavefront6targetE1EEEvT1_,"axG",@progbits,_ZN7rocprim17ROCPRIM_400000_NS6detail17trampoline_kernelINS0_14default_configENS1_25transform_config_selectorIdLb0EEEZNS1_14transform_implILb0ES3_S5_NS0_18transform_iteratorINS0_17counting_iteratorImlEEZNS1_24adjacent_difference_implIS3_Lb1ELb0EPdSB_N6thrust23THRUST_200600_302600_NS5minusIdEEEE10hipError_tPvRmT2_T3_mT4_P12ihipStream_tbEUlmE_dEESB_NS0_8identityIvEEEESG_SJ_SK_mSL_SN_bEUlT_E_NS1_11comp_targetILNS1_3genE4ELNS1_11target_archE910ELNS1_3gpuE8ELNS1_3repE0EEENS1_30default_config_static_selectorELNS0_4arch9wavefront6targetE1EEEvT1_,comdat
.Lfunc_end426:
	.size	_ZN7rocprim17ROCPRIM_400000_NS6detail17trampoline_kernelINS0_14default_configENS1_25transform_config_selectorIdLb0EEEZNS1_14transform_implILb0ES3_S5_NS0_18transform_iteratorINS0_17counting_iteratorImlEEZNS1_24adjacent_difference_implIS3_Lb1ELb0EPdSB_N6thrust23THRUST_200600_302600_NS5minusIdEEEE10hipError_tPvRmT2_T3_mT4_P12ihipStream_tbEUlmE_dEESB_NS0_8identityIvEEEESG_SJ_SK_mSL_SN_bEUlT_E_NS1_11comp_targetILNS1_3genE4ELNS1_11target_archE910ELNS1_3gpuE8ELNS1_3repE0EEENS1_30default_config_static_selectorELNS0_4arch9wavefront6targetE1EEEvT1_, .Lfunc_end426-_ZN7rocprim17ROCPRIM_400000_NS6detail17trampoline_kernelINS0_14default_configENS1_25transform_config_selectorIdLb0EEEZNS1_14transform_implILb0ES3_S5_NS0_18transform_iteratorINS0_17counting_iteratorImlEEZNS1_24adjacent_difference_implIS3_Lb1ELb0EPdSB_N6thrust23THRUST_200600_302600_NS5minusIdEEEE10hipError_tPvRmT2_T3_mT4_P12ihipStream_tbEUlmE_dEESB_NS0_8identityIvEEEESG_SJ_SK_mSL_SN_bEUlT_E_NS1_11comp_targetILNS1_3genE4ELNS1_11target_archE910ELNS1_3gpuE8ELNS1_3repE0EEENS1_30default_config_static_selectorELNS0_4arch9wavefront6targetE1EEEvT1_
                                        ; -- End function
	.section	.AMDGPU.csdata,"",@progbits
; Kernel info:
; codeLenInByte = 0
; NumSgprs: 6
; NumVgprs: 0
; NumAgprs: 0
; TotalNumVgprs: 0
; ScratchSize: 0
; MemoryBound: 0
; FloatMode: 240
; IeeeMode: 1
; LDSByteSize: 0 bytes/workgroup (compile time only)
; SGPRBlocks: 0
; VGPRBlocks: 0
; NumSGPRsForWavesPerEU: 6
; NumVGPRsForWavesPerEU: 1
; AccumOffset: 4
; Occupancy: 8
; WaveLimiterHint : 0
; COMPUTE_PGM_RSRC2:SCRATCH_EN: 0
; COMPUTE_PGM_RSRC2:USER_SGPR: 2
; COMPUTE_PGM_RSRC2:TRAP_HANDLER: 0
; COMPUTE_PGM_RSRC2:TGID_X_EN: 1
; COMPUTE_PGM_RSRC2:TGID_Y_EN: 0
; COMPUTE_PGM_RSRC2:TGID_Z_EN: 0
; COMPUTE_PGM_RSRC2:TIDIG_COMP_CNT: 0
; COMPUTE_PGM_RSRC3_GFX90A:ACCUM_OFFSET: 0
; COMPUTE_PGM_RSRC3_GFX90A:TG_SPLIT: 0
	.section	.text._ZN7rocprim17ROCPRIM_400000_NS6detail17trampoline_kernelINS0_14default_configENS1_25transform_config_selectorIdLb0EEEZNS1_14transform_implILb0ES3_S5_NS0_18transform_iteratorINS0_17counting_iteratorImlEEZNS1_24adjacent_difference_implIS3_Lb1ELb0EPdSB_N6thrust23THRUST_200600_302600_NS5minusIdEEEE10hipError_tPvRmT2_T3_mT4_P12ihipStream_tbEUlmE_dEESB_NS0_8identityIvEEEESG_SJ_SK_mSL_SN_bEUlT_E_NS1_11comp_targetILNS1_3genE3ELNS1_11target_archE908ELNS1_3gpuE7ELNS1_3repE0EEENS1_30default_config_static_selectorELNS0_4arch9wavefront6targetE1EEEvT1_,"axG",@progbits,_ZN7rocprim17ROCPRIM_400000_NS6detail17trampoline_kernelINS0_14default_configENS1_25transform_config_selectorIdLb0EEEZNS1_14transform_implILb0ES3_S5_NS0_18transform_iteratorINS0_17counting_iteratorImlEEZNS1_24adjacent_difference_implIS3_Lb1ELb0EPdSB_N6thrust23THRUST_200600_302600_NS5minusIdEEEE10hipError_tPvRmT2_T3_mT4_P12ihipStream_tbEUlmE_dEESB_NS0_8identityIvEEEESG_SJ_SK_mSL_SN_bEUlT_E_NS1_11comp_targetILNS1_3genE3ELNS1_11target_archE908ELNS1_3gpuE7ELNS1_3repE0EEENS1_30default_config_static_selectorELNS0_4arch9wavefront6targetE1EEEvT1_,comdat
	.protected	_ZN7rocprim17ROCPRIM_400000_NS6detail17trampoline_kernelINS0_14default_configENS1_25transform_config_selectorIdLb0EEEZNS1_14transform_implILb0ES3_S5_NS0_18transform_iteratorINS0_17counting_iteratorImlEEZNS1_24adjacent_difference_implIS3_Lb1ELb0EPdSB_N6thrust23THRUST_200600_302600_NS5minusIdEEEE10hipError_tPvRmT2_T3_mT4_P12ihipStream_tbEUlmE_dEESB_NS0_8identityIvEEEESG_SJ_SK_mSL_SN_bEUlT_E_NS1_11comp_targetILNS1_3genE3ELNS1_11target_archE908ELNS1_3gpuE7ELNS1_3repE0EEENS1_30default_config_static_selectorELNS0_4arch9wavefront6targetE1EEEvT1_ ; -- Begin function _ZN7rocprim17ROCPRIM_400000_NS6detail17trampoline_kernelINS0_14default_configENS1_25transform_config_selectorIdLb0EEEZNS1_14transform_implILb0ES3_S5_NS0_18transform_iteratorINS0_17counting_iteratorImlEEZNS1_24adjacent_difference_implIS3_Lb1ELb0EPdSB_N6thrust23THRUST_200600_302600_NS5minusIdEEEE10hipError_tPvRmT2_T3_mT4_P12ihipStream_tbEUlmE_dEESB_NS0_8identityIvEEEESG_SJ_SK_mSL_SN_bEUlT_E_NS1_11comp_targetILNS1_3genE3ELNS1_11target_archE908ELNS1_3gpuE7ELNS1_3repE0EEENS1_30default_config_static_selectorELNS0_4arch9wavefront6targetE1EEEvT1_
	.globl	_ZN7rocprim17ROCPRIM_400000_NS6detail17trampoline_kernelINS0_14default_configENS1_25transform_config_selectorIdLb0EEEZNS1_14transform_implILb0ES3_S5_NS0_18transform_iteratorINS0_17counting_iteratorImlEEZNS1_24adjacent_difference_implIS3_Lb1ELb0EPdSB_N6thrust23THRUST_200600_302600_NS5minusIdEEEE10hipError_tPvRmT2_T3_mT4_P12ihipStream_tbEUlmE_dEESB_NS0_8identityIvEEEESG_SJ_SK_mSL_SN_bEUlT_E_NS1_11comp_targetILNS1_3genE3ELNS1_11target_archE908ELNS1_3gpuE7ELNS1_3repE0EEENS1_30default_config_static_selectorELNS0_4arch9wavefront6targetE1EEEvT1_
	.p2align	8
	.type	_ZN7rocprim17ROCPRIM_400000_NS6detail17trampoline_kernelINS0_14default_configENS1_25transform_config_selectorIdLb0EEEZNS1_14transform_implILb0ES3_S5_NS0_18transform_iteratorINS0_17counting_iteratorImlEEZNS1_24adjacent_difference_implIS3_Lb1ELb0EPdSB_N6thrust23THRUST_200600_302600_NS5minusIdEEEE10hipError_tPvRmT2_T3_mT4_P12ihipStream_tbEUlmE_dEESB_NS0_8identityIvEEEESG_SJ_SK_mSL_SN_bEUlT_E_NS1_11comp_targetILNS1_3genE3ELNS1_11target_archE908ELNS1_3gpuE7ELNS1_3repE0EEENS1_30default_config_static_selectorELNS0_4arch9wavefront6targetE1EEEvT1_,@function
_ZN7rocprim17ROCPRIM_400000_NS6detail17trampoline_kernelINS0_14default_configENS1_25transform_config_selectorIdLb0EEEZNS1_14transform_implILb0ES3_S5_NS0_18transform_iteratorINS0_17counting_iteratorImlEEZNS1_24adjacent_difference_implIS3_Lb1ELb0EPdSB_N6thrust23THRUST_200600_302600_NS5minusIdEEEE10hipError_tPvRmT2_T3_mT4_P12ihipStream_tbEUlmE_dEESB_NS0_8identityIvEEEESG_SJ_SK_mSL_SN_bEUlT_E_NS1_11comp_targetILNS1_3genE3ELNS1_11target_archE908ELNS1_3gpuE7ELNS1_3repE0EEENS1_30default_config_static_selectorELNS0_4arch9wavefront6targetE1EEEvT1_: ; @_ZN7rocprim17ROCPRIM_400000_NS6detail17trampoline_kernelINS0_14default_configENS1_25transform_config_selectorIdLb0EEEZNS1_14transform_implILb0ES3_S5_NS0_18transform_iteratorINS0_17counting_iteratorImlEEZNS1_24adjacent_difference_implIS3_Lb1ELb0EPdSB_N6thrust23THRUST_200600_302600_NS5minusIdEEEE10hipError_tPvRmT2_T3_mT4_P12ihipStream_tbEUlmE_dEESB_NS0_8identityIvEEEESG_SJ_SK_mSL_SN_bEUlT_E_NS1_11comp_targetILNS1_3genE3ELNS1_11target_archE908ELNS1_3gpuE7ELNS1_3repE0EEENS1_30default_config_static_selectorELNS0_4arch9wavefront6targetE1EEEvT1_
; %bb.0:
	.section	.rodata,"a",@progbits
	.p2align	6, 0x0
	.amdhsa_kernel _ZN7rocprim17ROCPRIM_400000_NS6detail17trampoline_kernelINS0_14default_configENS1_25transform_config_selectorIdLb0EEEZNS1_14transform_implILb0ES3_S5_NS0_18transform_iteratorINS0_17counting_iteratorImlEEZNS1_24adjacent_difference_implIS3_Lb1ELb0EPdSB_N6thrust23THRUST_200600_302600_NS5minusIdEEEE10hipError_tPvRmT2_T3_mT4_P12ihipStream_tbEUlmE_dEESB_NS0_8identityIvEEEESG_SJ_SK_mSL_SN_bEUlT_E_NS1_11comp_targetILNS1_3genE3ELNS1_11target_archE908ELNS1_3gpuE7ELNS1_3repE0EEENS1_30default_config_static_selectorELNS0_4arch9wavefront6targetE1EEEvT1_
		.amdhsa_group_segment_fixed_size 0
		.amdhsa_private_segment_fixed_size 0
		.amdhsa_kernarg_size 56
		.amdhsa_user_sgpr_count 2
		.amdhsa_user_sgpr_dispatch_ptr 0
		.amdhsa_user_sgpr_queue_ptr 0
		.amdhsa_user_sgpr_kernarg_segment_ptr 1
		.amdhsa_user_sgpr_dispatch_id 0
		.amdhsa_user_sgpr_kernarg_preload_length 0
		.amdhsa_user_sgpr_kernarg_preload_offset 0
		.amdhsa_user_sgpr_private_segment_size 0
		.amdhsa_uses_dynamic_stack 0
		.amdhsa_enable_private_segment 0
		.amdhsa_system_sgpr_workgroup_id_x 1
		.amdhsa_system_sgpr_workgroup_id_y 0
		.amdhsa_system_sgpr_workgroup_id_z 0
		.amdhsa_system_sgpr_workgroup_info 0
		.amdhsa_system_vgpr_workitem_id 0
		.amdhsa_next_free_vgpr 1
		.amdhsa_next_free_sgpr 0
		.amdhsa_accum_offset 4
		.amdhsa_reserve_vcc 0
		.amdhsa_float_round_mode_32 0
		.amdhsa_float_round_mode_16_64 0
		.amdhsa_float_denorm_mode_32 3
		.amdhsa_float_denorm_mode_16_64 3
		.amdhsa_dx10_clamp 1
		.amdhsa_ieee_mode 1
		.amdhsa_fp16_overflow 0
		.amdhsa_tg_split 0
		.amdhsa_exception_fp_ieee_invalid_op 0
		.amdhsa_exception_fp_denorm_src 0
		.amdhsa_exception_fp_ieee_div_zero 0
		.amdhsa_exception_fp_ieee_overflow 0
		.amdhsa_exception_fp_ieee_underflow 0
		.amdhsa_exception_fp_ieee_inexact 0
		.amdhsa_exception_int_div_zero 0
	.end_amdhsa_kernel
	.section	.text._ZN7rocprim17ROCPRIM_400000_NS6detail17trampoline_kernelINS0_14default_configENS1_25transform_config_selectorIdLb0EEEZNS1_14transform_implILb0ES3_S5_NS0_18transform_iteratorINS0_17counting_iteratorImlEEZNS1_24adjacent_difference_implIS3_Lb1ELb0EPdSB_N6thrust23THRUST_200600_302600_NS5minusIdEEEE10hipError_tPvRmT2_T3_mT4_P12ihipStream_tbEUlmE_dEESB_NS0_8identityIvEEEESG_SJ_SK_mSL_SN_bEUlT_E_NS1_11comp_targetILNS1_3genE3ELNS1_11target_archE908ELNS1_3gpuE7ELNS1_3repE0EEENS1_30default_config_static_selectorELNS0_4arch9wavefront6targetE1EEEvT1_,"axG",@progbits,_ZN7rocprim17ROCPRIM_400000_NS6detail17trampoline_kernelINS0_14default_configENS1_25transform_config_selectorIdLb0EEEZNS1_14transform_implILb0ES3_S5_NS0_18transform_iteratorINS0_17counting_iteratorImlEEZNS1_24adjacent_difference_implIS3_Lb1ELb0EPdSB_N6thrust23THRUST_200600_302600_NS5minusIdEEEE10hipError_tPvRmT2_T3_mT4_P12ihipStream_tbEUlmE_dEESB_NS0_8identityIvEEEESG_SJ_SK_mSL_SN_bEUlT_E_NS1_11comp_targetILNS1_3genE3ELNS1_11target_archE908ELNS1_3gpuE7ELNS1_3repE0EEENS1_30default_config_static_selectorELNS0_4arch9wavefront6targetE1EEEvT1_,comdat
.Lfunc_end427:
	.size	_ZN7rocprim17ROCPRIM_400000_NS6detail17trampoline_kernelINS0_14default_configENS1_25transform_config_selectorIdLb0EEEZNS1_14transform_implILb0ES3_S5_NS0_18transform_iteratorINS0_17counting_iteratorImlEEZNS1_24adjacent_difference_implIS3_Lb1ELb0EPdSB_N6thrust23THRUST_200600_302600_NS5minusIdEEEE10hipError_tPvRmT2_T3_mT4_P12ihipStream_tbEUlmE_dEESB_NS0_8identityIvEEEESG_SJ_SK_mSL_SN_bEUlT_E_NS1_11comp_targetILNS1_3genE3ELNS1_11target_archE908ELNS1_3gpuE7ELNS1_3repE0EEENS1_30default_config_static_selectorELNS0_4arch9wavefront6targetE1EEEvT1_, .Lfunc_end427-_ZN7rocprim17ROCPRIM_400000_NS6detail17trampoline_kernelINS0_14default_configENS1_25transform_config_selectorIdLb0EEEZNS1_14transform_implILb0ES3_S5_NS0_18transform_iteratorINS0_17counting_iteratorImlEEZNS1_24adjacent_difference_implIS3_Lb1ELb0EPdSB_N6thrust23THRUST_200600_302600_NS5minusIdEEEE10hipError_tPvRmT2_T3_mT4_P12ihipStream_tbEUlmE_dEESB_NS0_8identityIvEEEESG_SJ_SK_mSL_SN_bEUlT_E_NS1_11comp_targetILNS1_3genE3ELNS1_11target_archE908ELNS1_3gpuE7ELNS1_3repE0EEENS1_30default_config_static_selectorELNS0_4arch9wavefront6targetE1EEEvT1_
                                        ; -- End function
	.section	.AMDGPU.csdata,"",@progbits
; Kernel info:
; codeLenInByte = 0
; NumSgprs: 6
; NumVgprs: 0
; NumAgprs: 0
; TotalNumVgprs: 0
; ScratchSize: 0
; MemoryBound: 0
; FloatMode: 240
; IeeeMode: 1
; LDSByteSize: 0 bytes/workgroup (compile time only)
; SGPRBlocks: 0
; VGPRBlocks: 0
; NumSGPRsForWavesPerEU: 6
; NumVGPRsForWavesPerEU: 1
; AccumOffset: 4
; Occupancy: 8
; WaveLimiterHint : 0
; COMPUTE_PGM_RSRC2:SCRATCH_EN: 0
; COMPUTE_PGM_RSRC2:USER_SGPR: 2
; COMPUTE_PGM_RSRC2:TRAP_HANDLER: 0
; COMPUTE_PGM_RSRC2:TGID_X_EN: 1
; COMPUTE_PGM_RSRC2:TGID_Y_EN: 0
; COMPUTE_PGM_RSRC2:TGID_Z_EN: 0
; COMPUTE_PGM_RSRC2:TIDIG_COMP_CNT: 0
; COMPUTE_PGM_RSRC3_GFX90A:ACCUM_OFFSET: 0
; COMPUTE_PGM_RSRC3_GFX90A:TG_SPLIT: 0
	.section	.text._ZN7rocprim17ROCPRIM_400000_NS6detail17trampoline_kernelINS0_14default_configENS1_25transform_config_selectorIdLb0EEEZNS1_14transform_implILb0ES3_S5_NS0_18transform_iteratorINS0_17counting_iteratorImlEEZNS1_24adjacent_difference_implIS3_Lb1ELb0EPdSB_N6thrust23THRUST_200600_302600_NS5minusIdEEEE10hipError_tPvRmT2_T3_mT4_P12ihipStream_tbEUlmE_dEESB_NS0_8identityIvEEEESG_SJ_SK_mSL_SN_bEUlT_E_NS1_11comp_targetILNS1_3genE2ELNS1_11target_archE906ELNS1_3gpuE6ELNS1_3repE0EEENS1_30default_config_static_selectorELNS0_4arch9wavefront6targetE1EEEvT1_,"axG",@progbits,_ZN7rocprim17ROCPRIM_400000_NS6detail17trampoline_kernelINS0_14default_configENS1_25transform_config_selectorIdLb0EEEZNS1_14transform_implILb0ES3_S5_NS0_18transform_iteratorINS0_17counting_iteratorImlEEZNS1_24adjacent_difference_implIS3_Lb1ELb0EPdSB_N6thrust23THRUST_200600_302600_NS5minusIdEEEE10hipError_tPvRmT2_T3_mT4_P12ihipStream_tbEUlmE_dEESB_NS0_8identityIvEEEESG_SJ_SK_mSL_SN_bEUlT_E_NS1_11comp_targetILNS1_3genE2ELNS1_11target_archE906ELNS1_3gpuE6ELNS1_3repE0EEENS1_30default_config_static_selectorELNS0_4arch9wavefront6targetE1EEEvT1_,comdat
	.protected	_ZN7rocprim17ROCPRIM_400000_NS6detail17trampoline_kernelINS0_14default_configENS1_25transform_config_selectorIdLb0EEEZNS1_14transform_implILb0ES3_S5_NS0_18transform_iteratorINS0_17counting_iteratorImlEEZNS1_24adjacent_difference_implIS3_Lb1ELb0EPdSB_N6thrust23THRUST_200600_302600_NS5minusIdEEEE10hipError_tPvRmT2_T3_mT4_P12ihipStream_tbEUlmE_dEESB_NS0_8identityIvEEEESG_SJ_SK_mSL_SN_bEUlT_E_NS1_11comp_targetILNS1_3genE2ELNS1_11target_archE906ELNS1_3gpuE6ELNS1_3repE0EEENS1_30default_config_static_selectorELNS0_4arch9wavefront6targetE1EEEvT1_ ; -- Begin function _ZN7rocprim17ROCPRIM_400000_NS6detail17trampoline_kernelINS0_14default_configENS1_25transform_config_selectorIdLb0EEEZNS1_14transform_implILb0ES3_S5_NS0_18transform_iteratorINS0_17counting_iteratorImlEEZNS1_24adjacent_difference_implIS3_Lb1ELb0EPdSB_N6thrust23THRUST_200600_302600_NS5minusIdEEEE10hipError_tPvRmT2_T3_mT4_P12ihipStream_tbEUlmE_dEESB_NS0_8identityIvEEEESG_SJ_SK_mSL_SN_bEUlT_E_NS1_11comp_targetILNS1_3genE2ELNS1_11target_archE906ELNS1_3gpuE6ELNS1_3repE0EEENS1_30default_config_static_selectorELNS0_4arch9wavefront6targetE1EEEvT1_
	.globl	_ZN7rocprim17ROCPRIM_400000_NS6detail17trampoline_kernelINS0_14default_configENS1_25transform_config_selectorIdLb0EEEZNS1_14transform_implILb0ES3_S5_NS0_18transform_iteratorINS0_17counting_iteratorImlEEZNS1_24adjacent_difference_implIS3_Lb1ELb0EPdSB_N6thrust23THRUST_200600_302600_NS5minusIdEEEE10hipError_tPvRmT2_T3_mT4_P12ihipStream_tbEUlmE_dEESB_NS0_8identityIvEEEESG_SJ_SK_mSL_SN_bEUlT_E_NS1_11comp_targetILNS1_3genE2ELNS1_11target_archE906ELNS1_3gpuE6ELNS1_3repE0EEENS1_30default_config_static_selectorELNS0_4arch9wavefront6targetE1EEEvT1_
	.p2align	8
	.type	_ZN7rocprim17ROCPRIM_400000_NS6detail17trampoline_kernelINS0_14default_configENS1_25transform_config_selectorIdLb0EEEZNS1_14transform_implILb0ES3_S5_NS0_18transform_iteratorINS0_17counting_iteratorImlEEZNS1_24adjacent_difference_implIS3_Lb1ELb0EPdSB_N6thrust23THRUST_200600_302600_NS5minusIdEEEE10hipError_tPvRmT2_T3_mT4_P12ihipStream_tbEUlmE_dEESB_NS0_8identityIvEEEESG_SJ_SK_mSL_SN_bEUlT_E_NS1_11comp_targetILNS1_3genE2ELNS1_11target_archE906ELNS1_3gpuE6ELNS1_3repE0EEENS1_30default_config_static_selectorELNS0_4arch9wavefront6targetE1EEEvT1_,@function
_ZN7rocprim17ROCPRIM_400000_NS6detail17trampoline_kernelINS0_14default_configENS1_25transform_config_selectorIdLb0EEEZNS1_14transform_implILb0ES3_S5_NS0_18transform_iteratorINS0_17counting_iteratorImlEEZNS1_24adjacent_difference_implIS3_Lb1ELb0EPdSB_N6thrust23THRUST_200600_302600_NS5minusIdEEEE10hipError_tPvRmT2_T3_mT4_P12ihipStream_tbEUlmE_dEESB_NS0_8identityIvEEEESG_SJ_SK_mSL_SN_bEUlT_E_NS1_11comp_targetILNS1_3genE2ELNS1_11target_archE906ELNS1_3gpuE6ELNS1_3repE0EEENS1_30default_config_static_selectorELNS0_4arch9wavefront6targetE1EEEvT1_: ; @_ZN7rocprim17ROCPRIM_400000_NS6detail17trampoline_kernelINS0_14default_configENS1_25transform_config_selectorIdLb0EEEZNS1_14transform_implILb0ES3_S5_NS0_18transform_iteratorINS0_17counting_iteratorImlEEZNS1_24adjacent_difference_implIS3_Lb1ELb0EPdSB_N6thrust23THRUST_200600_302600_NS5minusIdEEEE10hipError_tPvRmT2_T3_mT4_P12ihipStream_tbEUlmE_dEESB_NS0_8identityIvEEEESG_SJ_SK_mSL_SN_bEUlT_E_NS1_11comp_targetILNS1_3genE2ELNS1_11target_archE906ELNS1_3gpuE6ELNS1_3repE0EEENS1_30default_config_static_selectorELNS0_4arch9wavefront6targetE1EEEvT1_
; %bb.0:
	.section	.rodata,"a",@progbits
	.p2align	6, 0x0
	.amdhsa_kernel _ZN7rocprim17ROCPRIM_400000_NS6detail17trampoline_kernelINS0_14default_configENS1_25transform_config_selectorIdLb0EEEZNS1_14transform_implILb0ES3_S5_NS0_18transform_iteratorINS0_17counting_iteratorImlEEZNS1_24adjacent_difference_implIS3_Lb1ELb0EPdSB_N6thrust23THRUST_200600_302600_NS5minusIdEEEE10hipError_tPvRmT2_T3_mT4_P12ihipStream_tbEUlmE_dEESB_NS0_8identityIvEEEESG_SJ_SK_mSL_SN_bEUlT_E_NS1_11comp_targetILNS1_3genE2ELNS1_11target_archE906ELNS1_3gpuE6ELNS1_3repE0EEENS1_30default_config_static_selectorELNS0_4arch9wavefront6targetE1EEEvT1_
		.amdhsa_group_segment_fixed_size 0
		.amdhsa_private_segment_fixed_size 0
		.amdhsa_kernarg_size 56
		.amdhsa_user_sgpr_count 2
		.amdhsa_user_sgpr_dispatch_ptr 0
		.amdhsa_user_sgpr_queue_ptr 0
		.amdhsa_user_sgpr_kernarg_segment_ptr 1
		.amdhsa_user_sgpr_dispatch_id 0
		.amdhsa_user_sgpr_kernarg_preload_length 0
		.amdhsa_user_sgpr_kernarg_preload_offset 0
		.amdhsa_user_sgpr_private_segment_size 0
		.amdhsa_uses_dynamic_stack 0
		.amdhsa_enable_private_segment 0
		.amdhsa_system_sgpr_workgroup_id_x 1
		.amdhsa_system_sgpr_workgroup_id_y 0
		.amdhsa_system_sgpr_workgroup_id_z 0
		.amdhsa_system_sgpr_workgroup_info 0
		.amdhsa_system_vgpr_workitem_id 0
		.amdhsa_next_free_vgpr 1
		.amdhsa_next_free_sgpr 0
		.amdhsa_accum_offset 4
		.amdhsa_reserve_vcc 0
		.amdhsa_float_round_mode_32 0
		.amdhsa_float_round_mode_16_64 0
		.amdhsa_float_denorm_mode_32 3
		.amdhsa_float_denorm_mode_16_64 3
		.amdhsa_dx10_clamp 1
		.amdhsa_ieee_mode 1
		.amdhsa_fp16_overflow 0
		.amdhsa_tg_split 0
		.amdhsa_exception_fp_ieee_invalid_op 0
		.amdhsa_exception_fp_denorm_src 0
		.amdhsa_exception_fp_ieee_div_zero 0
		.amdhsa_exception_fp_ieee_overflow 0
		.amdhsa_exception_fp_ieee_underflow 0
		.amdhsa_exception_fp_ieee_inexact 0
		.amdhsa_exception_int_div_zero 0
	.end_amdhsa_kernel
	.section	.text._ZN7rocprim17ROCPRIM_400000_NS6detail17trampoline_kernelINS0_14default_configENS1_25transform_config_selectorIdLb0EEEZNS1_14transform_implILb0ES3_S5_NS0_18transform_iteratorINS0_17counting_iteratorImlEEZNS1_24adjacent_difference_implIS3_Lb1ELb0EPdSB_N6thrust23THRUST_200600_302600_NS5minusIdEEEE10hipError_tPvRmT2_T3_mT4_P12ihipStream_tbEUlmE_dEESB_NS0_8identityIvEEEESG_SJ_SK_mSL_SN_bEUlT_E_NS1_11comp_targetILNS1_3genE2ELNS1_11target_archE906ELNS1_3gpuE6ELNS1_3repE0EEENS1_30default_config_static_selectorELNS0_4arch9wavefront6targetE1EEEvT1_,"axG",@progbits,_ZN7rocprim17ROCPRIM_400000_NS6detail17trampoline_kernelINS0_14default_configENS1_25transform_config_selectorIdLb0EEEZNS1_14transform_implILb0ES3_S5_NS0_18transform_iteratorINS0_17counting_iteratorImlEEZNS1_24adjacent_difference_implIS3_Lb1ELb0EPdSB_N6thrust23THRUST_200600_302600_NS5minusIdEEEE10hipError_tPvRmT2_T3_mT4_P12ihipStream_tbEUlmE_dEESB_NS0_8identityIvEEEESG_SJ_SK_mSL_SN_bEUlT_E_NS1_11comp_targetILNS1_3genE2ELNS1_11target_archE906ELNS1_3gpuE6ELNS1_3repE0EEENS1_30default_config_static_selectorELNS0_4arch9wavefront6targetE1EEEvT1_,comdat
.Lfunc_end428:
	.size	_ZN7rocprim17ROCPRIM_400000_NS6detail17trampoline_kernelINS0_14default_configENS1_25transform_config_selectorIdLb0EEEZNS1_14transform_implILb0ES3_S5_NS0_18transform_iteratorINS0_17counting_iteratorImlEEZNS1_24adjacent_difference_implIS3_Lb1ELb0EPdSB_N6thrust23THRUST_200600_302600_NS5minusIdEEEE10hipError_tPvRmT2_T3_mT4_P12ihipStream_tbEUlmE_dEESB_NS0_8identityIvEEEESG_SJ_SK_mSL_SN_bEUlT_E_NS1_11comp_targetILNS1_3genE2ELNS1_11target_archE906ELNS1_3gpuE6ELNS1_3repE0EEENS1_30default_config_static_selectorELNS0_4arch9wavefront6targetE1EEEvT1_, .Lfunc_end428-_ZN7rocprim17ROCPRIM_400000_NS6detail17trampoline_kernelINS0_14default_configENS1_25transform_config_selectorIdLb0EEEZNS1_14transform_implILb0ES3_S5_NS0_18transform_iteratorINS0_17counting_iteratorImlEEZNS1_24adjacent_difference_implIS3_Lb1ELb0EPdSB_N6thrust23THRUST_200600_302600_NS5minusIdEEEE10hipError_tPvRmT2_T3_mT4_P12ihipStream_tbEUlmE_dEESB_NS0_8identityIvEEEESG_SJ_SK_mSL_SN_bEUlT_E_NS1_11comp_targetILNS1_3genE2ELNS1_11target_archE906ELNS1_3gpuE6ELNS1_3repE0EEENS1_30default_config_static_selectorELNS0_4arch9wavefront6targetE1EEEvT1_
                                        ; -- End function
	.section	.AMDGPU.csdata,"",@progbits
; Kernel info:
; codeLenInByte = 0
; NumSgprs: 6
; NumVgprs: 0
; NumAgprs: 0
; TotalNumVgprs: 0
; ScratchSize: 0
; MemoryBound: 0
; FloatMode: 240
; IeeeMode: 1
; LDSByteSize: 0 bytes/workgroup (compile time only)
; SGPRBlocks: 0
; VGPRBlocks: 0
; NumSGPRsForWavesPerEU: 6
; NumVGPRsForWavesPerEU: 1
; AccumOffset: 4
; Occupancy: 8
; WaveLimiterHint : 0
; COMPUTE_PGM_RSRC2:SCRATCH_EN: 0
; COMPUTE_PGM_RSRC2:USER_SGPR: 2
; COMPUTE_PGM_RSRC2:TRAP_HANDLER: 0
; COMPUTE_PGM_RSRC2:TGID_X_EN: 1
; COMPUTE_PGM_RSRC2:TGID_Y_EN: 0
; COMPUTE_PGM_RSRC2:TGID_Z_EN: 0
; COMPUTE_PGM_RSRC2:TIDIG_COMP_CNT: 0
; COMPUTE_PGM_RSRC3_GFX90A:ACCUM_OFFSET: 0
; COMPUTE_PGM_RSRC3_GFX90A:TG_SPLIT: 0
	.section	.text._ZN7rocprim17ROCPRIM_400000_NS6detail17trampoline_kernelINS0_14default_configENS1_25transform_config_selectorIdLb0EEEZNS1_14transform_implILb0ES3_S5_NS0_18transform_iteratorINS0_17counting_iteratorImlEEZNS1_24adjacent_difference_implIS3_Lb1ELb0EPdSB_N6thrust23THRUST_200600_302600_NS5minusIdEEEE10hipError_tPvRmT2_T3_mT4_P12ihipStream_tbEUlmE_dEESB_NS0_8identityIvEEEESG_SJ_SK_mSL_SN_bEUlT_E_NS1_11comp_targetILNS1_3genE10ELNS1_11target_archE1201ELNS1_3gpuE5ELNS1_3repE0EEENS1_30default_config_static_selectorELNS0_4arch9wavefront6targetE1EEEvT1_,"axG",@progbits,_ZN7rocprim17ROCPRIM_400000_NS6detail17trampoline_kernelINS0_14default_configENS1_25transform_config_selectorIdLb0EEEZNS1_14transform_implILb0ES3_S5_NS0_18transform_iteratorINS0_17counting_iteratorImlEEZNS1_24adjacent_difference_implIS3_Lb1ELb0EPdSB_N6thrust23THRUST_200600_302600_NS5minusIdEEEE10hipError_tPvRmT2_T3_mT4_P12ihipStream_tbEUlmE_dEESB_NS0_8identityIvEEEESG_SJ_SK_mSL_SN_bEUlT_E_NS1_11comp_targetILNS1_3genE10ELNS1_11target_archE1201ELNS1_3gpuE5ELNS1_3repE0EEENS1_30default_config_static_selectorELNS0_4arch9wavefront6targetE1EEEvT1_,comdat
	.protected	_ZN7rocprim17ROCPRIM_400000_NS6detail17trampoline_kernelINS0_14default_configENS1_25transform_config_selectorIdLb0EEEZNS1_14transform_implILb0ES3_S5_NS0_18transform_iteratorINS0_17counting_iteratorImlEEZNS1_24adjacent_difference_implIS3_Lb1ELb0EPdSB_N6thrust23THRUST_200600_302600_NS5minusIdEEEE10hipError_tPvRmT2_T3_mT4_P12ihipStream_tbEUlmE_dEESB_NS0_8identityIvEEEESG_SJ_SK_mSL_SN_bEUlT_E_NS1_11comp_targetILNS1_3genE10ELNS1_11target_archE1201ELNS1_3gpuE5ELNS1_3repE0EEENS1_30default_config_static_selectorELNS0_4arch9wavefront6targetE1EEEvT1_ ; -- Begin function _ZN7rocprim17ROCPRIM_400000_NS6detail17trampoline_kernelINS0_14default_configENS1_25transform_config_selectorIdLb0EEEZNS1_14transform_implILb0ES3_S5_NS0_18transform_iteratorINS0_17counting_iteratorImlEEZNS1_24adjacent_difference_implIS3_Lb1ELb0EPdSB_N6thrust23THRUST_200600_302600_NS5minusIdEEEE10hipError_tPvRmT2_T3_mT4_P12ihipStream_tbEUlmE_dEESB_NS0_8identityIvEEEESG_SJ_SK_mSL_SN_bEUlT_E_NS1_11comp_targetILNS1_3genE10ELNS1_11target_archE1201ELNS1_3gpuE5ELNS1_3repE0EEENS1_30default_config_static_selectorELNS0_4arch9wavefront6targetE1EEEvT1_
	.globl	_ZN7rocprim17ROCPRIM_400000_NS6detail17trampoline_kernelINS0_14default_configENS1_25transform_config_selectorIdLb0EEEZNS1_14transform_implILb0ES3_S5_NS0_18transform_iteratorINS0_17counting_iteratorImlEEZNS1_24adjacent_difference_implIS3_Lb1ELb0EPdSB_N6thrust23THRUST_200600_302600_NS5minusIdEEEE10hipError_tPvRmT2_T3_mT4_P12ihipStream_tbEUlmE_dEESB_NS0_8identityIvEEEESG_SJ_SK_mSL_SN_bEUlT_E_NS1_11comp_targetILNS1_3genE10ELNS1_11target_archE1201ELNS1_3gpuE5ELNS1_3repE0EEENS1_30default_config_static_selectorELNS0_4arch9wavefront6targetE1EEEvT1_
	.p2align	8
	.type	_ZN7rocprim17ROCPRIM_400000_NS6detail17trampoline_kernelINS0_14default_configENS1_25transform_config_selectorIdLb0EEEZNS1_14transform_implILb0ES3_S5_NS0_18transform_iteratorINS0_17counting_iteratorImlEEZNS1_24adjacent_difference_implIS3_Lb1ELb0EPdSB_N6thrust23THRUST_200600_302600_NS5minusIdEEEE10hipError_tPvRmT2_T3_mT4_P12ihipStream_tbEUlmE_dEESB_NS0_8identityIvEEEESG_SJ_SK_mSL_SN_bEUlT_E_NS1_11comp_targetILNS1_3genE10ELNS1_11target_archE1201ELNS1_3gpuE5ELNS1_3repE0EEENS1_30default_config_static_selectorELNS0_4arch9wavefront6targetE1EEEvT1_,@function
_ZN7rocprim17ROCPRIM_400000_NS6detail17trampoline_kernelINS0_14default_configENS1_25transform_config_selectorIdLb0EEEZNS1_14transform_implILb0ES3_S5_NS0_18transform_iteratorINS0_17counting_iteratorImlEEZNS1_24adjacent_difference_implIS3_Lb1ELb0EPdSB_N6thrust23THRUST_200600_302600_NS5minusIdEEEE10hipError_tPvRmT2_T3_mT4_P12ihipStream_tbEUlmE_dEESB_NS0_8identityIvEEEESG_SJ_SK_mSL_SN_bEUlT_E_NS1_11comp_targetILNS1_3genE10ELNS1_11target_archE1201ELNS1_3gpuE5ELNS1_3repE0EEENS1_30default_config_static_selectorELNS0_4arch9wavefront6targetE1EEEvT1_: ; @_ZN7rocprim17ROCPRIM_400000_NS6detail17trampoline_kernelINS0_14default_configENS1_25transform_config_selectorIdLb0EEEZNS1_14transform_implILb0ES3_S5_NS0_18transform_iteratorINS0_17counting_iteratorImlEEZNS1_24adjacent_difference_implIS3_Lb1ELb0EPdSB_N6thrust23THRUST_200600_302600_NS5minusIdEEEE10hipError_tPvRmT2_T3_mT4_P12ihipStream_tbEUlmE_dEESB_NS0_8identityIvEEEESG_SJ_SK_mSL_SN_bEUlT_E_NS1_11comp_targetILNS1_3genE10ELNS1_11target_archE1201ELNS1_3gpuE5ELNS1_3repE0EEENS1_30default_config_static_selectorELNS0_4arch9wavefront6targetE1EEEvT1_
; %bb.0:
	.section	.rodata,"a",@progbits
	.p2align	6, 0x0
	.amdhsa_kernel _ZN7rocprim17ROCPRIM_400000_NS6detail17trampoline_kernelINS0_14default_configENS1_25transform_config_selectorIdLb0EEEZNS1_14transform_implILb0ES3_S5_NS0_18transform_iteratorINS0_17counting_iteratorImlEEZNS1_24adjacent_difference_implIS3_Lb1ELb0EPdSB_N6thrust23THRUST_200600_302600_NS5minusIdEEEE10hipError_tPvRmT2_T3_mT4_P12ihipStream_tbEUlmE_dEESB_NS0_8identityIvEEEESG_SJ_SK_mSL_SN_bEUlT_E_NS1_11comp_targetILNS1_3genE10ELNS1_11target_archE1201ELNS1_3gpuE5ELNS1_3repE0EEENS1_30default_config_static_selectorELNS0_4arch9wavefront6targetE1EEEvT1_
		.amdhsa_group_segment_fixed_size 0
		.amdhsa_private_segment_fixed_size 0
		.amdhsa_kernarg_size 56
		.amdhsa_user_sgpr_count 2
		.amdhsa_user_sgpr_dispatch_ptr 0
		.amdhsa_user_sgpr_queue_ptr 0
		.amdhsa_user_sgpr_kernarg_segment_ptr 1
		.amdhsa_user_sgpr_dispatch_id 0
		.amdhsa_user_sgpr_kernarg_preload_length 0
		.amdhsa_user_sgpr_kernarg_preload_offset 0
		.amdhsa_user_sgpr_private_segment_size 0
		.amdhsa_uses_dynamic_stack 0
		.amdhsa_enable_private_segment 0
		.amdhsa_system_sgpr_workgroup_id_x 1
		.amdhsa_system_sgpr_workgroup_id_y 0
		.amdhsa_system_sgpr_workgroup_id_z 0
		.amdhsa_system_sgpr_workgroup_info 0
		.amdhsa_system_vgpr_workitem_id 0
		.amdhsa_next_free_vgpr 1
		.amdhsa_next_free_sgpr 0
		.amdhsa_accum_offset 4
		.amdhsa_reserve_vcc 0
		.amdhsa_float_round_mode_32 0
		.amdhsa_float_round_mode_16_64 0
		.amdhsa_float_denorm_mode_32 3
		.amdhsa_float_denorm_mode_16_64 3
		.amdhsa_dx10_clamp 1
		.amdhsa_ieee_mode 1
		.amdhsa_fp16_overflow 0
		.amdhsa_tg_split 0
		.amdhsa_exception_fp_ieee_invalid_op 0
		.amdhsa_exception_fp_denorm_src 0
		.amdhsa_exception_fp_ieee_div_zero 0
		.amdhsa_exception_fp_ieee_overflow 0
		.amdhsa_exception_fp_ieee_underflow 0
		.amdhsa_exception_fp_ieee_inexact 0
		.amdhsa_exception_int_div_zero 0
	.end_amdhsa_kernel
	.section	.text._ZN7rocprim17ROCPRIM_400000_NS6detail17trampoline_kernelINS0_14default_configENS1_25transform_config_selectorIdLb0EEEZNS1_14transform_implILb0ES3_S5_NS0_18transform_iteratorINS0_17counting_iteratorImlEEZNS1_24adjacent_difference_implIS3_Lb1ELb0EPdSB_N6thrust23THRUST_200600_302600_NS5minusIdEEEE10hipError_tPvRmT2_T3_mT4_P12ihipStream_tbEUlmE_dEESB_NS0_8identityIvEEEESG_SJ_SK_mSL_SN_bEUlT_E_NS1_11comp_targetILNS1_3genE10ELNS1_11target_archE1201ELNS1_3gpuE5ELNS1_3repE0EEENS1_30default_config_static_selectorELNS0_4arch9wavefront6targetE1EEEvT1_,"axG",@progbits,_ZN7rocprim17ROCPRIM_400000_NS6detail17trampoline_kernelINS0_14default_configENS1_25transform_config_selectorIdLb0EEEZNS1_14transform_implILb0ES3_S5_NS0_18transform_iteratorINS0_17counting_iteratorImlEEZNS1_24adjacent_difference_implIS3_Lb1ELb0EPdSB_N6thrust23THRUST_200600_302600_NS5minusIdEEEE10hipError_tPvRmT2_T3_mT4_P12ihipStream_tbEUlmE_dEESB_NS0_8identityIvEEEESG_SJ_SK_mSL_SN_bEUlT_E_NS1_11comp_targetILNS1_3genE10ELNS1_11target_archE1201ELNS1_3gpuE5ELNS1_3repE0EEENS1_30default_config_static_selectorELNS0_4arch9wavefront6targetE1EEEvT1_,comdat
.Lfunc_end429:
	.size	_ZN7rocprim17ROCPRIM_400000_NS6detail17trampoline_kernelINS0_14default_configENS1_25transform_config_selectorIdLb0EEEZNS1_14transform_implILb0ES3_S5_NS0_18transform_iteratorINS0_17counting_iteratorImlEEZNS1_24adjacent_difference_implIS3_Lb1ELb0EPdSB_N6thrust23THRUST_200600_302600_NS5minusIdEEEE10hipError_tPvRmT2_T3_mT4_P12ihipStream_tbEUlmE_dEESB_NS0_8identityIvEEEESG_SJ_SK_mSL_SN_bEUlT_E_NS1_11comp_targetILNS1_3genE10ELNS1_11target_archE1201ELNS1_3gpuE5ELNS1_3repE0EEENS1_30default_config_static_selectorELNS0_4arch9wavefront6targetE1EEEvT1_, .Lfunc_end429-_ZN7rocprim17ROCPRIM_400000_NS6detail17trampoline_kernelINS0_14default_configENS1_25transform_config_selectorIdLb0EEEZNS1_14transform_implILb0ES3_S5_NS0_18transform_iteratorINS0_17counting_iteratorImlEEZNS1_24adjacent_difference_implIS3_Lb1ELb0EPdSB_N6thrust23THRUST_200600_302600_NS5minusIdEEEE10hipError_tPvRmT2_T3_mT4_P12ihipStream_tbEUlmE_dEESB_NS0_8identityIvEEEESG_SJ_SK_mSL_SN_bEUlT_E_NS1_11comp_targetILNS1_3genE10ELNS1_11target_archE1201ELNS1_3gpuE5ELNS1_3repE0EEENS1_30default_config_static_selectorELNS0_4arch9wavefront6targetE1EEEvT1_
                                        ; -- End function
	.section	.AMDGPU.csdata,"",@progbits
; Kernel info:
; codeLenInByte = 0
; NumSgprs: 6
; NumVgprs: 0
; NumAgprs: 0
; TotalNumVgprs: 0
; ScratchSize: 0
; MemoryBound: 0
; FloatMode: 240
; IeeeMode: 1
; LDSByteSize: 0 bytes/workgroup (compile time only)
; SGPRBlocks: 0
; VGPRBlocks: 0
; NumSGPRsForWavesPerEU: 6
; NumVGPRsForWavesPerEU: 1
; AccumOffset: 4
; Occupancy: 8
; WaveLimiterHint : 0
; COMPUTE_PGM_RSRC2:SCRATCH_EN: 0
; COMPUTE_PGM_RSRC2:USER_SGPR: 2
; COMPUTE_PGM_RSRC2:TRAP_HANDLER: 0
; COMPUTE_PGM_RSRC2:TGID_X_EN: 1
; COMPUTE_PGM_RSRC2:TGID_Y_EN: 0
; COMPUTE_PGM_RSRC2:TGID_Z_EN: 0
; COMPUTE_PGM_RSRC2:TIDIG_COMP_CNT: 0
; COMPUTE_PGM_RSRC3_GFX90A:ACCUM_OFFSET: 0
; COMPUTE_PGM_RSRC3_GFX90A:TG_SPLIT: 0
	.section	.text._ZN7rocprim17ROCPRIM_400000_NS6detail17trampoline_kernelINS0_14default_configENS1_25transform_config_selectorIdLb0EEEZNS1_14transform_implILb0ES3_S5_NS0_18transform_iteratorINS0_17counting_iteratorImlEEZNS1_24adjacent_difference_implIS3_Lb1ELb0EPdSB_N6thrust23THRUST_200600_302600_NS5minusIdEEEE10hipError_tPvRmT2_T3_mT4_P12ihipStream_tbEUlmE_dEESB_NS0_8identityIvEEEESG_SJ_SK_mSL_SN_bEUlT_E_NS1_11comp_targetILNS1_3genE10ELNS1_11target_archE1200ELNS1_3gpuE4ELNS1_3repE0EEENS1_30default_config_static_selectorELNS0_4arch9wavefront6targetE1EEEvT1_,"axG",@progbits,_ZN7rocprim17ROCPRIM_400000_NS6detail17trampoline_kernelINS0_14default_configENS1_25transform_config_selectorIdLb0EEEZNS1_14transform_implILb0ES3_S5_NS0_18transform_iteratorINS0_17counting_iteratorImlEEZNS1_24adjacent_difference_implIS3_Lb1ELb0EPdSB_N6thrust23THRUST_200600_302600_NS5minusIdEEEE10hipError_tPvRmT2_T3_mT4_P12ihipStream_tbEUlmE_dEESB_NS0_8identityIvEEEESG_SJ_SK_mSL_SN_bEUlT_E_NS1_11comp_targetILNS1_3genE10ELNS1_11target_archE1200ELNS1_3gpuE4ELNS1_3repE0EEENS1_30default_config_static_selectorELNS0_4arch9wavefront6targetE1EEEvT1_,comdat
	.protected	_ZN7rocprim17ROCPRIM_400000_NS6detail17trampoline_kernelINS0_14default_configENS1_25transform_config_selectorIdLb0EEEZNS1_14transform_implILb0ES3_S5_NS0_18transform_iteratorINS0_17counting_iteratorImlEEZNS1_24adjacent_difference_implIS3_Lb1ELb0EPdSB_N6thrust23THRUST_200600_302600_NS5minusIdEEEE10hipError_tPvRmT2_T3_mT4_P12ihipStream_tbEUlmE_dEESB_NS0_8identityIvEEEESG_SJ_SK_mSL_SN_bEUlT_E_NS1_11comp_targetILNS1_3genE10ELNS1_11target_archE1200ELNS1_3gpuE4ELNS1_3repE0EEENS1_30default_config_static_selectorELNS0_4arch9wavefront6targetE1EEEvT1_ ; -- Begin function _ZN7rocprim17ROCPRIM_400000_NS6detail17trampoline_kernelINS0_14default_configENS1_25transform_config_selectorIdLb0EEEZNS1_14transform_implILb0ES3_S5_NS0_18transform_iteratorINS0_17counting_iteratorImlEEZNS1_24adjacent_difference_implIS3_Lb1ELb0EPdSB_N6thrust23THRUST_200600_302600_NS5minusIdEEEE10hipError_tPvRmT2_T3_mT4_P12ihipStream_tbEUlmE_dEESB_NS0_8identityIvEEEESG_SJ_SK_mSL_SN_bEUlT_E_NS1_11comp_targetILNS1_3genE10ELNS1_11target_archE1200ELNS1_3gpuE4ELNS1_3repE0EEENS1_30default_config_static_selectorELNS0_4arch9wavefront6targetE1EEEvT1_
	.globl	_ZN7rocprim17ROCPRIM_400000_NS6detail17trampoline_kernelINS0_14default_configENS1_25transform_config_selectorIdLb0EEEZNS1_14transform_implILb0ES3_S5_NS0_18transform_iteratorINS0_17counting_iteratorImlEEZNS1_24adjacent_difference_implIS3_Lb1ELb0EPdSB_N6thrust23THRUST_200600_302600_NS5minusIdEEEE10hipError_tPvRmT2_T3_mT4_P12ihipStream_tbEUlmE_dEESB_NS0_8identityIvEEEESG_SJ_SK_mSL_SN_bEUlT_E_NS1_11comp_targetILNS1_3genE10ELNS1_11target_archE1200ELNS1_3gpuE4ELNS1_3repE0EEENS1_30default_config_static_selectorELNS0_4arch9wavefront6targetE1EEEvT1_
	.p2align	8
	.type	_ZN7rocprim17ROCPRIM_400000_NS6detail17trampoline_kernelINS0_14default_configENS1_25transform_config_selectorIdLb0EEEZNS1_14transform_implILb0ES3_S5_NS0_18transform_iteratorINS0_17counting_iteratorImlEEZNS1_24adjacent_difference_implIS3_Lb1ELb0EPdSB_N6thrust23THRUST_200600_302600_NS5minusIdEEEE10hipError_tPvRmT2_T3_mT4_P12ihipStream_tbEUlmE_dEESB_NS0_8identityIvEEEESG_SJ_SK_mSL_SN_bEUlT_E_NS1_11comp_targetILNS1_3genE10ELNS1_11target_archE1200ELNS1_3gpuE4ELNS1_3repE0EEENS1_30default_config_static_selectorELNS0_4arch9wavefront6targetE1EEEvT1_,@function
_ZN7rocprim17ROCPRIM_400000_NS6detail17trampoline_kernelINS0_14default_configENS1_25transform_config_selectorIdLb0EEEZNS1_14transform_implILb0ES3_S5_NS0_18transform_iteratorINS0_17counting_iteratorImlEEZNS1_24adjacent_difference_implIS3_Lb1ELb0EPdSB_N6thrust23THRUST_200600_302600_NS5minusIdEEEE10hipError_tPvRmT2_T3_mT4_P12ihipStream_tbEUlmE_dEESB_NS0_8identityIvEEEESG_SJ_SK_mSL_SN_bEUlT_E_NS1_11comp_targetILNS1_3genE10ELNS1_11target_archE1200ELNS1_3gpuE4ELNS1_3repE0EEENS1_30default_config_static_selectorELNS0_4arch9wavefront6targetE1EEEvT1_: ; @_ZN7rocprim17ROCPRIM_400000_NS6detail17trampoline_kernelINS0_14default_configENS1_25transform_config_selectorIdLb0EEEZNS1_14transform_implILb0ES3_S5_NS0_18transform_iteratorINS0_17counting_iteratorImlEEZNS1_24adjacent_difference_implIS3_Lb1ELb0EPdSB_N6thrust23THRUST_200600_302600_NS5minusIdEEEE10hipError_tPvRmT2_T3_mT4_P12ihipStream_tbEUlmE_dEESB_NS0_8identityIvEEEESG_SJ_SK_mSL_SN_bEUlT_E_NS1_11comp_targetILNS1_3genE10ELNS1_11target_archE1200ELNS1_3gpuE4ELNS1_3repE0EEENS1_30default_config_static_selectorELNS0_4arch9wavefront6targetE1EEEvT1_
; %bb.0:
	.section	.rodata,"a",@progbits
	.p2align	6, 0x0
	.amdhsa_kernel _ZN7rocprim17ROCPRIM_400000_NS6detail17trampoline_kernelINS0_14default_configENS1_25transform_config_selectorIdLb0EEEZNS1_14transform_implILb0ES3_S5_NS0_18transform_iteratorINS0_17counting_iteratorImlEEZNS1_24adjacent_difference_implIS3_Lb1ELb0EPdSB_N6thrust23THRUST_200600_302600_NS5minusIdEEEE10hipError_tPvRmT2_T3_mT4_P12ihipStream_tbEUlmE_dEESB_NS0_8identityIvEEEESG_SJ_SK_mSL_SN_bEUlT_E_NS1_11comp_targetILNS1_3genE10ELNS1_11target_archE1200ELNS1_3gpuE4ELNS1_3repE0EEENS1_30default_config_static_selectorELNS0_4arch9wavefront6targetE1EEEvT1_
		.amdhsa_group_segment_fixed_size 0
		.amdhsa_private_segment_fixed_size 0
		.amdhsa_kernarg_size 56
		.amdhsa_user_sgpr_count 2
		.amdhsa_user_sgpr_dispatch_ptr 0
		.amdhsa_user_sgpr_queue_ptr 0
		.amdhsa_user_sgpr_kernarg_segment_ptr 1
		.amdhsa_user_sgpr_dispatch_id 0
		.amdhsa_user_sgpr_kernarg_preload_length 0
		.amdhsa_user_sgpr_kernarg_preload_offset 0
		.amdhsa_user_sgpr_private_segment_size 0
		.amdhsa_uses_dynamic_stack 0
		.amdhsa_enable_private_segment 0
		.amdhsa_system_sgpr_workgroup_id_x 1
		.amdhsa_system_sgpr_workgroup_id_y 0
		.amdhsa_system_sgpr_workgroup_id_z 0
		.amdhsa_system_sgpr_workgroup_info 0
		.amdhsa_system_vgpr_workitem_id 0
		.amdhsa_next_free_vgpr 1
		.amdhsa_next_free_sgpr 0
		.amdhsa_accum_offset 4
		.amdhsa_reserve_vcc 0
		.amdhsa_float_round_mode_32 0
		.amdhsa_float_round_mode_16_64 0
		.amdhsa_float_denorm_mode_32 3
		.amdhsa_float_denorm_mode_16_64 3
		.amdhsa_dx10_clamp 1
		.amdhsa_ieee_mode 1
		.amdhsa_fp16_overflow 0
		.amdhsa_tg_split 0
		.amdhsa_exception_fp_ieee_invalid_op 0
		.amdhsa_exception_fp_denorm_src 0
		.amdhsa_exception_fp_ieee_div_zero 0
		.amdhsa_exception_fp_ieee_overflow 0
		.amdhsa_exception_fp_ieee_underflow 0
		.amdhsa_exception_fp_ieee_inexact 0
		.amdhsa_exception_int_div_zero 0
	.end_amdhsa_kernel
	.section	.text._ZN7rocprim17ROCPRIM_400000_NS6detail17trampoline_kernelINS0_14default_configENS1_25transform_config_selectorIdLb0EEEZNS1_14transform_implILb0ES3_S5_NS0_18transform_iteratorINS0_17counting_iteratorImlEEZNS1_24adjacent_difference_implIS3_Lb1ELb0EPdSB_N6thrust23THRUST_200600_302600_NS5minusIdEEEE10hipError_tPvRmT2_T3_mT4_P12ihipStream_tbEUlmE_dEESB_NS0_8identityIvEEEESG_SJ_SK_mSL_SN_bEUlT_E_NS1_11comp_targetILNS1_3genE10ELNS1_11target_archE1200ELNS1_3gpuE4ELNS1_3repE0EEENS1_30default_config_static_selectorELNS0_4arch9wavefront6targetE1EEEvT1_,"axG",@progbits,_ZN7rocprim17ROCPRIM_400000_NS6detail17trampoline_kernelINS0_14default_configENS1_25transform_config_selectorIdLb0EEEZNS1_14transform_implILb0ES3_S5_NS0_18transform_iteratorINS0_17counting_iteratorImlEEZNS1_24adjacent_difference_implIS3_Lb1ELb0EPdSB_N6thrust23THRUST_200600_302600_NS5minusIdEEEE10hipError_tPvRmT2_T3_mT4_P12ihipStream_tbEUlmE_dEESB_NS0_8identityIvEEEESG_SJ_SK_mSL_SN_bEUlT_E_NS1_11comp_targetILNS1_3genE10ELNS1_11target_archE1200ELNS1_3gpuE4ELNS1_3repE0EEENS1_30default_config_static_selectorELNS0_4arch9wavefront6targetE1EEEvT1_,comdat
.Lfunc_end430:
	.size	_ZN7rocprim17ROCPRIM_400000_NS6detail17trampoline_kernelINS0_14default_configENS1_25transform_config_selectorIdLb0EEEZNS1_14transform_implILb0ES3_S5_NS0_18transform_iteratorINS0_17counting_iteratorImlEEZNS1_24adjacent_difference_implIS3_Lb1ELb0EPdSB_N6thrust23THRUST_200600_302600_NS5minusIdEEEE10hipError_tPvRmT2_T3_mT4_P12ihipStream_tbEUlmE_dEESB_NS0_8identityIvEEEESG_SJ_SK_mSL_SN_bEUlT_E_NS1_11comp_targetILNS1_3genE10ELNS1_11target_archE1200ELNS1_3gpuE4ELNS1_3repE0EEENS1_30default_config_static_selectorELNS0_4arch9wavefront6targetE1EEEvT1_, .Lfunc_end430-_ZN7rocprim17ROCPRIM_400000_NS6detail17trampoline_kernelINS0_14default_configENS1_25transform_config_selectorIdLb0EEEZNS1_14transform_implILb0ES3_S5_NS0_18transform_iteratorINS0_17counting_iteratorImlEEZNS1_24adjacent_difference_implIS3_Lb1ELb0EPdSB_N6thrust23THRUST_200600_302600_NS5minusIdEEEE10hipError_tPvRmT2_T3_mT4_P12ihipStream_tbEUlmE_dEESB_NS0_8identityIvEEEESG_SJ_SK_mSL_SN_bEUlT_E_NS1_11comp_targetILNS1_3genE10ELNS1_11target_archE1200ELNS1_3gpuE4ELNS1_3repE0EEENS1_30default_config_static_selectorELNS0_4arch9wavefront6targetE1EEEvT1_
                                        ; -- End function
	.section	.AMDGPU.csdata,"",@progbits
; Kernel info:
; codeLenInByte = 0
; NumSgprs: 6
; NumVgprs: 0
; NumAgprs: 0
; TotalNumVgprs: 0
; ScratchSize: 0
; MemoryBound: 0
; FloatMode: 240
; IeeeMode: 1
; LDSByteSize: 0 bytes/workgroup (compile time only)
; SGPRBlocks: 0
; VGPRBlocks: 0
; NumSGPRsForWavesPerEU: 6
; NumVGPRsForWavesPerEU: 1
; AccumOffset: 4
; Occupancy: 8
; WaveLimiterHint : 0
; COMPUTE_PGM_RSRC2:SCRATCH_EN: 0
; COMPUTE_PGM_RSRC2:USER_SGPR: 2
; COMPUTE_PGM_RSRC2:TRAP_HANDLER: 0
; COMPUTE_PGM_RSRC2:TGID_X_EN: 1
; COMPUTE_PGM_RSRC2:TGID_Y_EN: 0
; COMPUTE_PGM_RSRC2:TGID_Z_EN: 0
; COMPUTE_PGM_RSRC2:TIDIG_COMP_CNT: 0
; COMPUTE_PGM_RSRC3_GFX90A:ACCUM_OFFSET: 0
; COMPUTE_PGM_RSRC3_GFX90A:TG_SPLIT: 0
	.section	.text._ZN7rocprim17ROCPRIM_400000_NS6detail17trampoline_kernelINS0_14default_configENS1_25transform_config_selectorIdLb0EEEZNS1_14transform_implILb0ES3_S5_NS0_18transform_iteratorINS0_17counting_iteratorImlEEZNS1_24adjacent_difference_implIS3_Lb1ELb0EPdSB_N6thrust23THRUST_200600_302600_NS5minusIdEEEE10hipError_tPvRmT2_T3_mT4_P12ihipStream_tbEUlmE_dEESB_NS0_8identityIvEEEESG_SJ_SK_mSL_SN_bEUlT_E_NS1_11comp_targetILNS1_3genE9ELNS1_11target_archE1100ELNS1_3gpuE3ELNS1_3repE0EEENS1_30default_config_static_selectorELNS0_4arch9wavefront6targetE1EEEvT1_,"axG",@progbits,_ZN7rocprim17ROCPRIM_400000_NS6detail17trampoline_kernelINS0_14default_configENS1_25transform_config_selectorIdLb0EEEZNS1_14transform_implILb0ES3_S5_NS0_18transform_iteratorINS0_17counting_iteratorImlEEZNS1_24adjacent_difference_implIS3_Lb1ELb0EPdSB_N6thrust23THRUST_200600_302600_NS5minusIdEEEE10hipError_tPvRmT2_T3_mT4_P12ihipStream_tbEUlmE_dEESB_NS0_8identityIvEEEESG_SJ_SK_mSL_SN_bEUlT_E_NS1_11comp_targetILNS1_3genE9ELNS1_11target_archE1100ELNS1_3gpuE3ELNS1_3repE0EEENS1_30default_config_static_selectorELNS0_4arch9wavefront6targetE1EEEvT1_,comdat
	.protected	_ZN7rocprim17ROCPRIM_400000_NS6detail17trampoline_kernelINS0_14default_configENS1_25transform_config_selectorIdLb0EEEZNS1_14transform_implILb0ES3_S5_NS0_18transform_iteratorINS0_17counting_iteratorImlEEZNS1_24adjacent_difference_implIS3_Lb1ELb0EPdSB_N6thrust23THRUST_200600_302600_NS5minusIdEEEE10hipError_tPvRmT2_T3_mT4_P12ihipStream_tbEUlmE_dEESB_NS0_8identityIvEEEESG_SJ_SK_mSL_SN_bEUlT_E_NS1_11comp_targetILNS1_3genE9ELNS1_11target_archE1100ELNS1_3gpuE3ELNS1_3repE0EEENS1_30default_config_static_selectorELNS0_4arch9wavefront6targetE1EEEvT1_ ; -- Begin function _ZN7rocprim17ROCPRIM_400000_NS6detail17trampoline_kernelINS0_14default_configENS1_25transform_config_selectorIdLb0EEEZNS1_14transform_implILb0ES3_S5_NS0_18transform_iteratorINS0_17counting_iteratorImlEEZNS1_24adjacent_difference_implIS3_Lb1ELb0EPdSB_N6thrust23THRUST_200600_302600_NS5minusIdEEEE10hipError_tPvRmT2_T3_mT4_P12ihipStream_tbEUlmE_dEESB_NS0_8identityIvEEEESG_SJ_SK_mSL_SN_bEUlT_E_NS1_11comp_targetILNS1_3genE9ELNS1_11target_archE1100ELNS1_3gpuE3ELNS1_3repE0EEENS1_30default_config_static_selectorELNS0_4arch9wavefront6targetE1EEEvT1_
	.globl	_ZN7rocprim17ROCPRIM_400000_NS6detail17trampoline_kernelINS0_14default_configENS1_25transform_config_selectorIdLb0EEEZNS1_14transform_implILb0ES3_S5_NS0_18transform_iteratorINS0_17counting_iteratorImlEEZNS1_24adjacent_difference_implIS3_Lb1ELb0EPdSB_N6thrust23THRUST_200600_302600_NS5minusIdEEEE10hipError_tPvRmT2_T3_mT4_P12ihipStream_tbEUlmE_dEESB_NS0_8identityIvEEEESG_SJ_SK_mSL_SN_bEUlT_E_NS1_11comp_targetILNS1_3genE9ELNS1_11target_archE1100ELNS1_3gpuE3ELNS1_3repE0EEENS1_30default_config_static_selectorELNS0_4arch9wavefront6targetE1EEEvT1_
	.p2align	8
	.type	_ZN7rocprim17ROCPRIM_400000_NS6detail17trampoline_kernelINS0_14default_configENS1_25transform_config_selectorIdLb0EEEZNS1_14transform_implILb0ES3_S5_NS0_18transform_iteratorINS0_17counting_iteratorImlEEZNS1_24adjacent_difference_implIS3_Lb1ELb0EPdSB_N6thrust23THRUST_200600_302600_NS5minusIdEEEE10hipError_tPvRmT2_T3_mT4_P12ihipStream_tbEUlmE_dEESB_NS0_8identityIvEEEESG_SJ_SK_mSL_SN_bEUlT_E_NS1_11comp_targetILNS1_3genE9ELNS1_11target_archE1100ELNS1_3gpuE3ELNS1_3repE0EEENS1_30default_config_static_selectorELNS0_4arch9wavefront6targetE1EEEvT1_,@function
_ZN7rocprim17ROCPRIM_400000_NS6detail17trampoline_kernelINS0_14default_configENS1_25transform_config_selectorIdLb0EEEZNS1_14transform_implILb0ES3_S5_NS0_18transform_iteratorINS0_17counting_iteratorImlEEZNS1_24adjacent_difference_implIS3_Lb1ELb0EPdSB_N6thrust23THRUST_200600_302600_NS5minusIdEEEE10hipError_tPvRmT2_T3_mT4_P12ihipStream_tbEUlmE_dEESB_NS0_8identityIvEEEESG_SJ_SK_mSL_SN_bEUlT_E_NS1_11comp_targetILNS1_3genE9ELNS1_11target_archE1100ELNS1_3gpuE3ELNS1_3repE0EEENS1_30default_config_static_selectorELNS0_4arch9wavefront6targetE1EEEvT1_: ; @_ZN7rocprim17ROCPRIM_400000_NS6detail17trampoline_kernelINS0_14default_configENS1_25transform_config_selectorIdLb0EEEZNS1_14transform_implILb0ES3_S5_NS0_18transform_iteratorINS0_17counting_iteratorImlEEZNS1_24adjacent_difference_implIS3_Lb1ELb0EPdSB_N6thrust23THRUST_200600_302600_NS5minusIdEEEE10hipError_tPvRmT2_T3_mT4_P12ihipStream_tbEUlmE_dEESB_NS0_8identityIvEEEESG_SJ_SK_mSL_SN_bEUlT_E_NS1_11comp_targetILNS1_3genE9ELNS1_11target_archE1100ELNS1_3gpuE3ELNS1_3repE0EEENS1_30default_config_static_selectorELNS0_4arch9wavefront6targetE1EEEvT1_
; %bb.0:
	.section	.rodata,"a",@progbits
	.p2align	6, 0x0
	.amdhsa_kernel _ZN7rocprim17ROCPRIM_400000_NS6detail17trampoline_kernelINS0_14default_configENS1_25transform_config_selectorIdLb0EEEZNS1_14transform_implILb0ES3_S5_NS0_18transform_iteratorINS0_17counting_iteratorImlEEZNS1_24adjacent_difference_implIS3_Lb1ELb0EPdSB_N6thrust23THRUST_200600_302600_NS5minusIdEEEE10hipError_tPvRmT2_T3_mT4_P12ihipStream_tbEUlmE_dEESB_NS0_8identityIvEEEESG_SJ_SK_mSL_SN_bEUlT_E_NS1_11comp_targetILNS1_3genE9ELNS1_11target_archE1100ELNS1_3gpuE3ELNS1_3repE0EEENS1_30default_config_static_selectorELNS0_4arch9wavefront6targetE1EEEvT1_
		.amdhsa_group_segment_fixed_size 0
		.amdhsa_private_segment_fixed_size 0
		.amdhsa_kernarg_size 56
		.amdhsa_user_sgpr_count 2
		.amdhsa_user_sgpr_dispatch_ptr 0
		.amdhsa_user_sgpr_queue_ptr 0
		.amdhsa_user_sgpr_kernarg_segment_ptr 1
		.amdhsa_user_sgpr_dispatch_id 0
		.amdhsa_user_sgpr_kernarg_preload_length 0
		.amdhsa_user_sgpr_kernarg_preload_offset 0
		.amdhsa_user_sgpr_private_segment_size 0
		.amdhsa_uses_dynamic_stack 0
		.amdhsa_enable_private_segment 0
		.amdhsa_system_sgpr_workgroup_id_x 1
		.amdhsa_system_sgpr_workgroup_id_y 0
		.amdhsa_system_sgpr_workgroup_id_z 0
		.amdhsa_system_sgpr_workgroup_info 0
		.amdhsa_system_vgpr_workitem_id 0
		.amdhsa_next_free_vgpr 1
		.amdhsa_next_free_sgpr 0
		.amdhsa_accum_offset 4
		.amdhsa_reserve_vcc 0
		.amdhsa_float_round_mode_32 0
		.amdhsa_float_round_mode_16_64 0
		.amdhsa_float_denorm_mode_32 3
		.amdhsa_float_denorm_mode_16_64 3
		.amdhsa_dx10_clamp 1
		.amdhsa_ieee_mode 1
		.amdhsa_fp16_overflow 0
		.amdhsa_tg_split 0
		.amdhsa_exception_fp_ieee_invalid_op 0
		.amdhsa_exception_fp_denorm_src 0
		.amdhsa_exception_fp_ieee_div_zero 0
		.amdhsa_exception_fp_ieee_overflow 0
		.amdhsa_exception_fp_ieee_underflow 0
		.amdhsa_exception_fp_ieee_inexact 0
		.amdhsa_exception_int_div_zero 0
	.end_amdhsa_kernel
	.section	.text._ZN7rocprim17ROCPRIM_400000_NS6detail17trampoline_kernelINS0_14default_configENS1_25transform_config_selectorIdLb0EEEZNS1_14transform_implILb0ES3_S5_NS0_18transform_iteratorINS0_17counting_iteratorImlEEZNS1_24adjacent_difference_implIS3_Lb1ELb0EPdSB_N6thrust23THRUST_200600_302600_NS5minusIdEEEE10hipError_tPvRmT2_T3_mT4_P12ihipStream_tbEUlmE_dEESB_NS0_8identityIvEEEESG_SJ_SK_mSL_SN_bEUlT_E_NS1_11comp_targetILNS1_3genE9ELNS1_11target_archE1100ELNS1_3gpuE3ELNS1_3repE0EEENS1_30default_config_static_selectorELNS0_4arch9wavefront6targetE1EEEvT1_,"axG",@progbits,_ZN7rocprim17ROCPRIM_400000_NS6detail17trampoline_kernelINS0_14default_configENS1_25transform_config_selectorIdLb0EEEZNS1_14transform_implILb0ES3_S5_NS0_18transform_iteratorINS0_17counting_iteratorImlEEZNS1_24adjacent_difference_implIS3_Lb1ELb0EPdSB_N6thrust23THRUST_200600_302600_NS5minusIdEEEE10hipError_tPvRmT2_T3_mT4_P12ihipStream_tbEUlmE_dEESB_NS0_8identityIvEEEESG_SJ_SK_mSL_SN_bEUlT_E_NS1_11comp_targetILNS1_3genE9ELNS1_11target_archE1100ELNS1_3gpuE3ELNS1_3repE0EEENS1_30default_config_static_selectorELNS0_4arch9wavefront6targetE1EEEvT1_,comdat
.Lfunc_end431:
	.size	_ZN7rocprim17ROCPRIM_400000_NS6detail17trampoline_kernelINS0_14default_configENS1_25transform_config_selectorIdLb0EEEZNS1_14transform_implILb0ES3_S5_NS0_18transform_iteratorINS0_17counting_iteratorImlEEZNS1_24adjacent_difference_implIS3_Lb1ELb0EPdSB_N6thrust23THRUST_200600_302600_NS5minusIdEEEE10hipError_tPvRmT2_T3_mT4_P12ihipStream_tbEUlmE_dEESB_NS0_8identityIvEEEESG_SJ_SK_mSL_SN_bEUlT_E_NS1_11comp_targetILNS1_3genE9ELNS1_11target_archE1100ELNS1_3gpuE3ELNS1_3repE0EEENS1_30default_config_static_selectorELNS0_4arch9wavefront6targetE1EEEvT1_, .Lfunc_end431-_ZN7rocprim17ROCPRIM_400000_NS6detail17trampoline_kernelINS0_14default_configENS1_25transform_config_selectorIdLb0EEEZNS1_14transform_implILb0ES3_S5_NS0_18transform_iteratorINS0_17counting_iteratorImlEEZNS1_24adjacent_difference_implIS3_Lb1ELb0EPdSB_N6thrust23THRUST_200600_302600_NS5minusIdEEEE10hipError_tPvRmT2_T3_mT4_P12ihipStream_tbEUlmE_dEESB_NS0_8identityIvEEEESG_SJ_SK_mSL_SN_bEUlT_E_NS1_11comp_targetILNS1_3genE9ELNS1_11target_archE1100ELNS1_3gpuE3ELNS1_3repE0EEENS1_30default_config_static_selectorELNS0_4arch9wavefront6targetE1EEEvT1_
                                        ; -- End function
	.section	.AMDGPU.csdata,"",@progbits
; Kernel info:
; codeLenInByte = 0
; NumSgprs: 6
; NumVgprs: 0
; NumAgprs: 0
; TotalNumVgprs: 0
; ScratchSize: 0
; MemoryBound: 0
; FloatMode: 240
; IeeeMode: 1
; LDSByteSize: 0 bytes/workgroup (compile time only)
; SGPRBlocks: 0
; VGPRBlocks: 0
; NumSGPRsForWavesPerEU: 6
; NumVGPRsForWavesPerEU: 1
; AccumOffset: 4
; Occupancy: 8
; WaveLimiterHint : 0
; COMPUTE_PGM_RSRC2:SCRATCH_EN: 0
; COMPUTE_PGM_RSRC2:USER_SGPR: 2
; COMPUTE_PGM_RSRC2:TRAP_HANDLER: 0
; COMPUTE_PGM_RSRC2:TGID_X_EN: 1
; COMPUTE_PGM_RSRC2:TGID_Y_EN: 0
; COMPUTE_PGM_RSRC2:TGID_Z_EN: 0
; COMPUTE_PGM_RSRC2:TIDIG_COMP_CNT: 0
; COMPUTE_PGM_RSRC3_GFX90A:ACCUM_OFFSET: 0
; COMPUTE_PGM_RSRC3_GFX90A:TG_SPLIT: 0
	.section	.text._ZN7rocprim17ROCPRIM_400000_NS6detail17trampoline_kernelINS0_14default_configENS1_25transform_config_selectorIdLb0EEEZNS1_14transform_implILb0ES3_S5_NS0_18transform_iteratorINS0_17counting_iteratorImlEEZNS1_24adjacent_difference_implIS3_Lb1ELb0EPdSB_N6thrust23THRUST_200600_302600_NS5minusIdEEEE10hipError_tPvRmT2_T3_mT4_P12ihipStream_tbEUlmE_dEESB_NS0_8identityIvEEEESG_SJ_SK_mSL_SN_bEUlT_E_NS1_11comp_targetILNS1_3genE8ELNS1_11target_archE1030ELNS1_3gpuE2ELNS1_3repE0EEENS1_30default_config_static_selectorELNS0_4arch9wavefront6targetE1EEEvT1_,"axG",@progbits,_ZN7rocprim17ROCPRIM_400000_NS6detail17trampoline_kernelINS0_14default_configENS1_25transform_config_selectorIdLb0EEEZNS1_14transform_implILb0ES3_S5_NS0_18transform_iteratorINS0_17counting_iteratorImlEEZNS1_24adjacent_difference_implIS3_Lb1ELb0EPdSB_N6thrust23THRUST_200600_302600_NS5minusIdEEEE10hipError_tPvRmT2_T3_mT4_P12ihipStream_tbEUlmE_dEESB_NS0_8identityIvEEEESG_SJ_SK_mSL_SN_bEUlT_E_NS1_11comp_targetILNS1_3genE8ELNS1_11target_archE1030ELNS1_3gpuE2ELNS1_3repE0EEENS1_30default_config_static_selectorELNS0_4arch9wavefront6targetE1EEEvT1_,comdat
	.protected	_ZN7rocprim17ROCPRIM_400000_NS6detail17trampoline_kernelINS0_14default_configENS1_25transform_config_selectorIdLb0EEEZNS1_14transform_implILb0ES3_S5_NS0_18transform_iteratorINS0_17counting_iteratorImlEEZNS1_24adjacent_difference_implIS3_Lb1ELb0EPdSB_N6thrust23THRUST_200600_302600_NS5minusIdEEEE10hipError_tPvRmT2_T3_mT4_P12ihipStream_tbEUlmE_dEESB_NS0_8identityIvEEEESG_SJ_SK_mSL_SN_bEUlT_E_NS1_11comp_targetILNS1_3genE8ELNS1_11target_archE1030ELNS1_3gpuE2ELNS1_3repE0EEENS1_30default_config_static_selectorELNS0_4arch9wavefront6targetE1EEEvT1_ ; -- Begin function _ZN7rocprim17ROCPRIM_400000_NS6detail17trampoline_kernelINS0_14default_configENS1_25transform_config_selectorIdLb0EEEZNS1_14transform_implILb0ES3_S5_NS0_18transform_iteratorINS0_17counting_iteratorImlEEZNS1_24adjacent_difference_implIS3_Lb1ELb0EPdSB_N6thrust23THRUST_200600_302600_NS5minusIdEEEE10hipError_tPvRmT2_T3_mT4_P12ihipStream_tbEUlmE_dEESB_NS0_8identityIvEEEESG_SJ_SK_mSL_SN_bEUlT_E_NS1_11comp_targetILNS1_3genE8ELNS1_11target_archE1030ELNS1_3gpuE2ELNS1_3repE0EEENS1_30default_config_static_selectorELNS0_4arch9wavefront6targetE1EEEvT1_
	.globl	_ZN7rocprim17ROCPRIM_400000_NS6detail17trampoline_kernelINS0_14default_configENS1_25transform_config_selectorIdLb0EEEZNS1_14transform_implILb0ES3_S5_NS0_18transform_iteratorINS0_17counting_iteratorImlEEZNS1_24adjacent_difference_implIS3_Lb1ELb0EPdSB_N6thrust23THRUST_200600_302600_NS5minusIdEEEE10hipError_tPvRmT2_T3_mT4_P12ihipStream_tbEUlmE_dEESB_NS0_8identityIvEEEESG_SJ_SK_mSL_SN_bEUlT_E_NS1_11comp_targetILNS1_3genE8ELNS1_11target_archE1030ELNS1_3gpuE2ELNS1_3repE0EEENS1_30default_config_static_selectorELNS0_4arch9wavefront6targetE1EEEvT1_
	.p2align	8
	.type	_ZN7rocprim17ROCPRIM_400000_NS6detail17trampoline_kernelINS0_14default_configENS1_25transform_config_selectorIdLb0EEEZNS1_14transform_implILb0ES3_S5_NS0_18transform_iteratorINS0_17counting_iteratorImlEEZNS1_24adjacent_difference_implIS3_Lb1ELb0EPdSB_N6thrust23THRUST_200600_302600_NS5minusIdEEEE10hipError_tPvRmT2_T3_mT4_P12ihipStream_tbEUlmE_dEESB_NS0_8identityIvEEEESG_SJ_SK_mSL_SN_bEUlT_E_NS1_11comp_targetILNS1_3genE8ELNS1_11target_archE1030ELNS1_3gpuE2ELNS1_3repE0EEENS1_30default_config_static_selectorELNS0_4arch9wavefront6targetE1EEEvT1_,@function
_ZN7rocprim17ROCPRIM_400000_NS6detail17trampoline_kernelINS0_14default_configENS1_25transform_config_selectorIdLb0EEEZNS1_14transform_implILb0ES3_S5_NS0_18transform_iteratorINS0_17counting_iteratorImlEEZNS1_24adjacent_difference_implIS3_Lb1ELb0EPdSB_N6thrust23THRUST_200600_302600_NS5minusIdEEEE10hipError_tPvRmT2_T3_mT4_P12ihipStream_tbEUlmE_dEESB_NS0_8identityIvEEEESG_SJ_SK_mSL_SN_bEUlT_E_NS1_11comp_targetILNS1_3genE8ELNS1_11target_archE1030ELNS1_3gpuE2ELNS1_3repE0EEENS1_30default_config_static_selectorELNS0_4arch9wavefront6targetE1EEEvT1_: ; @_ZN7rocprim17ROCPRIM_400000_NS6detail17trampoline_kernelINS0_14default_configENS1_25transform_config_selectorIdLb0EEEZNS1_14transform_implILb0ES3_S5_NS0_18transform_iteratorINS0_17counting_iteratorImlEEZNS1_24adjacent_difference_implIS3_Lb1ELb0EPdSB_N6thrust23THRUST_200600_302600_NS5minusIdEEEE10hipError_tPvRmT2_T3_mT4_P12ihipStream_tbEUlmE_dEESB_NS0_8identityIvEEEESG_SJ_SK_mSL_SN_bEUlT_E_NS1_11comp_targetILNS1_3genE8ELNS1_11target_archE1030ELNS1_3gpuE2ELNS1_3repE0EEENS1_30default_config_static_selectorELNS0_4arch9wavefront6targetE1EEEvT1_
; %bb.0:
	.section	.rodata,"a",@progbits
	.p2align	6, 0x0
	.amdhsa_kernel _ZN7rocprim17ROCPRIM_400000_NS6detail17trampoline_kernelINS0_14default_configENS1_25transform_config_selectorIdLb0EEEZNS1_14transform_implILb0ES3_S5_NS0_18transform_iteratorINS0_17counting_iteratorImlEEZNS1_24adjacent_difference_implIS3_Lb1ELb0EPdSB_N6thrust23THRUST_200600_302600_NS5minusIdEEEE10hipError_tPvRmT2_T3_mT4_P12ihipStream_tbEUlmE_dEESB_NS0_8identityIvEEEESG_SJ_SK_mSL_SN_bEUlT_E_NS1_11comp_targetILNS1_3genE8ELNS1_11target_archE1030ELNS1_3gpuE2ELNS1_3repE0EEENS1_30default_config_static_selectorELNS0_4arch9wavefront6targetE1EEEvT1_
		.amdhsa_group_segment_fixed_size 0
		.amdhsa_private_segment_fixed_size 0
		.amdhsa_kernarg_size 56
		.amdhsa_user_sgpr_count 2
		.amdhsa_user_sgpr_dispatch_ptr 0
		.amdhsa_user_sgpr_queue_ptr 0
		.amdhsa_user_sgpr_kernarg_segment_ptr 1
		.amdhsa_user_sgpr_dispatch_id 0
		.amdhsa_user_sgpr_kernarg_preload_length 0
		.amdhsa_user_sgpr_kernarg_preload_offset 0
		.amdhsa_user_sgpr_private_segment_size 0
		.amdhsa_uses_dynamic_stack 0
		.amdhsa_enable_private_segment 0
		.amdhsa_system_sgpr_workgroup_id_x 1
		.amdhsa_system_sgpr_workgroup_id_y 0
		.amdhsa_system_sgpr_workgroup_id_z 0
		.amdhsa_system_sgpr_workgroup_info 0
		.amdhsa_system_vgpr_workitem_id 0
		.amdhsa_next_free_vgpr 1
		.amdhsa_next_free_sgpr 0
		.amdhsa_accum_offset 4
		.amdhsa_reserve_vcc 0
		.amdhsa_float_round_mode_32 0
		.amdhsa_float_round_mode_16_64 0
		.amdhsa_float_denorm_mode_32 3
		.amdhsa_float_denorm_mode_16_64 3
		.amdhsa_dx10_clamp 1
		.amdhsa_ieee_mode 1
		.amdhsa_fp16_overflow 0
		.amdhsa_tg_split 0
		.amdhsa_exception_fp_ieee_invalid_op 0
		.amdhsa_exception_fp_denorm_src 0
		.amdhsa_exception_fp_ieee_div_zero 0
		.amdhsa_exception_fp_ieee_overflow 0
		.amdhsa_exception_fp_ieee_underflow 0
		.amdhsa_exception_fp_ieee_inexact 0
		.amdhsa_exception_int_div_zero 0
	.end_amdhsa_kernel
	.section	.text._ZN7rocprim17ROCPRIM_400000_NS6detail17trampoline_kernelINS0_14default_configENS1_25transform_config_selectorIdLb0EEEZNS1_14transform_implILb0ES3_S5_NS0_18transform_iteratorINS0_17counting_iteratorImlEEZNS1_24adjacent_difference_implIS3_Lb1ELb0EPdSB_N6thrust23THRUST_200600_302600_NS5minusIdEEEE10hipError_tPvRmT2_T3_mT4_P12ihipStream_tbEUlmE_dEESB_NS0_8identityIvEEEESG_SJ_SK_mSL_SN_bEUlT_E_NS1_11comp_targetILNS1_3genE8ELNS1_11target_archE1030ELNS1_3gpuE2ELNS1_3repE0EEENS1_30default_config_static_selectorELNS0_4arch9wavefront6targetE1EEEvT1_,"axG",@progbits,_ZN7rocprim17ROCPRIM_400000_NS6detail17trampoline_kernelINS0_14default_configENS1_25transform_config_selectorIdLb0EEEZNS1_14transform_implILb0ES3_S5_NS0_18transform_iteratorINS0_17counting_iteratorImlEEZNS1_24adjacent_difference_implIS3_Lb1ELb0EPdSB_N6thrust23THRUST_200600_302600_NS5minusIdEEEE10hipError_tPvRmT2_T3_mT4_P12ihipStream_tbEUlmE_dEESB_NS0_8identityIvEEEESG_SJ_SK_mSL_SN_bEUlT_E_NS1_11comp_targetILNS1_3genE8ELNS1_11target_archE1030ELNS1_3gpuE2ELNS1_3repE0EEENS1_30default_config_static_selectorELNS0_4arch9wavefront6targetE1EEEvT1_,comdat
.Lfunc_end432:
	.size	_ZN7rocprim17ROCPRIM_400000_NS6detail17trampoline_kernelINS0_14default_configENS1_25transform_config_selectorIdLb0EEEZNS1_14transform_implILb0ES3_S5_NS0_18transform_iteratorINS0_17counting_iteratorImlEEZNS1_24adjacent_difference_implIS3_Lb1ELb0EPdSB_N6thrust23THRUST_200600_302600_NS5minusIdEEEE10hipError_tPvRmT2_T3_mT4_P12ihipStream_tbEUlmE_dEESB_NS0_8identityIvEEEESG_SJ_SK_mSL_SN_bEUlT_E_NS1_11comp_targetILNS1_3genE8ELNS1_11target_archE1030ELNS1_3gpuE2ELNS1_3repE0EEENS1_30default_config_static_selectorELNS0_4arch9wavefront6targetE1EEEvT1_, .Lfunc_end432-_ZN7rocprim17ROCPRIM_400000_NS6detail17trampoline_kernelINS0_14default_configENS1_25transform_config_selectorIdLb0EEEZNS1_14transform_implILb0ES3_S5_NS0_18transform_iteratorINS0_17counting_iteratorImlEEZNS1_24adjacent_difference_implIS3_Lb1ELb0EPdSB_N6thrust23THRUST_200600_302600_NS5minusIdEEEE10hipError_tPvRmT2_T3_mT4_P12ihipStream_tbEUlmE_dEESB_NS0_8identityIvEEEESG_SJ_SK_mSL_SN_bEUlT_E_NS1_11comp_targetILNS1_3genE8ELNS1_11target_archE1030ELNS1_3gpuE2ELNS1_3repE0EEENS1_30default_config_static_selectorELNS0_4arch9wavefront6targetE1EEEvT1_
                                        ; -- End function
	.section	.AMDGPU.csdata,"",@progbits
; Kernel info:
; codeLenInByte = 0
; NumSgprs: 6
; NumVgprs: 0
; NumAgprs: 0
; TotalNumVgprs: 0
; ScratchSize: 0
; MemoryBound: 0
; FloatMode: 240
; IeeeMode: 1
; LDSByteSize: 0 bytes/workgroup (compile time only)
; SGPRBlocks: 0
; VGPRBlocks: 0
; NumSGPRsForWavesPerEU: 6
; NumVGPRsForWavesPerEU: 1
; AccumOffset: 4
; Occupancy: 8
; WaveLimiterHint : 0
; COMPUTE_PGM_RSRC2:SCRATCH_EN: 0
; COMPUTE_PGM_RSRC2:USER_SGPR: 2
; COMPUTE_PGM_RSRC2:TRAP_HANDLER: 0
; COMPUTE_PGM_RSRC2:TGID_X_EN: 1
; COMPUTE_PGM_RSRC2:TGID_Y_EN: 0
; COMPUTE_PGM_RSRC2:TGID_Z_EN: 0
; COMPUTE_PGM_RSRC2:TIDIG_COMP_CNT: 0
; COMPUTE_PGM_RSRC3_GFX90A:ACCUM_OFFSET: 0
; COMPUTE_PGM_RSRC3_GFX90A:TG_SPLIT: 0
	.section	.text._ZN7rocprim17ROCPRIM_400000_NS6detail17trampoline_kernelINS0_14default_configENS1_35adjacent_difference_config_selectorILb1EdEEZNS1_24adjacent_difference_implIS3_Lb1ELb0EPdS7_N6thrust23THRUST_200600_302600_NS5minusIdEEEE10hipError_tPvRmT2_T3_mT4_P12ihipStream_tbEUlT_E_NS1_11comp_targetILNS1_3genE0ELNS1_11target_archE4294967295ELNS1_3gpuE0ELNS1_3repE0EEENS1_30default_config_static_selectorELNS0_4arch9wavefront6targetE1EEEvT1_,"axG",@progbits,_ZN7rocprim17ROCPRIM_400000_NS6detail17trampoline_kernelINS0_14default_configENS1_35adjacent_difference_config_selectorILb1EdEEZNS1_24adjacent_difference_implIS3_Lb1ELb0EPdS7_N6thrust23THRUST_200600_302600_NS5minusIdEEEE10hipError_tPvRmT2_T3_mT4_P12ihipStream_tbEUlT_E_NS1_11comp_targetILNS1_3genE0ELNS1_11target_archE4294967295ELNS1_3gpuE0ELNS1_3repE0EEENS1_30default_config_static_selectorELNS0_4arch9wavefront6targetE1EEEvT1_,comdat
	.protected	_ZN7rocprim17ROCPRIM_400000_NS6detail17trampoline_kernelINS0_14default_configENS1_35adjacent_difference_config_selectorILb1EdEEZNS1_24adjacent_difference_implIS3_Lb1ELb0EPdS7_N6thrust23THRUST_200600_302600_NS5minusIdEEEE10hipError_tPvRmT2_T3_mT4_P12ihipStream_tbEUlT_E_NS1_11comp_targetILNS1_3genE0ELNS1_11target_archE4294967295ELNS1_3gpuE0ELNS1_3repE0EEENS1_30default_config_static_selectorELNS0_4arch9wavefront6targetE1EEEvT1_ ; -- Begin function _ZN7rocprim17ROCPRIM_400000_NS6detail17trampoline_kernelINS0_14default_configENS1_35adjacent_difference_config_selectorILb1EdEEZNS1_24adjacent_difference_implIS3_Lb1ELb0EPdS7_N6thrust23THRUST_200600_302600_NS5minusIdEEEE10hipError_tPvRmT2_T3_mT4_P12ihipStream_tbEUlT_E_NS1_11comp_targetILNS1_3genE0ELNS1_11target_archE4294967295ELNS1_3gpuE0ELNS1_3repE0EEENS1_30default_config_static_selectorELNS0_4arch9wavefront6targetE1EEEvT1_
	.globl	_ZN7rocprim17ROCPRIM_400000_NS6detail17trampoline_kernelINS0_14default_configENS1_35adjacent_difference_config_selectorILb1EdEEZNS1_24adjacent_difference_implIS3_Lb1ELb0EPdS7_N6thrust23THRUST_200600_302600_NS5minusIdEEEE10hipError_tPvRmT2_T3_mT4_P12ihipStream_tbEUlT_E_NS1_11comp_targetILNS1_3genE0ELNS1_11target_archE4294967295ELNS1_3gpuE0ELNS1_3repE0EEENS1_30default_config_static_selectorELNS0_4arch9wavefront6targetE1EEEvT1_
	.p2align	8
	.type	_ZN7rocprim17ROCPRIM_400000_NS6detail17trampoline_kernelINS0_14default_configENS1_35adjacent_difference_config_selectorILb1EdEEZNS1_24adjacent_difference_implIS3_Lb1ELb0EPdS7_N6thrust23THRUST_200600_302600_NS5minusIdEEEE10hipError_tPvRmT2_T3_mT4_P12ihipStream_tbEUlT_E_NS1_11comp_targetILNS1_3genE0ELNS1_11target_archE4294967295ELNS1_3gpuE0ELNS1_3repE0EEENS1_30default_config_static_selectorELNS0_4arch9wavefront6targetE1EEEvT1_,@function
_ZN7rocprim17ROCPRIM_400000_NS6detail17trampoline_kernelINS0_14default_configENS1_35adjacent_difference_config_selectorILb1EdEEZNS1_24adjacent_difference_implIS3_Lb1ELb0EPdS7_N6thrust23THRUST_200600_302600_NS5minusIdEEEE10hipError_tPvRmT2_T3_mT4_P12ihipStream_tbEUlT_E_NS1_11comp_targetILNS1_3genE0ELNS1_11target_archE4294967295ELNS1_3gpuE0ELNS1_3repE0EEENS1_30default_config_static_selectorELNS0_4arch9wavefront6targetE1EEEvT1_: ; @_ZN7rocprim17ROCPRIM_400000_NS6detail17trampoline_kernelINS0_14default_configENS1_35adjacent_difference_config_selectorILb1EdEEZNS1_24adjacent_difference_implIS3_Lb1ELb0EPdS7_N6thrust23THRUST_200600_302600_NS5minusIdEEEE10hipError_tPvRmT2_T3_mT4_P12ihipStream_tbEUlT_E_NS1_11comp_targetILNS1_3genE0ELNS1_11target_archE4294967295ELNS1_3gpuE0ELNS1_3repE0EEENS1_30default_config_static_selectorELNS0_4arch9wavefront6targetE1EEEvT1_
; %bb.0:
	.section	.rodata,"a",@progbits
	.p2align	6, 0x0
	.amdhsa_kernel _ZN7rocprim17ROCPRIM_400000_NS6detail17trampoline_kernelINS0_14default_configENS1_35adjacent_difference_config_selectorILb1EdEEZNS1_24adjacent_difference_implIS3_Lb1ELb0EPdS7_N6thrust23THRUST_200600_302600_NS5minusIdEEEE10hipError_tPvRmT2_T3_mT4_P12ihipStream_tbEUlT_E_NS1_11comp_targetILNS1_3genE0ELNS1_11target_archE4294967295ELNS1_3gpuE0ELNS1_3repE0EEENS1_30default_config_static_selectorELNS0_4arch9wavefront6targetE1EEEvT1_
		.amdhsa_group_segment_fixed_size 0
		.amdhsa_private_segment_fixed_size 0
		.amdhsa_kernarg_size 56
		.amdhsa_user_sgpr_count 2
		.amdhsa_user_sgpr_dispatch_ptr 0
		.amdhsa_user_sgpr_queue_ptr 0
		.amdhsa_user_sgpr_kernarg_segment_ptr 1
		.amdhsa_user_sgpr_dispatch_id 0
		.amdhsa_user_sgpr_kernarg_preload_length 0
		.amdhsa_user_sgpr_kernarg_preload_offset 0
		.amdhsa_user_sgpr_private_segment_size 0
		.amdhsa_uses_dynamic_stack 0
		.amdhsa_enable_private_segment 0
		.amdhsa_system_sgpr_workgroup_id_x 1
		.amdhsa_system_sgpr_workgroup_id_y 0
		.amdhsa_system_sgpr_workgroup_id_z 0
		.amdhsa_system_sgpr_workgroup_info 0
		.amdhsa_system_vgpr_workitem_id 0
		.amdhsa_next_free_vgpr 1
		.amdhsa_next_free_sgpr 0
		.amdhsa_accum_offset 4
		.amdhsa_reserve_vcc 0
		.amdhsa_float_round_mode_32 0
		.amdhsa_float_round_mode_16_64 0
		.amdhsa_float_denorm_mode_32 3
		.amdhsa_float_denorm_mode_16_64 3
		.amdhsa_dx10_clamp 1
		.amdhsa_ieee_mode 1
		.amdhsa_fp16_overflow 0
		.amdhsa_tg_split 0
		.amdhsa_exception_fp_ieee_invalid_op 0
		.amdhsa_exception_fp_denorm_src 0
		.amdhsa_exception_fp_ieee_div_zero 0
		.amdhsa_exception_fp_ieee_overflow 0
		.amdhsa_exception_fp_ieee_underflow 0
		.amdhsa_exception_fp_ieee_inexact 0
		.amdhsa_exception_int_div_zero 0
	.end_amdhsa_kernel
	.section	.text._ZN7rocprim17ROCPRIM_400000_NS6detail17trampoline_kernelINS0_14default_configENS1_35adjacent_difference_config_selectorILb1EdEEZNS1_24adjacent_difference_implIS3_Lb1ELb0EPdS7_N6thrust23THRUST_200600_302600_NS5minusIdEEEE10hipError_tPvRmT2_T3_mT4_P12ihipStream_tbEUlT_E_NS1_11comp_targetILNS1_3genE0ELNS1_11target_archE4294967295ELNS1_3gpuE0ELNS1_3repE0EEENS1_30default_config_static_selectorELNS0_4arch9wavefront6targetE1EEEvT1_,"axG",@progbits,_ZN7rocprim17ROCPRIM_400000_NS6detail17trampoline_kernelINS0_14default_configENS1_35adjacent_difference_config_selectorILb1EdEEZNS1_24adjacent_difference_implIS3_Lb1ELb0EPdS7_N6thrust23THRUST_200600_302600_NS5minusIdEEEE10hipError_tPvRmT2_T3_mT4_P12ihipStream_tbEUlT_E_NS1_11comp_targetILNS1_3genE0ELNS1_11target_archE4294967295ELNS1_3gpuE0ELNS1_3repE0EEENS1_30default_config_static_selectorELNS0_4arch9wavefront6targetE1EEEvT1_,comdat
.Lfunc_end433:
	.size	_ZN7rocprim17ROCPRIM_400000_NS6detail17trampoline_kernelINS0_14default_configENS1_35adjacent_difference_config_selectorILb1EdEEZNS1_24adjacent_difference_implIS3_Lb1ELb0EPdS7_N6thrust23THRUST_200600_302600_NS5minusIdEEEE10hipError_tPvRmT2_T3_mT4_P12ihipStream_tbEUlT_E_NS1_11comp_targetILNS1_3genE0ELNS1_11target_archE4294967295ELNS1_3gpuE0ELNS1_3repE0EEENS1_30default_config_static_selectorELNS0_4arch9wavefront6targetE1EEEvT1_, .Lfunc_end433-_ZN7rocprim17ROCPRIM_400000_NS6detail17trampoline_kernelINS0_14default_configENS1_35adjacent_difference_config_selectorILb1EdEEZNS1_24adjacent_difference_implIS3_Lb1ELb0EPdS7_N6thrust23THRUST_200600_302600_NS5minusIdEEEE10hipError_tPvRmT2_T3_mT4_P12ihipStream_tbEUlT_E_NS1_11comp_targetILNS1_3genE0ELNS1_11target_archE4294967295ELNS1_3gpuE0ELNS1_3repE0EEENS1_30default_config_static_selectorELNS0_4arch9wavefront6targetE1EEEvT1_
                                        ; -- End function
	.section	.AMDGPU.csdata,"",@progbits
; Kernel info:
; codeLenInByte = 0
; NumSgprs: 6
; NumVgprs: 0
; NumAgprs: 0
; TotalNumVgprs: 0
; ScratchSize: 0
; MemoryBound: 0
; FloatMode: 240
; IeeeMode: 1
; LDSByteSize: 0 bytes/workgroup (compile time only)
; SGPRBlocks: 0
; VGPRBlocks: 0
; NumSGPRsForWavesPerEU: 6
; NumVGPRsForWavesPerEU: 1
; AccumOffset: 4
; Occupancy: 8
; WaveLimiterHint : 0
; COMPUTE_PGM_RSRC2:SCRATCH_EN: 0
; COMPUTE_PGM_RSRC2:USER_SGPR: 2
; COMPUTE_PGM_RSRC2:TRAP_HANDLER: 0
; COMPUTE_PGM_RSRC2:TGID_X_EN: 1
; COMPUTE_PGM_RSRC2:TGID_Y_EN: 0
; COMPUTE_PGM_RSRC2:TGID_Z_EN: 0
; COMPUTE_PGM_RSRC2:TIDIG_COMP_CNT: 0
; COMPUTE_PGM_RSRC3_GFX90A:ACCUM_OFFSET: 0
; COMPUTE_PGM_RSRC3_GFX90A:TG_SPLIT: 0
	.section	.text._ZN7rocprim17ROCPRIM_400000_NS6detail17trampoline_kernelINS0_14default_configENS1_35adjacent_difference_config_selectorILb1EdEEZNS1_24adjacent_difference_implIS3_Lb1ELb0EPdS7_N6thrust23THRUST_200600_302600_NS5minusIdEEEE10hipError_tPvRmT2_T3_mT4_P12ihipStream_tbEUlT_E_NS1_11comp_targetILNS1_3genE10ELNS1_11target_archE1201ELNS1_3gpuE5ELNS1_3repE0EEENS1_30default_config_static_selectorELNS0_4arch9wavefront6targetE1EEEvT1_,"axG",@progbits,_ZN7rocprim17ROCPRIM_400000_NS6detail17trampoline_kernelINS0_14default_configENS1_35adjacent_difference_config_selectorILb1EdEEZNS1_24adjacent_difference_implIS3_Lb1ELb0EPdS7_N6thrust23THRUST_200600_302600_NS5minusIdEEEE10hipError_tPvRmT2_T3_mT4_P12ihipStream_tbEUlT_E_NS1_11comp_targetILNS1_3genE10ELNS1_11target_archE1201ELNS1_3gpuE5ELNS1_3repE0EEENS1_30default_config_static_selectorELNS0_4arch9wavefront6targetE1EEEvT1_,comdat
	.protected	_ZN7rocprim17ROCPRIM_400000_NS6detail17trampoline_kernelINS0_14default_configENS1_35adjacent_difference_config_selectorILb1EdEEZNS1_24adjacent_difference_implIS3_Lb1ELb0EPdS7_N6thrust23THRUST_200600_302600_NS5minusIdEEEE10hipError_tPvRmT2_T3_mT4_P12ihipStream_tbEUlT_E_NS1_11comp_targetILNS1_3genE10ELNS1_11target_archE1201ELNS1_3gpuE5ELNS1_3repE0EEENS1_30default_config_static_selectorELNS0_4arch9wavefront6targetE1EEEvT1_ ; -- Begin function _ZN7rocprim17ROCPRIM_400000_NS6detail17trampoline_kernelINS0_14default_configENS1_35adjacent_difference_config_selectorILb1EdEEZNS1_24adjacent_difference_implIS3_Lb1ELb0EPdS7_N6thrust23THRUST_200600_302600_NS5minusIdEEEE10hipError_tPvRmT2_T3_mT4_P12ihipStream_tbEUlT_E_NS1_11comp_targetILNS1_3genE10ELNS1_11target_archE1201ELNS1_3gpuE5ELNS1_3repE0EEENS1_30default_config_static_selectorELNS0_4arch9wavefront6targetE1EEEvT1_
	.globl	_ZN7rocprim17ROCPRIM_400000_NS6detail17trampoline_kernelINS0_14default_configENS1_35adjacent_difference_config_selectorILb1EdEEZNS1_24adjacent_difference_implIS3_Lb1ELb0EPdS7_N6thrust23THRUST_200600_302600_NS5minusIdEEEE10hipError_tPvRmT2_T3_mT4_P12ihipStream_tbEUlT_E_NS1_11comp_targetILNS1_3genE10ELNS1_11target_archE1201ELNS1_3gpuE5ELNS1_3repE0EEENS1_30default_config_static_selectorELNS0_4arch9wavefront6targetE1EEEvT1_
	.p2align	8
	.type	_ZN7rocprim17ROCPRIM_400000_NS6detail17trampoline_kernelINS0_14default_configENS1_35adjacent_difference_config_selectorILb1EdEEZNS1_24adjacent_difference_implIS3_Lb1ELb0EPdS7_N6thrust23THRUST_200600_302600_NS5minusIdEEEE10hipError_tPvRmT2_T3_mT4_P12ihipStream_tbEUlT_E_NS1_11comp_targetILNS1_3genE10ELNS1_11target_archE1201ELNS1_3gpuE5ELNS1_3repE0EEENS1_30default_config_static_selectorELNS0_4arch9wavefront6targetE1EEEvT1_,@function
_ZN7rocprim17ROCPRIM_400000_NS6detail17trampoline_kernelINS0_14default_configENS1_35adjacent_difference_config_selectorILb1EdEEZNS1_24adjacent_difference_implIS3_Lb1ELb0EPdS7_N6thrust23THRUST_200600_302600_NS5minusIdEEEE10hipError_tPvRmT2_T3_mT4_P12ihipStream_tbEUlT_E_NS1_11comp_targetILNS1_3genE10ELNS1_11target_archE1201ELNS1_3gpuE5ELNS1_3repE0EEENS1_30default_config_static_selectorELNS0_4arch9wavefront6targetE1EEEvT1_: ; @_ZN7rocprim17ROCPRIM_400000_NS6detail17trampoline_kernelINS0_14default_configENS1_35adjacent_difference_config_selectorILb1EdEEZNS1_24adjacent_difference_implIS3_Lb1ELb0EPdS7_N6thrust23THRUST_200600_302600_NS5minusIdEEEE10hipError_tPvRmT2_T3_mT4_P12ihipStream_tbEUlT_E_NS1_11comp_targetILNS1_3genE10ELNS1_11target_archE1201ELNS1_3gpuE5ELNS1_3repE0EEENS1_30default_config_static_selectorELNS0_4arch9wavefront6targetE1EEEvT1_
; %bb.0:
	.section	.rodata,"a",@progbits
	.p2align	6, 0x0
	.amdhsa_kernel _ZN7rocprim17ROCPRIM_400000_NS6detail17trampoline_kernelINS0_14default_configENS1_35adjacent_difference_config_selectorILb1EdEEZNS1_24adjacent_difference_implIS3_Lb1ELb0EPdS7_N6thrust23THRUST_200600_302600_NS5minusIdEEEE10hipError_tPvRmT2_T3_mT4_P12ihipStream_tbEUlT_E_NS1_11comp_targetILNS1_3genE10ELNS1_11target_archE1201ELNS1_3gpuE5ELNS1_3repE0EEENS1_30default_config_static_selectorELNS0_4arch9wavefront6targetE1EEEvT1_
		.amdhsa_group_segment_fixed_size 0
		.amdhsa_private_segment_fixed_size 0
		.amdhsa_kernarg_size 56
		.amdhsa_user_sgpr_count 2
		.amdhsa_user_sgpr_dispatch_ptr 0
		.amdhsa_user_sgpr_queue_ptr 0
		.amdhsa_user_sgpr_kernarg_segment_ptr 1
		.amdhsa_user_sgpr_dispatch_id 0
		.amdhsa_user_sgpr_kernarg_preload_length 0
		.amdhsa_user_sgpr_kernarg_preload_offset 0
		.amdhsa_user_sgpr_private_segment_size 0
		.amdhsa_uses_dynamic_stack 0
		.amdhsa_enable_private_segment 0
		.amdhsa_system_sgpr_workgroup_id_x 1
		.amdhsa_system_sgpr_workgroup_id_y 0
		.amdhsa_system_sgpr_workgroup_id_z 0
		.amdhsa_system_sgpr_workgroup_info 0
		.amdhsa_system_vgpr_workitem_id 0
		.amdhsa_next_free_vgpr 1
		.amdhsa_next_free_sgpr 0
		.amdhsa_accum_offset 4
		.amdhsa_reserve_vcc 0
		.amdhsa_float_round_mode_32 0
		.amdhsa_float_round_mode_16_64 0
		.amdhsa_float_denorm_mode_32 3
		.amdhsa_float_denorm_mode_16_64 3
		.amdhsa_dx10_clamp 1
		.amdhsa_ieee_mode 1
		.amdhsa_fp16_overflow 0
		.amdhsa_tg_split 0
		.amdhsa_exception_fp_ieee_invalid_op 0
		.amdhsa_exception_fp_denorm_src 0
		.amdhsa_exception_fp_ieee_div_zero 0
		.amdhsa_exception_fp_ieee_overflow 0
		.amdhsa_exception_fp_ieee_underflow 0
		.amdhsa_exception_fp_ieee_inexact 0
		.amdhsa_exception_int_div_zero 0
	.end_amdhsa_kernel
	.section	.text._ZN7rocprim17ROCPRIM_400000_NS6detail17trampoline_kernelINS0_14default_configENS1_35adjacent_difference_config_selectorILb1EdEEZNS1_24adjacent_difference_implIS3_Lb1ELb0EPdS7_N6thrust23THRUST_200600_302600_NS5minusIdEEEE10hipError_tPvRmT2_T3_mT4_P12ihipStream_tbEUlT_E_NS1_11comp_targetILNS1_3genE10ELNS1_11target_archE1201ELNS1_3gpuE5ELNS1_3repE0EEENS1_30default_config_static_selectorELNS0_4arch9wavefront6targetE1EEEvT1_,"axG",@progbits,_ZN7rocprim17ROCPRIM_400000_NS6detail17trampoline_kernelINS0_14default_configENS1_35adjacent_difference_config_selectorILb1EdEEZNS1_24adjacent_difference_implIS3_Lb1ELb0EPdS7_N6thrust23THRUST_200600_302600_NS5minusIdEEEE10hipError_tPvRmT2_T3_mT4_P12ihipStream_tbEUlT_E_NS1_11comp_targetILNS1_3genE10ELNS1_11target_archE1201ELNS1_3gpuE5ELNS1_3repE0EEENS1_30default_config_static_selectorELNS0_4arch9wavefront6targetE1EEEvT1_,comdat
.Lfunc_end434:
	.size	_ZN7rocprim17ROCPRIM_400000_NS6detail17trampoline_kernelINS0_14default_configENS1_35adjacent_difference_config_selectorILb1EdEEZNS1_24adjacent_difference_implIS3_Lb1ELb0EPdS7_N6thrust23THRUST_200600_302600_NS5minusIdEEEE10hipError_tPvRmT2_T3_mT4_P12ihipStream_tbEUlT_E_NS1_11comp_targetILNS1_3genE10ELNS1_11target_archE1201ELNS1_3gpuE5ELNS1_3repE0EEENS1_30default_config_static_selectorELNS0_4arch9wavefront6targetE1EEEvT1_, .Lfunc_end434-_ZN7rocprim17ROCPRIM_400000_NS6detail17trampoline_kernelINS0_14default_configENS1_35adjacent_difference_config_selectorILb1EdEEZNS1_24adjacent_difference_implIS3_Lb1ELb0EPdS7_N6thrust23THRUST_200600_302600_NS5minusIdEEEE10hipError_tPvRmT2_T3_mT4_P12ihipStream_tbEUlT_E_NS1_11comp_targetILNS1_3genE10ELNS1_11target_archE1201ELNS1_3gpuE5ELNS1_3repE0EEENS1_30default_config_static_selectorELNS0_4arch9wavefront6targetE1EEEvT1_
                                        ; -- End function
	.section	.AMDGPU.csdata,"",@progbits
; Kernel info:
; codeLenInByte = 0
; NumSgprs: 6
; NumVgprs: 0
; NumAgprs: 0
; TotalNumVgprs: 0
; ScratchSize: 0
; MemoryBound: 0
; FloatMode: 240
; IeeeMode: 1
; LDSByteSize: 0 bytes/workgroup (compile time only)
; SGPRBlocks: 0
; VGPRBlocks: 0
; NumSGPRsForWavesPerEU: 6
; NumVGPRsForWavesPerEU: 1
; AccumOffset: 4
; Occupancy: 8
; WaveLimiterHint : 0
; COMPUTE_PGM_RSRC2:SCRATCH_EN: 0
; COMPUTE_PGM_RSRC2:USER_SGPR: 2
; COMPUTE_PGM_RSRC2:TRAP_HANDLER: 0
; COMPUTE_PGM_RSRC2:TGID_X_EN: 1
; COMPUTE_PGM_RSRC2:TGID_Y_EN: 0
; COMPUTE_PGM_RSRC2:TGID_Z_EN: 0
; COMPUTE_PGM_RSRC2:TIDIG_COMP_CNT: 0
; COMPUTE_PGM_RSRC3_GFX90A:ACCUM_OFFSET: 0
; COMPUTE_PGM_RSRC3_GFX90A:TG_SPLIT: 0
	.section	.text._ZN7rocprim17ROCPRIM_400000_NS6detail17trampoline_kernelINS0_14default_configENS1_35adjacent_difference_config_selectorILb1EdEEZNS1_24adjacent_difference_implIS3_Lb1ELb0EPdS7_N6thrust23THRUST_200600_302600_NS5minusIdEEEE10hipError_tPvRmT2_T3_mT4_P12ihipStream_tbEUlT_E_NS1_11comp_targetILNS1_3genE5ELNS1_11target_archE942ELNS1_3gpuE9ELNS1_3repE0EEENS1_30default_config_static_selectorELNS0_4arch9wavefront6targetE1EEEvT1_,"axG",@progbits,_ZN7rocprim17ROCPRIM_400000_NS6detail17trampoline_kernelINS0_14default_configENS1_35adjacent_difference_config_selectorILb1EdEEZNS1_24adjacent_difference_implIS3_Lb1ELb0EPdS7_N6thrust23THRUST_200600_302600_NS5minusIdEEEE10hipError_tPvRmT2_T3_mT4_P12ihipStream_tbEUlT_E_NS1_11comp_targetILNS1_3genE5ELNS1_11target_archE942ELNS1_3gpuE9ELNS1_3repE0EEENS1_30default_config_static_selectorELNS0_4arch9wavefront6targetE1EEEvT1_,comdat
	.protected	_ZN7rocprim17ROCPRIM_400000_NS6detail17trampoline_kernelINS0_14default_configENS1_35adjacent_difference_config_selectorILb1EdEEZNS1_24adjacent_difference_implIS3_Lb1ELb0EPdS7_N6thrust23THRUST_200600_302600_NS5minusIdEEEE10hipError_tPvRmT2_T3_mT4_P12ihipStream_tbEUlT_E_NS1_11comp_targetILNS1_3genE5ELNS1_11target_archE942ELNS1_3gpuE9ELNS1_3repE0EEENS1_30default_config_static_selectorELNS0_4arch9wavefront6targetE1EEEvT1_ ; -- Begin function _ZN7rocprim17ROCPRIM_400000_NS6detail17trampoline_kernelINS0_14default_configENS1_35adjacent_difference_config_selectorILb1EdEEZNS1_24adjacent_difference_implIS3_Lb1ELb0EPdS7_N6thrust23THRUST_200600_302600_NS5minusIdEEEE10hipError_tPvRmT2_T3_mT4_P12ihipStream_tbEUlT_E_NS1_11comp_targetILNS1_3genE5ELNS1_11target_archE942ELNS1_3gpuE9ELNS1_3repE0EEENS1_30default_config_static_selectorELNS0_4arch9wavefront6targetE1EEEvT1_
	.globl	_ZN7rocprim17ROCPRIM_400000_NS6detail17trampoline_kernelINS0_14default_configENS1_35adjacent_difference_config_selectorILb1EdEEZNS1_24adjacent_difference_implIS3_Lb1ELb0EPdS7_N6thrust23THRUST_200600_302600_NS5minusIdEEEE10hipError_tPvRmT2_T3_mT4_P12ihipStream_tbEUlT_E_NS1_11comp_targetILNS1_3genE5ELNS1_11target_archE942ELNS1_3gpuE9ELNS1_3repE0EEENS1_30default_config_static_selectorELNS0_4arch9wavefront6targetE1EEEvT1_
	.p2align	8
	.type	_ZN7rocprim17ROCPRIM_400000_NS6detail17trampoline_kernelINS0_14default_configENS1_35adjacent_difference_config_selectorILb1EdEEZNS1_24adjacent_difference_implIS3_Lb1ELb0EPdS7_N6thrust23THRUST_200600_302600_NS5minusIdEEEE10hipError_tPvRmT2_T3_mT4_P12ihipStream_tbEUlT_E_NS1_11comp_targetILNS1_3genE5ELNS1_11target_archE942ELNS1_3gpuE9ELNS1_3repE0EEENS1_30default_config_static_selectorELNS0_4arch9wavefront6targetE1EEEvT1_,@function
_ZN7rocprim17ROCPRIM_400000_NS6detail17trampoline_kernelINS0_14default_configENS1_35adjacent_difference_config_selectorILb1EdEEZNS1_24adjacent_difference_implIS3_Lb1ELb0EPdS7_N6thrust23THRUST_200600_302600_NS5minusIdEEEE10hipError_tPvRmT2_T3_mT4_P12ihipStream_tbEUlT_E_NS1_11comp_targetILNS1_3genE5ELNS1_11target_archE942ELNS1_3gpuE9ELNS1_3repE0EEENS1_30default_config_static_selectorELNS0_4arch9wavefront6targetE1EEEvT1_: ; @_ZN7rocprim17ROCPRIM_400000_NS6detail17trampoline_kernelINS0_14default_configENS1_35adjacent_difference_config_selectorILb1EdEEZNS1_24adjacent_difference_implIS3_Lb1ELb0EPdS7_N6thrust23THRUST_200600_302600_NS5minusIdEEEE10hipError_tPvRmT2_T3_mT4_P12ihipStream_tbEUlT_E_NS1_11comp_targetILNS1_3genE5ELNS1_11target_archE942ELNS1_3gpuE9ELNS1_3repE0EEENS1_30default_config_static_selectorELNS0_4arch9wavefront6targetE1EEEvT1_
; %bb.0:
	s_load_dwordx8 s[4:11], s[0:1], 0x0
	s_load_dwordx4 s[12:15], s[0:1], 0x28
	s_mov_b32 s21, 0
	s_mov_b64 s[22:23], -1
	s_waitcnt lgkmcnt(0)
	s_lshl_b64 s[6:7], s[6:7], 3
	s_add_u32 s26, s4, s6
	s_addc_u32 s27, s5, s7
	s_lshl_b32 s4, s2, 8
	s_lshr_b64 s[0:1], s[10:11], 8
	s_and_b32 s20, s10, 0xff
	s_cmp_lg_u64 s[20:21], 0
	s_cselect_b64 s[16:17], -1, 0
	v_cndmask_b32_e64 v1, 0, 1, s[16:17]
	s_mov_b32 s20, s2
	v_readfirstlane_b32 s3, v1
	s_add_u32 s18, s0, s3
	s_addc_u32 s19, s1, 0
	s_add_u32 s2, s14, s2
	s_addc_u32 s3, s15, 0
	s_add_u32 s16, s18, -1
	s_addc_u32 s17, s19, -1
	v_mov_b64_e32 v[2:3], s[16:17]
	v_cmp_ge_u64_e64 s[0:1], s[2:3], v[2:3]
	s_and_b64 vcc, exec, s[0:1]
	s_cbranch_vccz .LBB435_6
; %bb.1:
	s_lshl_b32 s5, s16, 8
	s_sub_i32 s11, s10, s5
	s_mov_b32 s5, s21
	s_lshl_b64 s[22:23], s[4:5], 3
	s_add_u32 s22, s26, s22
	s_addc_u32 s23, s27, s23
	v_cmp_gt_u32_e32 vcc, s11, v0
                                        ; implicit-def: $vgpr2_vgpr3_vgpr4_vgpr5
	s_and_saveexec_b64 s[24:25], vcc
	s_cbranch_execz .LBB435_3
; %bb.2:
	v_lshlrev_b32_e32 v1, 3, v0
	global_load_dwordx2 v[2:3], v1, s[22:23]
.LBB435_3:
	s_or_b64 exec, exec, s[24:25]
	v_or_b32_e32 v1, 0x80, v0
	v_cmp_gt_u32_e32 vcc, s11, v1
	s_and_saveexec_b64 s[24:25], vcc
	s_cbranch_execz .LBB435_5
; %bb.4:
	v_lshlrev_b32_e32 v4, 3, v0
	global_load_dwordx2 v[4:5], v4, s[22:23] offset:1024
.LBB435_5:
	s_or_b64 exec, exec, s[24:25]
	v_lshrrev_b32_e32 v6, 2, v0
	v_lshrrev_b32_e32 v1, 2, v1
	v_and_b32_e32 v6, 24, v6
	v_lshlrev_b32_e32 v7, 3, v0
	v_and_b32_e32 v1, 56, v1
	v_add_u32_e32 v6, v6, v7
	v_add_u32_e32 v1, v1, v7
	s_mov_b64 s[22:23], 0
	s_waitcnt vmcnt(0)
	ds_write_b64 v6, v[2:3]
	ds_write_b64 v1, v[4:5] offset:1024
	s_waitcnt lgkmcnt(0)
	s_barrier
.LBB435_6:
	s_and_b64 vcc, exec, s[22:23]
	v_lshlrev_b32_e32 v10, 3, v0
	s_cbranch_vccz .LBB435_8
; %bb.7:
	s_mov_b32 s5, 0
	s_lshl_b64 s[22:23], s[4:5], 3
	s_add_u32 s22, s26, s22
	s_addc_u32 s23, s27, s23
	global_load_dwordx2 v[2:3], v10, s[22:23]
	global_load_dwordx2 v[4:5], v10, s[22:23] offset:1024
	v_lshrrev_b32_e32 v1, 2, v0
	v_or_b32_e32 v6, 0x80, v0
	v_and_b32_e32 v1, 24, v1
	v_lshrrev_b32_e32 v6, 2, v6
	v_add_u32_e32 v1, v1, v10
	v_and_b32_e32 v6, 56, v6
	v_add_u32_e32 v6, v6, v10
	s_waitcnt vmcnt(1)
	ds_write_b64 v1, v[2:3]
	s_waitcnt vmcnt(0)
	ds_write_b64 v6, v[4:5] offset:1024
	s_waitcnt lgkmcnt(0)
	s_barrier
.LBB435_8:
	v_lshlrev_b32_e32 v1, 1, v0
	v_lshrrev_b32_e32 v2, 4, v0
	v_add_lshl_u32 v1, v2, v1, 3
	ds_read2_b64 v[2:5], v1 offset1:1
	s_cmp_eq_u64 s[2:3], 0
	s_waitcnt lgkmcnt(0)
	s_barrier
	s_cbranch_scc1 .LBB435_13
; %bb.9:
	s_lshl_b64 s[14:15], s[14:15], 3
	s_add_u32 s5, s12, s14
	s_addc_u32 s11, s13, s15
	s_lshl_b64 s[12:13], s[20:21], 3
	s_add_u32 s5, s5, s12
	s_addc_u32 s11, s11, s13
	s_add_u32 s12, s5, -8
	s_addc_u32 s13, s11, -1
	s_load_dwordx2 s[12:13], s[12:13], 0x0
	s_cmp_eq_u64 s[2:3], s[16:17]
	s_cbranch_scc1 .LBB435_14
; %bb.10:
	v_cmp_ne_u32_e32 vcc, 0, v0
	s_waitcnt lgkmcnt(0)
	v_mov_b64_e32 v[6:7], s[12:13]
	ds_write_b64 v10, v[4:5]
	s_waitcnt lgkmcnt(0)
	s_barrier
	s_and_saveexec_b64 s[14:15], vcc
	s_cbranch_execz .LBB435_12
; %bb.11:
	v_add_u32_e32 v1, -8, v10
	ds_read_b64 v[6:7], v1
.LBB435_12:
	s_or_b64 exec, exec, s[14:15]
	v_add_f64 v[12:13], v[4:5], -v[2:3]
	s_waitcnt lgkmcnt(0)
	v_add_f64 v[6:7], v[2:3], -v[6:7]
	s_branch .LBB435_18
.LBB435_13:
                                        ; implicit-def: $vgpr12_vgpr13
                                        ; implicit-def: $vgpr6_vgpr7_vgpr8_vgpr9
	s_branch .LBB435_19
.LBB435_14:
                                        ; implicit-def: $vgpr12_vgpr13
                                        ; implicit-def: $vgpr6_vgpr7_vgpr8_vgpr9
	s_cbranch_execz .LBB435_18
; %bb.15:
	v_cmp_ne_u32_e32 vcc, 0, v0
	s_waitcnt lgkmcnt(0)
	v_mov_b64_e32 v[6:7], s[12:13]
	ds_write_b64 v10, v[4:5]
	s_waitcnt lgkmcnt(0)
	s_barrier
	s_and_saveexec_b64 s[12:13], vcc
	s_cbranch_execz .LBB435_17
; %bb.16:
	v_add_u32_e32 v1, -8, v10
	ds_read_b64 v[6:7], v1
.LBB435_17:
	s_or_b64 exec, exec, s[12:13]
	s_lshl_b32 s2, s2, 8
	v_lshlrev_b32_e32 v1, 1, v0
	s_sub_i32 s2, s10, s2
	v_or_b32_e32 v11, 1, v1
	v_add_f64 v[8:9], v[4:5], -v[2:3]
	v_cmp_gt_u32_e32 vcc, s2, v11
	s_waitcnt lgkmcnt(0)
	v_add_f64 v[6:7], v[2:3], -v[6:7]
	v_cndmask_b32_e32 v13, v5, v9, vcc
	v_cndmask_b32_e32 v12, v4, v8, vcc
	v_cmp_gt_u32_e32 vcc, s2, v1
	s_nop 1
	v_cndmask_b32_e32 v7, v3, v7, vcc
	v_cndmask_b32_e32 v6, v2, v6, vcc
.LBB435_18:
	s_cbranch_execnz .LBB435_27
.LBB435_19:
	s_cmp_eq_u64 s[18:19], 1
	v_add_f64 v[12:13], v[4:5], -v[2:3]
	v_cmp_ne_u32_e32 vcc, 0, v0
	s_cbranch_scc1 .LBB435_23
; %bb.20:
	v_mov_b64_e32 v[6:7], v[2:3]
	ds_write_b64 v10, v[4:5]
	s_waitcnt lgkmcnt(0)
	s_barrier
	s_and_saveexec_b64 s[2:3], vcc
	s_cbranch_execz .LBB435_22
; %bb.21:
	v_add_u32_e32 v1, -8, v10
	ds_read_b64 v[6:7], v1
	s_waitcnt lgkmcnt(0)
	v_add_f64 v[6:7], v[2:3], -v[6:7]
.LBB435_22:
	s_or_b64 exec, exec, s[2:3]
	s_cbranch_execz .LBB435_24
	s_branch .LBB435_27
.LBB435_23:
                                        ; implicit-def: $vgpr6_vgpr7_vgpr8_vgpr9
.LBB435_24:
	v_lshlrev_b32_e32 v1, 1, v0
	v_or_b32_e32 v6, 1, v1
	v_cmp_gt_u32_e32 vcc, s10, v6
	v_cmp_gt_u32_e64 s[2:3], s10, v1
	ds_write_b64 v10, v[4:5]
	v_cndmask_b32_e32 v13, v5, v13, vcc
	v_cndmask_b32_e32 v12, v4, v12, vcc
	v_cmp_ne_u32_e32 vcc, 0, v0
	s_waitcnt lgkmcnt(0)
	s_and_b64 s[12:13], vcc, s[2:3]
	s_barrier
	s_and_saveexec_b64 s[2:3], s[12:13]
	s_cbranch_execz .LBB435_26
; %bb.25:
	v_add_u32_e32 v1, -8, v10
	ds_read_b64 v[4:5], v1
	s_waitcnt lgkmcnt(0)
	v_add_f64 v[2:3], v[2:3], -v[4:5]
.LBB435_26:
	s_or_b64 exec, exec, s[2:3]
	v_mov_b64_e32 v[6:7], v[2:3]
.LBB435_27:
	s_add_u32 s6, s8, s6
	s_addc_u32 s7, s9, s7
	s_and_b64 vcc, exec, s[0:1]
	v_lshrrev_b32_e32 v1, 1, v0
	s_waitcnt lgkmcnt(0)
	s_barrier
	s_cbranch_vccz .LBB435_31
; %bb.28:
	v_and_b32_e32 v2, 56, v1
	v_lshl_add_u32 v2, v0, 4, v2
	v_or_b32_e32 v8, 0x80, v0
	ds_write2_b64 v2, v[6:7], v[12:13] offset1:1
	v_lshrrev_b32_e32 v2, 5, v8
	v_add_lshl_u32 v2, v2, v0, 3
	s_lshl_b32 s0, s16, 8
	s_mov_b32 s5, 0
	s_waitcnt lgkmcnt(0)
	s_barrier
	ds_read_b64 v[2:3], v2 offset:1024
	s_sub_i32 s2, s10, s0
	s_lshl_b64 s[0:1], s[4:5], 3
	s_add_u32 s0, s6, s0
	s_addc_u32 s1, s7, s1
	v_mov_b32_e32 v11, 0
	v_lshl_add_u64 v[4:5], s[0:1], 0, v[10:11]
	v_cmp_gt_u32_e32 vcc, s2, v0
	s_and_saveexec_b64 s[0:1], vcc
	s_cbranch_execz .LBB435_30
; %bb.29:
	v_lshrrev_b32_e32 v9, 5, v0
	v_add_lshl_u32 v9, v9, v0, 3
	ds_read_b64 v[14:15], v9
	s_waitcnt lgkmcnt(0)
	global_store_dwordx2 v[4:5], v[14:15], off
.LBB435_30:
	s_or_b64 exec, exec, s[0:1]
	v_cmp_gt_u32_e64 s[0:1], s2, v8
	s_branch .LBB435_33
.LBB435_31:
	s_mov_b64 s[0:1], 0
                                        ; implicit-def: $vgpr2_vgpr3
                                        ; implicit-def: $vgpr4_vgpr5
	s_cbranch_execz .LBB435_33
; %bb.32:
	v_and_b32_e32 v1, 56, v1
	v_lshl_add_u32 v1, v0, 4, v1
	s_waitcnt lgkmcnt(0)
	v_or_b32_e32 v2, 0x80, v0
	ds_write2_b64 v1, v[6:7], v[12:13] offset1:1
	v_lshrrev_b32_e32 v1, 5, v0
	v_lshrrev_b32_e32 v2, 5, v2
	v_add_lshl_u32 v1, v1, v0, 3
	v_add_lshl_u32 v0, v2, v0, 3
	s_mov_b32 s5, 0
	s_waitcnt lgkmcnt(0)
	s_barrier
	ds_read_b64 v[6:7], v1
	ds_read_b64 v[2:3], v0 offset:1024
	s_lshl_b64 s[2:3], s[4:5], 3
	s_add_u32 s2, s6, s2
	s_addc_u32 s3, s7, s3
	v_mov_b32_e32 v11, 0
	v_lshl_add_u64 v[4:5], s[2:3], 0, v[10:11]
	s_or_b64 s[0:1], s[0:1], exec
	s_waitcnt lgkmcnt(1)
	global_store_dwordx2 v10, v[6:7], s[2:3]
.LBB435_33:
	s_and_saveexec_b64 s[2:3], s[0:1]
	s_cbranch_execnz .LBB435_35
; %bb.34:
	s_endpgm
.LBB435_35:
	s_waitcnt lgkmcnt(0)
	global_store_dwordx2 v[4:5], v[2:3], off offset:1024
	s_endpgm
	.section	.rodata,"a",@progbits
	.p2align	6, 0x0
	.amdhsa_kernel _ZN7rocprim17ROCPRIM_400000_NS6detail17trampoline_kernelINS0_14default_configENS1_35adjacent_difference_config_selectorILb1EdEEZNS1_24adjacent_difference_implIS3_Lb1ELb0EPdS7_N6thrust23THRUST_200600_302600_NS5minusIdEEEE10hipError_tPvRmT2_T3_mT4_P12ihipStream_tbEUlT_E_NS1_11comp_targetILNS1_3genE5ELNS1_11target_archE942ELNS1_3gpuE9ELNS1_3repE0EEENS1_30default_config_static_selectorELNS0_4arch9wavefront6targetE1EEEvT1_
		.amdhsa_group_segment_fixed_size 2112
		.amdhsa_private_segment_fixed_size 0
		.amdhsa_kernarg_size 56
		.amdhsa_user_sgpr_count 2
		.amdhsa_user_sgpr_dispatch_ptr 0
		.amdhsa_user_sgpr_queue_ptr 0
		.amdhsa_user_sgpr_kernarg_segment_ptr 1
		.amdhsa_user_sgpr_dispatch_id 0
		.amdhsa_user_sgpr_kernarg_preload_length 0
		.amdhsa_user_sgpr_kernarg_preload_offset 0
		.amdhsa_user_sgpr_private_segment_size 0
		.amdhsa_uses_dynamic_stack 0
		.amdhsa_enable_private_segment 0
		.amdhsa_system_sgpr_workgroup_id_x 1
		.amdhsa_system_sgpr_workgroup_id_y 0
		.amdhsa_system_sgpr_workgroup_id_z 0
		.amdhsa_system_sgpr_workgroup_info 0
		.amdhsa_system_vgpr_workitem_id 0
		.amdhsa_next_free_vgpr 16
		.amdhsa_next_free_sgpr 28
		.amdhsa_accum_offset 16
		.amdhsa_reserve_vcc 1
		.amdhsa_float_round_mode_32 0
		.amdhsa_float_round_mode_16_64 0
		.amdhsa_float_denorm_mode_32 3
		.amdhsa_float_denorm_mode_16_64 3
		.amdhsa_dx10_clamp 1
		.amdhsa_ieee_mode 1
		.amdhsa_fp16_overflow 0
		.amdhsa_tg_split 0
		.amdhsa_exception_fp_ieee_invalid_op 0
		.amdhsa_exception_fp_denorm_src 0
		.amdhsa_exception_fp_ieee_div_zero 0
		.amdhsa_exception_fp_ieee_overflow 0
		.amdhsa_exception_fp_ieee_underflow 0
		.amdhsa_exception_fp_ieee_inexact 0
		.amdhsa_exception_int_div_zero 0
	.end_amdhsa_kernel
	.section	.text._ZN7rocprim17ROCPRIM_400000_NS6detail17trampoline_kernelINS0_14default_configENS1_35adjacent_difference_config_selectorILb1EdEEZNS1_24adjacent_difference_implIS3_Lb1ELb0EPdS7_N6thrust23THRUST_200600_302600_NS5minusIdEEEE10hipError_tPvRmT2_T3_mT4_P12ihipStream_tbEUlT_E_NS1_11comp_targetILNS1_3genE5ELNS1_11target_archE942ELNS1_3gpuE9ELNS1_3repE0EEENS1_30default_config_static_selectorELNS0_4arch9wavefront6targetE1EEEvT1_,"axG",@progbits,_ZN7rocprim17ROCPRIM_400000_NS6detail17trampoline_kernelINS0_14default_configENS1_35adjacent_difference_config_selectorILb1EdEEZNS1_24adjacent_difference_implIS3_Lb1ELb0EPdS7_N6thrust23THRUST_200600_302600_NS5minusIdEEEE10hipError_tPvRmT2_T3_mT4_P12ihipStream_tbEUlT_E_NS1_11comp_targetILNS1_3genE5ELNS1_11target_archE942ELNS1_3gpuE9ELNS1_3repE0EEENS1_30default_config_static_selectorELNS0_4arch9wavefront6targetE1EEEvT1_,comdat
.Lfunc_end435:
	.size	_ZN7rocprim17ROCPRIM_400000_NS6detail17trampoline_kernelINS0_14default_configENS1_35adjacent_difference_config_selectorILb1EdEEZNS1_24adjacent_difference_implIS3_Lb1ELb0EPdS7_N6thrust23THRUST_200600_302600_NS5minusIdEEEE10hipError_tPvRmT2_T3_mT4_P12ihipStream_tbEUlT_E_NS1_11comp_targetILNS1_3genE5ELNS1_11target_archE942ELNS1_3gpuE9ELNS1_3repE0EEENS1_30default_config_static_selectorELNS0_4arch9wavefront6targetE1EEEvT1_, .Lfunc_end435-_ZN7rocprim17ROCPRIM_400000_NS6detail17trampoline_kernelINS0_14default_configENS1_35adjacent_difference_config_selectorILb1EdEEZNS1_24adjacent_difference_implIS3_Lb1ELb0EPdS7_N6thrust23THRUST_200600_302600_NS5minusIdEEEE10hipError_tPvRmT2_T3_mT4_P12ihipStream_tbEUlT_E_NS1_11comp_targetILNS1_3genE5ELNS1_11target_archE942ELNS1_3gpuE9ELNS1_3repE0EEENS1_30default_config_static_selectorELNS0_4arch9wavefront6targetE1EEEvT1_
                                        ; -- End function
	.section	.AMDGPU.csdata,"",@progbits
; Kernel info:
; codeLenInByte = 1188
; NumSgprs: 34
; NumVgprs: 16
; NumAgprs: 0
; TotalNumVgprs: 16
; ScratchSize: 0
; MemoryBound: 0
; FloatMode: 240
; IeeeMode: 1
; LDSByteSize: 2112 bytes/workgroup (compile time only)
; SGPRBlocks: 4
; VGPRBlocks: 1
; NumSGPRsForWavesPerEU: 34
; NumVGPRsForWavesPerEU: 16
; AccumOffset: 16
; Occupancy: 8
; WaveLimiterHint : 1
; COMPUTE_PGM_RSRC2:SCRATCH_EN: 0
; COMPUTE_PGM_RSRC2:USER_SGPR: 2
; COMPUTE_PGM_RSRC2:TRAP_HANDLER: 0
; COMPUTE_PGM_RSRC2:TGID_X_EN: 1
; COMPUTE_PGM_RSRC2:TGID_Y_EN: 0
; COMPUTE_PGM_RSRC2:TGID_Z_EN: 0
; COMPUTE_PGM_RSRC2:TIDIG_COMP_CNT: 0
; COMPUTE_PGM_RSRC3_GFX90A:ACCUM_OFFSET: 3
; COMPUTE_PGM_RSRC3_GFX90A:TG_SPLIT: 0
	.section	.text._ZN7rocprim17ROCPRIM_400000_NS6detail17trampoline_kernelINS0_14default_configENS1_35adjacent_difference_config_selectorILb1EdEEZNS1_24adjacent_difference_implIS3_Lb1ELb0EPdS7_N6thrust23THRUST_200600_302600_NS5minusIdEEEE10hipError_tPvRmT2_T3_mT4_P12ihipStream_tbEUlT_E_NS1_11comp_targetILNS1_3genE4ELNS1_11target_archE910ELNS1_3gpuE8ELNS1_3repE0EEENS1_30default_config_static_selectorELNS0_4arch9wavefront6targetE1EEEvT1_,"axG",@progbits,_ZN7rocprim17ROCPRIM_400000_NS6detail17trampoline_kernelINS0_14default_configENS1_35adjacent_difference_config_selectorILb1EdEEZNS1_24adjacent_difference_implIS3_Lb1ELb0EPdS7_N6thrust23THRUST_200600_302600_NS5minusIdEEEE10hipError_tPvRmT2_T3_mT4_P12ihipStream_tbEUlT_E_NS1_11comp_targetILNS1_3genE4ELNS1_11target_archE910ELNS1_3gpuE8ELNS1_3repE0EEENS1_30default_config_static_selectorELNS0_4arch9wavefront6targetE1EEEvT1_,comdat
	.protected	_ZN7rocprim17ROCPRIM_400000_NS6detail17trampoline_kernelINS0_14default_configENS1_35adjacent_difference_config_selectorILb1EdEEZNS1_24adjacent_difference_implIS3_Lb1ELb0EPdS7_N6thrust23THRUST_200600_302600_NS5minusIdEEEE10hipError_tPvRmT2_T3_mT4_P12ihipStream_tbEUlT_E_NS1_11comp_targetILNS1_3genE4ELNS1_11target_archE910ELNS1_3gpuE8ELNS1_3repE0EEENS1_30default_config_static_selectorELNS0_4arch9wavefront6targetE1EEEvT1_ ; -- Begin function _ZN7rocprim17ROCPRIM_400000_NS6detail17trampoline_kernelINS0_14default_configENS1_35adjacent_difference_config_selectorILb1EdEEZNS1_24adjacent_difference_implIS3_Lb1ELb0EPdS7_N6thrust23THRUST_200600_302600_NS5minusIdEEEE10hipError_tPvRmT2_T3_mT4_P12ihipStream_tbEUlT_E_NS1_11comp_targetILNS1_3genE4ELNS1_11target_archE910ELNS1_3gpuE8ELNS1_3repE0EEENS1_30default_config_static_selectorELNS0_4arch9wavefront6targetE1EEEvT1_
	.globl	_ZN7rocprim17ROCPRIM_400000_NS6detail17trampoline_kernelINS0_14default_configENS1_35adjacent_difference_config_selectorILb1EdEEZNS1_24adjacent_difference_implIS3_Lb1ELb0EPdS7_N6thrust23THRUST_200600_302600_NS5minusIdEEEE10hipError_tPvRmT2_T3_mT4_P12ihipStream_tbEUlT_E_NS1_11comp_targetILNS1_3genE4ELNS1_11target_archE910ELNS1_3gpuE8ELNS1_3repE0EEENS1_30default_config_static_selectorELNS0_4arch9wavefront6targetE1EEEvT1_
	.p2align	8
	.type	_ZN7rocprim17ROCPRIM_400000_NS6detail17trampoline_kernelINS0_14default_configENS1_35adjacent_difference_config_selectorILb1EdEEZNS1_24adjacent_difference_implIS3_Lb1ELb0EPdS7_N6thrust23THRUST_200600_302600_NS5minusIdEEEE10hipError_tPvRmT2_T3_mT4_P12ihipStream_tbEUlT_E_NS1_11comp_targetILNS1_3genE4ELNS1_11target_archE910ELNS1_3gpuE8ELNS1_3repE0EEENS1_30default_config_static_selectorELNS0_4arch9wavefront6targetE1EEEvT1_,@function
_ZN7rocprim17ROCPRIM_400000_NS6detail17trampoline_kernelINS0_14default_configENS1_35adjacent_difference_config_selectorILb1EdEEZNS1_24adjacent_difference_implIS3_Lb1ELb0EPdS7_N6thrust23THRUST_200600_302600_NS5minusIdEEEE10hipError_tPvRmT2_T3_mT4_P12ihipStream_tbEUlT_E_NS1_11comp_targetILNS1_3genE4ELNS1_11target_archE910ELNS1_3gpuE8ELNS1_3repE0EEENS1_30default_config_static_selectorELNS0_4arch9wavefront6targetE1EEEvT1_: ; @_ZN7rocprim17ROCPRIM_400000_NS6detail17trampoline_kernelINS0_14default_configENS1_35adjacent_difference_config_selectorILb1EdEEZNS1_24adjacent_difference_implIS3_Lb1ELb0EPdS7_N6thrust23THRUST_200600_302600_NS5minusIdEEEE10hipError_tPvRmT2_T3_mT4_P12ihipStream_tbEUlT_E_NS1_11comp_targetILNS1_3genE4ELNS1_11target_archE910ELNS1_3gpuE8ELNS1_3repE0EEENS1_30default_config_static_selectorELNS0_4arch9wavefront6targetE1EEEvT1_
; %bb.0:
	.section	.rodata,"a",@progbits
	.p2align	6, 0x0
	.amdhsa_kernel _ZN7rocprim17ROCPRIM_400000_NS6detail17trampoline_kernelINS0_14default_configENS1_35adjacent_difference_config_selectorILb1EdEEZNS1_24adjacent_difference_implIS3_Lb1ELb0EPdS7_N6thrust23THRUST_200600_302600_NS5minusIdEEEE10hipError_tPvRmT2_T3_mT4_P12ihipStream_tbEUlT_E_NS1_11comp_targetILNS1_3genE4ELNS1_11target_archE910ELNS1_3gpuE8ELNS1_3repE0EEENS1_30default_config_static_selectorELNS0_4arch9wavefront6targetE1EEEvT1_
		.amdhsa_group_segment_fixed_size 0
		.amdhsa_private_segment_fixed_size 0
		.amdhsa_kernarg_size 56
		.amdhsa_user_sgpr_count 2
		.amdhsa_user_sgpr_dispatch_ptr 0
		.amdhsa_user_sgpr_queue_ptr 0
		.amdhsa_user_sgpr_kernarg_segment_ptr 1
		.amdhsa_user_sgpr_dispatch_id 0
		.amdhsa_user_sgpr_kernarg_preload_length 0
		.amdhsa_user_sgpr_kernarg_preload_offset 0
		.amdhsa_user_sgpr_private_segment_size 0
		.amdhsa_uses_dynamic_stack 0
		.amdhsa_enable_private_segment 0
		.amdhsa_system_sgpr_workgroup_id_x 1
		.amdhsa_system_sgpr_workgroup_id_y 0
		.amdhsa_system_sgpr_workgroup_id_z 0
		.amdhsa_system_sgpr_workgroup_info 0
		.amdhsa_system_vgpr_workitem_id 0
		.amdhsa_next_free_vgpr 1
		.amdhsa_next_free_sgpr 0
		.amdhsa_accum_offset 4
		.amdhsa_reserve_vcc 0
		.amdhsa_float_round_mode_32 0
		.amdhsa_float_round_mode_16_64 0
		.amdhsa_float_denorm_mode_32 3
		.amdhsa_float_denorm_mode_16_64 3
		.amdhsa_dx10_clamp 1
		.amdhsa_ieee_mode 1
		.amdhsa_fp16_overflow 0
		.amdhsa_tg_split 0
		.amdhsa_exception_fp_ieee_invalid_op 0
		.amdhsa_exception_fp_denorm_src 0
		.amdhsa_exception_fp_ieee_div_zero 0
		.amdhsa_exception_fp_ieee_overflow 0
		.amdhsa_exception_fp_ieee_underflow 0
		.amdhsa_exception_fp_ieee_inexact 0
		.amdhsa_exception_int_div_zero 0
	.end_amdhsa_kernel
	.section	.text._ZN7rocprim17ROCPRIM_400000_NS6detail17trampoline_kernelINS0_14default_configENS1_35adjacent_difference_config_selectorILb1EdEEZNS1_24adjacent_difference_implIS3_Lb1ELb0EPdS7_N6thrust23THRUST_200600_302600_NS5minusIdEEEE10hipError_tPvRmT2_T3_mT4_P12ihipStream_tbEUlT_E_NS1_11comp_targetILNS1_3genE4ELNS1_11target_archE910ELNS1_3gpuE8ELNS1_3repE0EEENS1_30default_config_static_selectorELNS0_4arch9wavefront6targetE1EEEvT1_,"axG",@progbits,_ZN7rocprim17ROCPRIM_400000_NS6detail17trampoline_kernelINS0_14default_configENS1_35adjacent_difference_config_selectorILb1EdEEZNS1_24adjacent_difference_implIS3_Lb1ELb0EPdS7_N6thrust23THRUST_200600_302600_NS5minusIdEEEE10hipError_tPvRmT2_T3_mT4_P12ihipStream_tbEUlT_E_NS1_11comp_targetILNS1_3genE4ELNS1_11target_archE910ELNS1_3gpuE8ELNS1_3repE0EEENS1_30default_config_static_selectorELNS0_4arch9wavefront6targetE1EEEvT1_,comdat
.Lfunc_end436:
	.size	_ZN7rocprim17ROCPRIM_400000_NS6detail17trampoline_kernelINS0_14default_configENS1_35adjacent_difference_config_selectorILb1EdEEZNS1_24adjacent_difference_implIS3_Lb1ELb0EPdS7_N6thrust23THRUST_200600_302600_NS5minusIdEEEE10hipError_tPvRmT2_T3_mT4_P12ihipStream_tbEUlT_E_NS1_11comp_targetILNS1_3genE4ELNS1_11target_archE910ELNS1_3gpuE8ELNS1_3repE0EEENS1_30default_config_static_selectorELNS0_4arch9wavefront6targetE1EEEvT1_, .Lfunc_end436-_ZN7rocprim17ROCPRIM_400000_NS6detail17trampoline_kernelINS0_14default_configENS1_35adjacent_difference_config_selectorILb1EdEEZNS1_24adjacent_difference_implIS3_Lb1ELb0EPdS7_N6thrust23THRUST_200600_302600_NS5minusIdEEEE10hipError_tPvRmT2_T3_mT4_P12ihipStream_tbEUlT_E_NS1_11comp_targetILNS1_3genE4ELNS1_11target_archE910ELNS1_3gpuE8ELNS1_3repE0EEENS1_30default_config_static_selectorELNS0_4arch9wavefront6targetE1EEEvT1_
                                        ; -- End function
	.section	.AMDGPU.csdata,"",@progbits
; Kernel info:
; codeLenInByte = 0
; NumSgprs: 6
; NumVgprs: 0
; NumAgprs: 0
; TotalNumVgprs: 0
; ScratchSize: 0
; MemoryBound: 0
; FloatMode: 240
; IeeeMode: 1
; LDSByteSize: 0 bytes/workgroup (compile time only)
; SGPRBlocks: 0
; VGPRBlocks: 0
; NumSGPRsForWavesPerEU: 6
; NumVGPRsForWavesPerEU: 1
; AccumOffset: 4
; Occupancy: 8
; WaveLimiterHint : 0
; COMPUTE_PGM_RSRC2:SCRATCH_EN: 0
; COMPUTE_PGM_RSRC2:USER_SGPR: 2
; COMPUTE_PGM_RSRC2:TRAP_HANDLER: 0
; COMPUTE_PGM_RSRC2:TGID_X_EN: 1
; COMPUTE_PGM_RSRC2:TGID_Y_EN: 0
; COMPUTE_PGM_RSRC2:TGID_Z_EN: 0
; COMPUTE_PGM_RSRC2:TIDIG_COMP_CNT: 0
; COMPUTE_PGM_RSRC3_GFX90A:ACCUM_OFFSET: 0
; COMPUTE_PGM_RSRC3_GFX90A:TG_SPLIT: 0
	.section	.text._ZN7rocprim17ROCPRIM_400000_NS6detail17trampoline_kernelINS0_14default_configENS1_35adjacent_difference_config_selectorILb1EdEEZNS1_24adjacent_difference_implIS3_Lb1ELb0EPdS7_N6thrust23THRUST_200600_302600_NS5minusIdEEEE10hipError_tPvRmT2_T3_mT4_P12ihipStream_tbEUlT_E_NS1_11comp_targetILNS1_3genE3ELNS1_11target_archE908ELNS1_3gpuE7ELNS1_3repE0EEENS1_30default_config_static_selectorELNS0_4arch9wavefront6targetE1EEEvT1_,"axG",@progbits,_ZN7rocprim17ROCPRIM_400000_NS6detail17trampoline_kernelINS0_14default_configENS1_35adjacent_difference_config_selectorILb1EdEEZNS1_24adjacent_difference_implIS3_Lb1ELb0EPdS7_N6thrust23THRUST_200600_302600_NS5minusIdEEEE10hipError_tPvRmT2_T3_mT4_P12ihipStream_tbEUlT_E_NS1_11comp_targetILNS1_3genE3ELNS1_11target_archE908ELNS1_3gpuE7ELNS1_3repE0EEENS1_30default_config_static_selectorELNS0_4arch9wavefront6targetE1EEEvT1_,comdat
	.protected	_ZN7rocprim17ROCPRIM_400000_NS6detail17trampoline_kernelINS0_14default_configENS1_35adjacent_difference_config_selectorILb1EdEEZNS1_24adjacent_difference_implIS3_Lb1ELb0EPdS7_N6thrust23THRUST_200600_302600_NS5minusIdEEEE10hipError_tPvRmT2_T3_mT4_P12ihipStream_tbEUlT_E_NS1_11comp_targetILNS1_3genE3ELNS1_11target_archE908ELNS1_3gpuE7ELNS1_3repE0EEENS1_30default_config_static_selectorELNS0_4arch9wavefront6targetE1EEEvT1_ ; -- Begin function _ZN7rocprim17ROCPRIM_400000_NS6detail17trampoline_kernelINS0_14default_configENS1_35adjacent_difference_config_selectorILb1EdEEZNS1_24adjacent_difference_implIS3_Lb1ELb0EPdS7_N6thrust23THRUST_200600_302600_NS5minusIdEEEE10hipError_tPvRmT2_T3_mT4_P12ihipStream_tbEUlT_E_NS1_11comp_targetILNS1_3genE3ELNS1_11target_archE908ELNS1_3gpuE7ELNS1_3repE0EEENS1_30default_config_static_selectorELNS0_4arch9wavefront6targetE1EEEvT1_
	.globl	_ZN7rocprim17ROCPRIM_400000_NS6detail17trampoline_kernelINS0_14default_configENS1_35adjacent_difference_config_selectorILb1EdEEZNS1_24adjacent_difference_implIS3_Lb1ELb0EPdS7_N6thrust23THRUST_200600_302600_NS5minusIdEEEE10hipError_tPvRmT2_T3_mT4_P12ihipStream_tbEUlT_E_NS1_11comp_targetILNS1_3genE3ELNS1_11target_archE908ELNS1_3gpuE7ELNS1_3repE0EEENS1_30default_config_static_selectorELNS0_4arch9wavefront6targetE1EEEvT1_
	.p2align	8
	.type	_ZN7rocprim17ROCPRIM_400000_NS6detail17trampoline_kernelINS0_14default_configENS1_35adjacent_difference_config_selectorILb1EdEEZNS1_24adjacent_difference_implIS3_Lb1ELb0EPdS7_N6thrust23THRUST_200600_302600_NS5minusIdEEEE10hipError_tPvRmT2_T3_mT4_P12ihipStream_tbEUlT_E_NS1_11comp_targetILNS1_3genE3ELNS1_11target_archE908ELNS1_3gpuE7ELNS1_3repE0EEENS1_30default_config_static_selectorELNS0_4arch9wavefront6targetE1EEEvT1_,@function
_ZN7rocprim17ROCPRIM_400000_NS6detail17trampoline_kernelINS0_14default_configENS1_35adjacent_difference_config_selectorILb1EdEEZNS1_24adjacent_difference_implIS3_Lb1ELb0EPdS7_N6thrust23THRUST_200600_302600_NS5minusIdEEEE10hipError_tPvRmT2_T3_mT4_P12ihipStream_tbEUlT_E_NS1_11comp_targetILNS1_3genE3ELNS1_11target_archE908ELNS1_3gpuE7ELNS1_3repE0EEENS1_30default_config_static_selectorELNS0_4arch9wavefront6targetE1EEEvT1_: ; @_ZN7rocprim17ROCPRIM_400000_NS6detail17trampoline_kernelINS0_14default_configENS1_35adjacent_difference_config_selectorILb1EdEEZNS1_24adjacent_difference_implIS3_Lb1ELb0EPdS7_N6thrust23THRUST_200600_302600_NS5minusIdEEEE10hipError_tPvRmT2_T3_mT4_P12ihipStream_tbEUlT_E_NS1_11comp_targetILNS1_3genE3ELNS1_11target_archE908ELNS1_3gpuE7ELNS1_3repE0EEENS1_30default_config_static_selectorELNS0_4arch9wavefront6targetE1EEEvT1_
; %bb.0:
	.section	.rodata,"a",@progbits
	.p2align	6, 0x0
	.amdhsa_kernel _ZN7rocprim17ROCPRIM_400000_NS6detail17trampoline_kernelINS0_14default_configENS1_35adjacent_difference_config_selectorILb1EdEEZNS1_24adjacent_difference_implIS3_Lb1ELb0EPdS7_N6thrust23THRUST_200600_302600_NS5minusIdEEEE10hipError_tPvRmT2_T3_mT4_P12ihipStream_tbEUlT_E_NS1_11comp_targetILNS1_3genE3ELNS1_11target_archE908ELNS1_3gpuE7ELNS1_3repE0EEENS1_30default_config_static_selectorELNS0_4arch9wavefront6targetE1EEEvT1_
		.amdhsa_group_segment_fixed_size 0
		.amdhsa_private_segment_fixed_size 0
		.amdhsa_kernarg_size 56
		.amdhsa_user_sgpr_count 2
		.amdhsa_user_sgpr_dispatch_ptr 0
		.amdhsa_user_sgpr_queue_ptr 0
		.amdhsa_user_sgpr_kernarg_segment_ptr 1
		.amdhsa_user_sgpr_dispatch_id 0
		.amdhsa_user_sgpr_kernarg_preload_length 0
		.amdhsa_user_sgpr_kernarg_preload_offset 0
		.amdhsa_user_sgpr_private_segment_size 0
		.amdhsa_uses_dynamic_stack 0
		.amdhsa_enable_private_segment 0
		.amdhsa_system_sgpr_workgroup_id_x 1
		.amdhsa_system_sgpr_workgroup_id_y 0
		.amdhsa_system_sgpr_workgroup_id_z 0
		.amdhsa_system_sgpr_workgroup_info 0
		.amdhsa_system_vgpr_workitem_id 0
		.amdhsa_next_free_vgpr 1
		.amdhsa_next_free_sgpr 0
		.amdhsa_accum_offset 4
		.amdhsa_reserve_vcc 0
		.amdhsa_float_round_mode_32 0
		.amdhsa_float_round_mode_16_64 0
		.amdhsa_float_denorm_mode_32 3
		.amdhsa_float_denorm_mode_16_64 3
		.amdhsa_dx10_clamp 1
		.amdhsa_ieee_mode 1
		.amdhsa_fp16_overflow 0
		.amdhsa_tg_split 0
		.amdhsa_exception_fp_ieee_invalid_op 0
		.amdhsa_exception_fp_denorm_src 0
		.amdhsa_exception_fp_ieee_div_zero 0
		.amdhsa_exception_fp_ieee_overflow 0
		.amdhsa_exception_fp_ieee_underflow 0
		.amdhsa_exception_fp_ieee_inexact 0
		.amdhsa_exception_int_div_zero 0
	.end_amdhsa_kernel
	.section	.text._ZN7rocprim17ROCPRIM_400000_NS6detail17trampoline_kernelINS0_14default_configENS1_35adjacent_difference_config_selectorILb1EdEEZNS1_24adjacent_difference_implIS3_Lb1ELb0EPdS7_N6thrust23THRUST_200600_302600_NS5minusIdEEEE10hipError_tPvRmT2_T3_mT4_P12ihipStream_tbEUlT_E_NS1_11comp_targetILNS1_3genE3ELNS1_11target_archE908ELNS1_3gpuE7ELNS1_3repE0EEENS1_30default_config_static_selectorELNS0_4arch9wavefront6targetE1EEEvT1_,"axG",@progbits,_ZN7rocprim17ROCPRIM_400000_NS6detail17trampoline_kernelINS0_14default_configENS1_35adjacent_difference_config_selectorILb1EdEEZNS1_24adjacent_difference_implIS3_Lb1ELb0EPdS7_N6thrust23THRUST_200600_302600_NS5minusIdEEEE10hipError_tPvRmT2_T3_mT4_P12ihipStream_tbEUlT_E_NS1_11comp_targetILNS1_3genE3ELNS1_11target_archE908ELNS1_3gpuE7ELNS1_3repE0EEENS1_30default_config_static_selectorELNS0_4arch9wavefront6targetE1EEEvT1_,comdat
.Lfunc_end437:
	.size	_ZN7rocprim17ROCPRIM_400000_NS6detail17trampoline_kernelINS0_14default_configENS1_35adjacent_difference_config_selectorILb1EdEEZNS1_24adjacent_difference_implIS3_Lb1ELb0EPdS7_N6thrust23THRUST_200600_302600_NS5minusIdEEEE10hipError_tPvRmT2_T3_mT4_P12ihipStream_tbEUlT_E_NS1_11comp_targetILNS1_3genE3ELNS1_11target_archE908ELNS1_3gpuE7ELNS1_3repE0EEENS1_30default_config_static_selectorELNS0_4arch9wavefront6targetE1EEEvT1_, .Lfunc_end437-_ZN7rocprim17ROCPRIM_400000_NS6detail17trampoline_kernelINS0_14default_configENS1_35adjacent_difference_config_selectorILb1EdEEZNS1_24adjacent_difference_implIS3_Lb1ELb0EPdS7_N6thrust23THRUST_200600_302600_NS5minusIdEEEE10hipError_tPvRmT2_T3_mT4_P12ihipStream_tbEUlT_E_NS1_11comp_targetILNS1_3genE3ELNS1_11target_archE908ELNS1_3gpuE7ELNS1_3repE0EEENS1_30default_config_static_selectorELNS0_4arch9wavefront6targetE1EEEvT1_
                                        ; -- End function
	.section	.AMDGPU.csdata,"",@progbits
; Kernel info:
; codeLenInByte = 0
; NumSgprs: 6
; NumVgprs: 0
; NumAgprs: 0
; TotalNumVgprs: 0
; ScratchSize: 0
; MemoryBound: 0
; FloatMode: 240
; IeeeMode: 1
; LDSByteSize: 0 bytes/workgroup (compile time only)
; SGPRBlocks: 0
; VGPRBlocks: 0
; NumSGPRsForWavesPerEU: 6
; NumVGPRsForWavesPerEU: 1
; AccumOffset: 4
; Occupancy: 8
; WaveLimiterHint : 0
; COMPUTE_PGM_RSRC2:SCRATCH_EN: 0
; COMPUTE_PGM_RSRC2:USER_SGPR: 2
; COMPUTE_PGM_RSRC2:TRAP_HANDLER: 0
; COMPUTE_PGM_RSRC2:TGID_X_EN: 1
; COMPUTE_PGM_RSRC2:TGID_Y_EN: 0
; COMPUTE_PGM_RSRC2:TGID_Z_EN: 0
; COMPUTE_PGM_RSRC2:TIDIG_COMP_CNT: 0
; COMPUTE_PGM_RSRC3_GFX90A:ACCUM_OFFSET: 0
; COMPUTE_PGM_RSRC3_GFX90A:TG_SPLIT: 0
	.section	.text._ZN7rocprim17ROCPRIM_400000_NS6detail17trampoline_kernelINS0_14default_configENS1_35adjacent_difference_config_selectorILb1EdEEZNS1_24adjacent_difference_implIS3_Lb1ELb0EPdS7_N6thrust23THRUST_200600_302600_NS5minusIdEEEE10hipError_tPvRmT2_T3_mT4_P12ihipStream_tbEUlT_E_NS1_11comp_targetILNS1_3genE2ELNS1_11target_archE906ELNS1_3gpuE6ELNS1_3repE0EEENS1_30default_config_static_selectorELNS0_4arch9wavefront6targetE1EEEvT1_,"axG",@progbits,_ZN7rocprim17ROCPRIM_400000_NS6detail17trampoline_kernelINS0_14default_configENS1_35adjacent_difference_config_selectorILb1EdEEZNS1_24adjacent_difference_implIS3_Lb1ELb0EPdS7_N6thrust23THRUST_200600_302600_NS5minusIdEEEE10hipError_tPvRmT2_T3_mT4_P12ihipStream_tbEUlT_E_NS1_11comp_targetILNS1_3genE2ELNS1_11target_archE906ELNS1_3gpuE6ELNS1_3repE0EEENS1_30default_config_static_selectorELNS0_4arch9wavefront6targetE1EEEvT1_,comdat
	.protected	_ZN7rocprim17ROCPRIM_400000_NS6detail17trampoline_kernelINS0_14default_configENS1_35adjacent_difference_config_selectorILb1EdEEZNS1_24adjacent_difference_implIS3_Lb1ELb0EPdS7_N6thrust23THRUST_200600_302600_NS5minusIdEEEE10hipError_tPvRmT2_T3_mT4_P12ihipStream_tbEUlT_E_NS1_11comp_targetILNS1_3genE2ELNS1_11target_archE906ELNS1_3gpuE6ELNS1_3repE0EEENS1_30default_config_static_selectorELNS0_4arch9wavefront6targetE1EEEvT1_ ; -- Begin function _ZN7rocprim17ROCPRIM_400000_NS6detail17trampoline_kernelINS0_14default_configENS1_35adjacent_difference_config_selectorILb1EdEEZNS1_24adjacent_difference_implIS3_Lb1ELb0EPdS7_N6thrust23THRUST_200600_302600_NS5minusIdEEEE10hipError_tPvRmT2_T3_mT4_P12ihipStream_tbEUlT_E_NS1_11comp_targetILNS1_3genE2ELNS1_11target_archE906ELNS1_3gpuE6ELNS1_3repE0EEENS1_30default_config_static_selectorELNS0_4arch9wavefront6targetE1EEEvT1_
	.globl	_ZN7rocprim17ROCPRIM_400000_NS6detail17trampoline_kernelINS0_14default_configENS1_35adjacent_difference_config_selectorILb1EdEEZNS1_24adjacent_difference_implIS3_Lb1ELb0EPdS7_N6thrust23THRUST_200600_302600_NS5minusIdEEEE10hipError_tPvRmT2_T3_mT4_P12ihipStream_tbEUlT_E_NS1_11comp_targetILNS1_3genE2ELNS1_11target_archE906ELNS1_3gpuE6ELNS1_3repE0EEENS1_30default_config_static_selectorELNS0_4arch9wavefront6targetE1EEEvT1_
	.p2align	8
	.type	_ZN7rocprim17ROCPRIM_400000_NS6detail17trampoline_kernelINS0_14default_configENS1_35adjacent_difference_config_selectorILb1EdEEZNS1_24adjacent_difference_implIS3_Lb1ELb0EPdS7_N6thrust23THRUST_200600_302600_NS5minusIdEEEE10hipError_tPvRmT2_T3_mT4_P12ihipStream_tbEUlT_E_NS1_11comp_targetILNS1_3genE2ELNS1_11target_archE906ELNS1_3gpuE6ELNS1_3repE0EEENS1_30default_config_static_selectorELNS0_4arch9wavefront6targetE1EEEvT1_,@function
_ZN7rocprim17ROCPRIM_400000_NS6detail17trampoline_kernelINS0_14default_configENS1_35adjacent_difference_config_selectorILb1EdEEZNS1_24adjacent_difference_implIS3_Lb1ELb0EPdS7_N6thrust23THRUST_200600_302600_NS5minusIdEEEE10hipError_tPvRmT2_T3_mT4_P12ihipStream_tbEUlT_E_NS1_11comp_targetILNS1_3genE2ELNS1_11target_archE906ELNS1_3gpuE6ELNS1_3repE0EEENS1_30default_config_static_selectorELNS0_4arch9wavefront6targetE1EEEvT1_: ; @_ZN7rocprim17ROCPRIM_400000_NS6detail17trampoline_kernelINS0_14default_configENS1_35adjacent_difference_config_selectorILb1EdEEZNS1_24adjacent_difference_implIS3_Lb1ELb0EPdS7_N6thrust23THRUST_200600_302600_NS5minusIdEEEE10hipError_tPvRmT2_T3_mT4_P12ihipStream_tbEUlT_E_NS1_11comp_targetILNS1_3genE2ELNS1_11target_archE906ELNS1_3gpuE6ELNS1_3repE0EEENS1_30default_config_static_selectorELNS0_4arch9wavefront6targetE1EEEvT1_
; %bb.0:
	.section	.rodata,"a",@progbits
	.p2align	6, 0x0
	.amdhsa_kernel _ZN7rocprim17ROCPRIM_400000_NS6detail17trampoline_kernelINS0_14default_configENS1_35adjacent_difference_config_selectorILb1EdEEZNS1_24adjacent_difference_implIS3_Lb1ELb0EPdS7_N6thrust23THRUST_200600_302600_NS5minusIdEEEE10hipError_tPvRmT2_T3_mT4_P12ihipStream_tbEUlT_E_NS1_11comp_targetILNS1_3genE2ELNS1_11target_archE906ELNS1_3gpuE6ELNS1_3repE0EEENS1_30default_config_static_selectorELNS0_4arch9wavefront6targetE1EEEvT1_
		.amdhsa_group_segment_fixed_size 0
		.amdhsa_private_segment_fixed_size 0
		.amdhsa_kernarg_size 56
		.amdhsa_user_sgpr_count 2
		.amdhsa_user_sgpr_dispatch_ptr 0
		.amdhsa_user_sgpr_queue_ptr 0
		.amdhsa_user_sgpr_kernarg_segment_ptr 1
		.amdhsa_user_sgpr_dispatch_id 0
		.amdhsa_user_sgpr_kernarg_preload_length 0
		.amdhsa_user_sgpr_kernarg_preload_offset 0
		.amdhsa_user_sgpr_private_segment_size 0
		.amdhsa_uses_dynamic_stack 0
		.amdhsa_enable_private_segment 0
		.amdhsa_system_sgpr_workgroup_id_x 1
		.amdhsa_system_sgpr_workgroup_id_y 0
		.amdhsa_system_sgpr_workgroup_id_z 0
		.amdhsa_system_sgpr_workgroup_info 0
		.amdhsa_system_vgpr_workitem_id 0
		.amdhsa_next_free_vgpr 1
		.amdhsa_next_free_sgpr 0
		.amdhsa_accum_offset 4
		.amdhsa_reserve_vcc 0
		.amdhsa_float_round_mode_32 0
		.amdhsa_float_round_mode_16_64 0
		.amdhsa_float_denorm_mode_32 3
		.amdhsa_float_denorm_mode_16_64 3
		.amdhsa_dx10_clamp 1
		.amdhsa_ieee_mode 1
		.amdhsa_fp16_overflow 0
		.amdhsa_tg_split 0
		.amdhsa_exception_fp_ieee_invalid_op 0
		.amdhsa_exception_fp_denorm_src 0
		.amdhsa_exception_fp_ieee_div_zero 0
		.amdhsa_exception_fp_ieee_overflow 0
		.amdhsa_exception_fp_ieee_underflow 0
		.amdhsa_exception_fp_ieee_inexact 0
		.amdhsa_exception_int_div_zero 0
	.end_amdhsa_kernel
	.section	.text._ZN7rocprim17ROCPRIM_400000_NS6detail17trampoline_kernelINS0_14default_configENS1_35adjacent_difference_config_selectorILb1EdEEZNS1_24adjacent_difference_implIS3_Lb1ELb0EPdS7_N6thrust23THRUST_200600_302600_NS5minusIdEEEE10hipError_tPvRmT2_T3_mT4_P12ihipStream_tbEUlT_E_NS1_11comp_targetILNS1_3genE2ELNS1_11target_archE906ELNS1_3gpuE6ELNS1_3repE0EEENS1_30default_config_static_selectorELNS0_4arch9wavefront6targetE1EEEvT1_,"axG",@progbits,_ZN7rocprim17ROCPRIM_400000_NS6detail17trampoline_kernelINS0_14default_configENS1_35adjacent_difference_config_selectorILb1EdEEZNS1_24adjacent_difference_implIS3_Lb1ELb0EPdS7_N6thrust23THRUST_200600_302600_NS5minusIdEEEE10hipError_tPvRmT2_T3_mT4_P12ihipStream_tbEUlT_E_NS1_11comp_targetILNS1_3genE2ELNS1_11target_archE906ELNS1_3gpuE6ELNS1_3repE0EEENS1_30default_config_static_selectorELNS0_4arch9wavefront6targetE1EEEvT1_,comdat
.Lfunc_end438:
	.size	_ZN7rocprim17ROCPRIM_400000_NS6detail17trampoline_kernelINS0_14default_configENS1_35adjacent_difference_config_selectorILb1EdEEZNS1_24adjacent_difference_implIS3_Lb1ELb0EPdS7_N6thrust23THRUST_200600_302600_NS5minusIdEEEE10hipError_tPvRmT2_T3_mT4_P12ihipStream_tbEUlT_E_NS1_11comp_targetILNS1_3genE2ELNS1_11target_archE906ELNS1_3gpuE6ELNS1_3repE0EEENS1_30default_config_static_selectorELNS0_4arch9wavefront6targetE1EEEvT1_, .Lfunc_end438-_ZN7rocprim17ROCPRIM_400000_NS6detail17trampoline_kernelINS0_14default_configENS1_35adjacent_difference_config_selectorILb1EdEEZNS1_24adjacent_difference_implIS3_Lb1ELb0EPdS7_N6thrust23THRUST_200600_302600_NS5minusIdEEEE10hipError_tPvRmT2_T3_mT4_P12ihipStream_tbEUlT_E_NS1_11comp_targetILNS1_3genE2ELNS1_11target_archE906ELNS1_3gpuE6ELNS1_3repE0EEENS1_30default_config_static_selectorELNS0_4arch9wavefront6targetE1EEEvT1_
                                        ; -- End function
	.section	.AMDGPU.csdata,"",@progbits
; Kernel info:
; codeLenInByte = 0
; NumSgprs: 6
; NumVgprs: 0
; NumAgprs: 0
; TotalNumVgprs: 0
; ScratchSize: 0
; MemoryBound: 0
; FloatMode: 240
; IeeeMode: 1
; LDSByteSize: 0 bytes/workgroup (compile time only)
; SGPRBlocks: 0
; VGPRBlocks: 0
; NumSGPRsForWavesPerEU: 6
; NumVGPRsForWavesPerEU: 1
; AccumOffset: 4
; Occupancy: 8
; WaveLimiterHint : 0
; COMPUTE_PGM_RSRC2:SCRATCH_EN: 0
; COMPUTE_PGM_RSRC2:USER_SGPR: 2
; COMPUTE_PGM_RSRC2:TRAP_HANDLER: 0
; COMPUTE_PGM_RSRC2:TGID_X_EN: 1
; COMPUTE_PGM_RSRC2:TGID_Y_EN: 0
; COMPUTE_PGM_RSRC2:TGID_Z_EN: 0
; COMPUTE_PGM_RSRC2:TIDIG_COMP_CNT: 0
; COMPUTE_PGM_RSRC3_GFX90A:ACCUM_OFFSET: 0
; COMPUTE_PGM_RSRC3_GFX90A:TG_SPLIT: 0
	.section	.text._ZN7rocprim17ROCPRIM_400000_NS6detail17trampoline_kernelINS0_14default_configENS1_35adjacent_difference_config_selectorILb1EdEEZNS1_24adjacent_difference_implIS3_Lb1ELb0EPdS7_N6thrust23THRUST_200600_302600_NS5minusIdEEEE10hipError_tPvRmT2_T3_mT4_P12ihipStream_tbEUlT_E_NS1_11comp_targetILNS1_3genE9ELNS1_11target_archE1100ELNS1_3gpuE3ELNS1_3repE0EEENS1_30default_config_static_selectorELNS0_4arch9wavefront6targetE1EEEvT1_,"axG",@progbits,_ZN7rocprim17ROCPRIM_400000_NS6detail17trampoline_kernelINS0_14default_configENS1_35adjacent_difference_config_selectorILb1EdEEZNS1_24adjacent_difference_implIS3_Lb1ELb0EPdS7_N6thrust23THRUST_200600_302600_NS5minusIdEEEE10hipError_tPvRmT2_T3_mT4_P12ihipStream_tbEUlT_E_NS1_11comp_targetILNS1_3genE9ELNS1_11target_archE1100ELNS1_3gpuE3ELNS1_3repE0EEENS1_30default_config_static_selectorELNS0_4arch9wavefront6targetE1EEEvT1_,comdat
	.protected	_ZN7rocprim17ROCPRIM_400000_NS6detail17trampoline_kernelINS0_14default_configENS1_35adjacent_difference_config_selectorILb1EdEEZNS1_24adjacent_difference_implIS3_Lb1ELb0EPdS7_N6thrust23THRUST_200600_302600_NS5minusIdEEEE10hipError_tPvRmT2_T3_mT4_P12ihipStream_tbEUlT_E_NS1_11comp_targetILNS1_3genE9ELNS1_11target_archE1100ELNS1_3gpuE3ELNS1_3repE0EEENS1_30default_config_static_selectorELNS0_4arch9wavefront6targetE1EEEvT1_ ; -- Begin function _ZN7rocprim17ROCPRIM_400000_NS6detail17trampoline_kernelINS0_14default_configENS1_35adjacent_difference_config_selectorILb1EdEEZNS1_24adjacent_difference_implIS3_Lb1ELb0EPdS7_N6thrust23THRUST_200600_302600_NS5minusIdEEEE10hipError_tPvRmT2_T3_mT4_P12ihipStream_tbEUlT_E_NS1_11comp_targetILNS1_3genE9ELNS1_11target_archE1100ELNS1_3gpuE3ELNS1_3repE0EEENS1_30default_config_static_selectorELNS0_4arch9wavefront6targetE1EEEvT1_
	.globl	_ZN7rocprim17ROCPRIM_400000_NS6detail17trampoline_kernelINS0_14default_configENS1_35adjacent_difference_config_selectorILb1EdEEZNS1_24adjacent_difference_implIS3_Lb1ELb0EPdS7_N6thrust23THRUST_200600_302600_NS5minusIdEEEE10hipError_tPvRmT2_T3_mT4_P12ihipStream_tbEUlT_E_NS1_11comp_targetILNS1_3genE9ELNS1_11target_archE1100ELNS1_3gpuE3ELNS1_3repE0EEENS1_30default_config_static_selectorELNS0_4arch9wavefront6targetE1EEEvT1_
	.p2align	8
	.type	_ZN7rocprim17ROCPRIM_400000_NS6detail17trampoline_kernelINS0_14default_configENS1_35adjacent_difference_config_selectorILb1EdEEZNS1_24adjacent_difference_implIS3_Lb1ELb0EPdS7_N6thrust23THRUST_200600_302600_NS5minusIdEEEE10hipError_tPvRmT2_T3_mT4_P12ihipStream_tbEUlT_E_NS1_11comp_targetILNS1_3genE9ELNS1_11target_archE1100ELNS1_3gpuE3ELNS1_3repE0EEENS1_30default_config_static_selectorELNS0_4arch9wavefront6targetE1EEEvT1_,@function
_ZN7rocprim17ROCPRIM_400000_NS6detail17trampoline_kernelINS0_14default_configENS1_35adjacent_difference_config_selectorILb1EdEEZNS1_24adjacent_difference_implIS3_Lb1ELb0EPdS7_N6thrust23THRUST_200600_302600_NS5minusIdEEEE10hipError_tPvRmT2_T3_mT4_P12ihipStream_tbEUlT_E_NS1_11comp_targetILNS1_3genE9ELNS1_11target_archE1100ELNS1_3gpuE3ELNS1_3repE0EEENS1_30default_config_static_selectorELNS0_4arch9wavefront6targetE1EEEvT1_: ; @_ZN7rocprim17ROCPRIM_400000_NS6detail17trampoline_kernelINS0_14default_configENS1_35adjacent_difference_config_selectorILb1EdEEZNS1_24adjacent_difference_implIS3_Lb1ELb0EPdS7_N6thrust23THRUST_200600_302600_NS5minusIdEEEE10hipError_tPvRmT2_T3_mT4_P12ihipStream_tbEUlT_E_NS1_11comp_targetILNS1_3genE9ELNS1_11target_archE1100ELNS1_3gpuE3ELNS1_3repE0EEENS1_30default_config_static_selectorELNS0_4arch9wavefront6targetE1EEEvT1_
; %bb.0:
	.section	.rodata,"a",@progbits
	.p2align	6, 0x0
	.amdhsa_kernel _ZN7rocprim17ROCPRIM_400000_NS6detail17trampoline_kernelINS0_14default_configENS1_35adjacent_difference_config_selectorILb1EdEEZNS1_24adjacent_difference_implIS3_Lb1ELb0EPdS7_N6thrust23THRUST_200600_302600_NS5minusIdEEEE10hipError_tPvRmT2_T3_mT4_P12ihipStream_tbEUlT_E_NS1_11comp_targetILNS1_3genE9ELNS1_11target_archE1100ELNS1_3gpuE3ELNS1_3repE0EEENS1_30default_config_static_selectorELNS0_4arch9wavefront6targetE1EEEvT1_
		.amdhsa_group_segment_fixed_size 0
		.amdhsa_private_segment_fixed_size 0
		.amdhsa_kernarg_size 56
		.amdhsa_user_sgpr_count 2
		.amdhsa_user_sgpr_dispatch_ptr 0
		.amdhsa_user_sgpr_queue_ptr 0
		.amdhsa_user_sgpr_kernarg_segment_ptr 1
		.amdhsa_user_sgpr_dispatch_id 0
		.amdhsa_user_sgpr_kernarg_preload_length 0
		.amdhsa_user_sgpr_kernarg_preload_offset 0
		.amdhsa_user_sgpr_private_segment_size 0
		.amdhsa_uses_dynamic_stack 0
		.amdhsa_enable_private_segment 0
		.amdhsa_system_sgpr_workgroup_id_x 1
		.amdhsa_system_sgpr_workgroup_id_y 0
		.amdhsa_system_sgpr_workgroup_id_z 0
		.amdhsa_system_sgpr_workgroup_info 0
		.amdhsa_system_vgpr_workitem_id 0
		.amdhsa_next_free_vgpr 1
		.amdhsa_next_free_sgpr 0
		.amdhsa_accum_offset 4
		.amdhsa_reserve_vcc 0
		.amdhsa_float_round_mode_32 0
		.amdhsa_float_round_mode_16_64 0
		.amdhsa_float_denorm_mode_32 3
		.amdhsa_float_denorm_mode_16_64 3
		.amdhsa_dx10_clamp 1
		.amdhsa_ieee_mode 1
		.amdhsa_fp16_overflow 0
		.amdhsa_tg_split 0
		.amdhsa_exception_fp_ieee_invalid_op 0
		.amdhsa_exception_fp_denorm_src 0
		.amdhsa_exception_fp_ieee_div_zero 0
		.amdhsa_exception_fp_ieee_overflow 0
		.amdhsa_exception_fp_ieee_underflow 0
		.amdhsa_exception_fp_ieee_inexact 0
		.amdhsa_exception_int_div_zero 0
	.end_amdhsa_kernel
	.section	.text._ZN7rocprim17ROCPRIM_400000_NS6detail17trampoline_kernelINS0_14default_configENS1_35adjacent_difference_config_selectorILb1EdEEZNS1_24adjacent_difference_implIS3_Lb1ELb0EPdS7_N6thrust23THRUST_200600_302600_NS5minusIdEEEE10hipError_tPvRmT2_T3_mT4_P12ihipStream_tbEUlT_E_NS1_11comp_targetILNS1_3genE9ELNS1_11target_archE1100ELNS1_3gpuE3ELNS1_3repE0EEENS1_30default_config_static_selectorELNS0_4arch9wavefront6targetE1EEEvT1_,"axG",@progbits,_ZN7rocprim17ROCPRIM_400000_NS6detail17trampoline_kernelINS0_14default_configENS1_35adjacent_difference_config_selectorILb1EdEEZNS1_24adjacent_difference_implIS3_Lb1ELb0EPdS7_N6thrust23THRUST_200600_302600_NS5minusIdEEEE10hipError_tPvRmT2_T3_mT4_P12ihipStream_tbEUlT_E_NS1_11comp_targetILNS1_3genE9ELNS1_11target_archE1100ELNS1_3gpuE3ELNS1_3repE0EEENS1_30default_config_static_selectorELNS0_4arch9wavefront6targetE1EEEvT1_,comdat
.Lfunc_end439:
	.size	_ZN7rocprim17ROCPRIM_400000_NS6detail17trampoline_kernelINS0_14default_configENS1_35adjacent_difference_config_selectorILb1EdEEZNS1_24adjacent_difference_implIS3_Lb1ELb0EPdS7_N6thrust23THRUST_200600_302600_NS5minusIdEEEE10hipError_tPvRmT2_T3_mT4_P12ihipStream_tbEUlT_E_NS1_11comp_targetILNS1_3genE9ELNS1_11target_archE1100ELNS1_3gpuE3ELNS1_3repE0EEENS1_30default_config_static_selectorELNS0_4arch9wavefront6targetE1EEEvT1_, .Lfunc_end439-_ZN7rocprim17ROCPRIM_400000_NS6detail17trampoline_kernelINS0_14default_configENS1_35adjacent_difference_config_selectorILb1EdEEZNS1_24adjacent_difference_implIS3_Lb1ELb0EPdS7_N6thrust23THRUST_200600_302600_NS5minusIdEEEE10hipError_tPvRmT2_T3_mT4_P12ihipStream_tbEUlT_E_NS1_11comp_targetILNS1_3genE9ELNS1_11target_archE1100ELNS1_3gpuE3ELNS1_3repE0EEENS1_30default_config_static_selectorELNS0_4arch9wavefront6targetE1EEEvT1_
                                        ; -- End function
	.section	.AMDGPU.csdata,"",@progbits
; Kernel info:
; codeLenInByte = 0
; NumSgprs: 6
; NumVgprs: 0
; NumAgprs: 0
; TotalNumVgprs: 0
; ScratchSize: 0
; MemoryBound: 0
; FloatMode: 240
; IeeeMode: 1
; LDSByteSize: 0 bytes/workgroup (compile time only)
; SGPRBlocks: 0
; VGPRBlocks: 0
; NumSGPRsForWavesPerEU: 6
; NumVGPRsForWavesPerEU: 1
; AccumOffset: 4
; Occupancy: 8
; WaveLimiterHint : 0
; COMPUTE_PGM_RSRC2:SCRATCH_EN: 0
; COMPUTE_PGM_RSRC2:USER_SGPR: 2
; COMPUTE_PGM_RSRC2:TRAP_HANDLER: 0
; COMPUTE_PGM_RSRC2:TGID_X_EN: 1
; COMPUTE_PGM_RSRC2:TGID_Y_EN: 0
; COMPUTE_PGM_RSRC2:TGID_Z_EN: 0
; COMPUTE_PGM_RSRC2:TIDIG_COMP_CNT: 0
; COMPUTE_PGM_RSRC3_GFX90A:ACCUM_OFFSET: 0
; COMPUTE_PGM_RSRC3_GFX90A:TG_SPLIT: 0
	.section	.text._ZN7rocprim17ROCPRIM_400000_NS6detail17trampoline_kernelINS0_14default_configENS1_35adjacent_difference_config_selectorILb1EdEEZNS1_24adjacent_difference_implIS3_Lb1ELb0EPdS7_N6thrust23THRUST_200600_302600_NS5minusIdEEEE10hipError_tPvRmT2_T3_mT4_P12ihipStream_tbEUlT_E_NS1_11comp_targetILNS1_3genE8ELNS1_11target_archE1030ELNS1_3gpuE2ELNS1_3repE0EEENS1_30default_config_static_selectorELNS0_4arch9wavefront6targetE1EEEvT1_,"axG",@progbits,_ZN7rocprim17ROCPRIM_400000_NS6detail17trampoline_kernelINS0_14default_configENS1_35adjacent_difference_config_selectorILb1EdEEZNS1_24adjacent_difference_implIS3_Lb1ELb0EPdS7_N6thrust23THRUST_200600_302600_NS5minusIdEEEE10hipError_tPvRmT2_T3_mT4_P12ihipStream_tbEUlT_E_NS1_11comp_targetILNS1_3genE8ELNS1_11target_archE1030ELNS1_3gpuE2ELNS1_3repE0EEENS1_30default_config_static_selectorELNS0_4arch9wavefront6targetE1EEEvT1_,comdat
	.protected	_ZN7rocprim17ROCPRIM_400000_NS6detail17trampoline_kernelINS0_14default_configENS1_35adjacent_difference_config_selectorILb1EdEEZNS1_24adjacent_difference_implIS3_Lb1ELb0EPdS7_N6thrust23THRUST_200600_302600_NS5minusIdEEEE10hipError_tPvRmT2_T3_mT4_P12ihipStream_tbEUlT_E_NS1_11comp_targetILNS1_3genE8ELNS1_11target_archE1030ELNS1_3gpuE2ELNS1_3repE0EEENS1_30default_config_static_selectorELNS0_4arch9wavefront6targetE1EEEvT1_ ; -- Begin function _ZN7rocprim17ROCPRIM_400000_NS6detail17trampoline_kernelINS0_14default_configENS1_35adjacent_difference_config_selectorILb1EdEEZNS1_24adjacent_difference_implIS3_Lb1ELb0EPdS7_N6thrust23THRUST_200600_302600_NS5minusIdEEEE10hipError_tPvRmT2_T3_mT4_P12ihipStream_tbEUlT_E_NS1_11comp_targetILNS1_3genE8ELNS1_11target_archE1030ELNS1_3gpuE2ELNS1_3repE0EEENS1_30default_config_static_selectorELNS0_4arch9wavefront6targetE1EEEvT1_
	.globl	_ZN7rocprim17ROCPRIM_400000_NS6detail17trampoline_kernelINS0_14default_configENS1_35adjacent_difference_config_selectorILb1EdEEZNS1_24adjacent_difference_implIS3_Lb1ELb0EPdS7_N6thrust23THRUST_200600_302600_NS5minusIdEEEE10hipError_tPvRmT2_T3_mT4_P12ihipStream_tbEUlT_E_NS1_11comp_targetILNS1_3genE8ELNS1_11target_archE1030ELNS1_3gpuE2ELNS1_3repE0EEENS1_30default_config_static_selectorELNS0_4arch9wavefront6targetE1EEEvT1_
	.p2align	8
	.type	_ZN7rocprim17ROCPRIM_400000_NS6detail17trampoline_kernelINS0_14default_configENS1_35adjacent_difference_config_selectorILb1EdEEZNS1_24adjacent_difference_implIS3_Lb1ELb0EPdS7_N6thrust23THRUST_200600_302600_NS5minusIdEEEE10hipError_tPvRmT2_T3_mT4_P12ihipStream_tbEUlT_E_NS1_11comp_targetILNS1_3genE8ELNS1_11target_archE1030ELNS1_3gpuE2ELNS1_3repE0EEENS1_30default_config_static_selectorELNS0_4arch9wavefront6targetE1EEEvT1_,@function
_ZN7rocprim17ROCPRIM_400000_NS6detail17trampoline_kernelINS0_14default_configENS1_35adjacent_difference_config_selectorILb1EdEEZNS1_24adjacent_difference_implIS3_Lb1ELb0EPdS7_N6thrust23THRUST_200600_302600_NS5minusIdEEEE10hipError_tPvRmT2_T3_mT4_P12ihipStream_tbEUlT_E_NS1_11comp_targetILNS1_3genE8ELNS1_11target_archE1030ELNS1_3gpuE2ELNS1_3repE0EEENS1_30default_config_static_selectorELNS0_4arch9wavefront6targetE1EEEvT1_: ; @_ZN7rocprim17ROCPRIM_400000_NS6detail17trampoline_kernelINS0_14default_configENS1_35adjacent_difference_config_selectorILb1EdEEZNS1_24adjacent_difference_implIS3_Lb1ELb0EPdS7_N6thrust23THRUST_200600_302600_NS5minusIdEEEE10hipError_tPvRmT2_T3_mT4_P12ihipStream_tbEUlT_E_NS1_11comp_targetILNS1_3genE8ELNS1_11target_archE1030ELNS1_3gpuE2ELNS1_3repE0EEENS1_30default_config_static_selectorELNS0_4arch9wavefront6targetE1EEEvT1_
; %bb.0:
	.section	.rodata,"a",@progbits
	.p2align	6, 0x0
	.amdhsa_kernel _ZN7rocprim17ROCPRIM_400000_NS6detail17trampoline_kernelINS0_14default_configENS1_35adjacent_difference_config_selectorILb1EdEEZNS1_24adjacent_difference_implIS3_Lb1ELb0EPdS7_N6thrust23THRUST_200600_302600_NS5minusIdEEEE10hipError_tPvRmT2_T3_mT4_P12ihipStream_tbEUlT_E_NS1_11comp_targetILNS1_3genE8ELNS1_11target_archE1030ELNS1_3gpuE2ELNS1_3repE0EEENS1_30default_config_static_selectorELNS0_4arch9wavefront6targetE1EEEvT1_
		.amdhsa_group_segment_fixed_size 0
		.amdhsa_private_segment_fixed_size 0
		.amdhsa_kernarg_size 56
		.amdhsa_user_sgpr_count 2
		.amdhsa_user_sgpr_dispatch_ptr 0
		.amdhsa_user_sgpr_queue_ptr 0
		.amdhsa_user_sgpr_kernarg_segment_ptr 1
		.amdhsa_user_sgpr_dispatch_id 0
		.amdhsa_user_sgpr_kernarg_preload_length 0
		.amdhsa_user_sgpr_kernarg_preload_offset 0
		.amdhsa_user_sgpr_private_segment_size 0
		.amdhsa_uses_dynamic_stack 0
		.amdhsa_enable_private_segment 0
		.amdhsa_system_sgpr_workgroup_id_x 1
		.amdhsa_system_sgpr_workgroup_id_y 0
		.amdhsa_system_sgpr_workgroup_id_z 0
		.amdhsa_system_sgpr_workgroup_info 0
		.amdhsa_system_vgpr_workitem_id 0
		.amdhsa_next_free_vgpr 1
		.amdhsa_next_free_sgpr 0
		.amdhsa_accum_offset 4
		.amdhsa_reserve_vcc 0
		.amdhsa_float_round_mode_32 0
		.amdhsa_float_round_mode_16_64 0
		.amdhsa_float_denorm_mode_32 3
		.amdhsa_float_denorm_mode_16_64 3
		.amdhsa_dx10_clamp 1
		.amdhsa_ieee_mode 1
		.amdhsa_fp16_overflow 0
		.amdhsa_tg_split 0
		.amdhsa_exception_fp_ieee_invalid_op 0
		.amdhsa_exception_fp_denorm_src 0
		.amdhsa_exception_fp_ieee_div_zero 0
		.amdhsa_exception_fp_ieee_overflow 0
		.amdhsa_exception_fp_ieee_underflow 0
		.amdhsa_exception_fp_ieee_inexact 0
		.amdhsa_exception_int_div_zero 0
	.end_amdhsa_kernel
	.section	.text._ZN7rocprim17ROCPRIM_400000_NS6detail17trampoline_kernelINS0_14default_configENS1_35adjacent_difference_config_selectorILb1EdEEZNS1_24adjacent_difference_implIS3_Lb1ELb0EPdS7_N6thrust23THRUST_200600_302600_NS5minusIdEEEE10hipError_tPvRmT2_T3_mT4_P12ihipStream_tbEUlT_E_NS1_11comp_targetILNS1_3genE8ELNS1_11target_archE1030ELNS1_3gpuE2ELNS1_3repE0EEENS1_30default_config_static_selectorELNS0_4arch9wavefront6targetE1EEEvT1_,"axG",@progbits,_ZN7rocprim17ROCPRIM_400000_NS6detail17trampoline_kernelINS0_14default_configENS1_35adjacent_difference_config_selectorILb1EdEEZNS1_24adjacent_difference_implIS3_Lb1ELb0EPdS7_N6thrust23THRUST_200600_302600_NS5minusIdEEEE10hipError_tPvRmT2_T3_mT4_P12ihipStream_tbEUlT_E_NS1_11comp_targetILNS1_3genE8ELNS1_11target_archE1030ELNS1_3gpuE2ELNS1_3repE0EEENS1_30default_config_static_selectorELNS0_4arch9wavefront6targetE1EEEvT1_,comdat
.Lfunc_end440:
	.size	_ZN7rocprim17ROCPRIM_400000_NS6detail17trampoline_kernelINS0_14default_configENS1_35adjacent_difference_config_selectorILb1EdEEZNS1_24adjacent_difference_implIS3_Lb1ELb0EPdS7_N6thrust23THRUST_200600_302600_NS5minusIdEEEE10hipError_tPvRmT2_T3_mT4_P12ihipStream_tbEUlT_E_NS1_11comp_targetILNS1_3genE8ELNS1_11target_archE1030ELNS1_3gpuE2ELNS1_3repE0EEENS1_30default_config_static_selectorELNS0_4arch9wavefront6targetE1EEEvT1_, .Lfunc_end440-_ZN7rocprim17ROCPRIM_400000_NS6detail17trampoline_kernelINS0_14default_configENS1_35adjacent_difference_config_selectorILb1EdEEZNS1_24adjacent_difference_implIS3_Lb1ELb0EPdS7_N6thrust23THRUST_200600_302600_NS5minusIdEEEE10hipError_tPvRmT2_T3_mT4_P12ihipStream_tbEUlT_E_NS1_11comp_targetILNS1_3genE8ELNS1_11target_archE1030ELNS1_3gpuE2ELNS1_3repE0EEENS1_30default_config_static_selectorELNS0_4arch9wavefront6targetE1EEEvT1_
                                        ; -- End function
	.section	.AMDGPU.csdata,"",@progbits
; Kernel info:
; codeLenInByte = 0
; NumSgprs: 6
; NumVgprs: 0
; NumAgprs: 0
; TotalNumVgprs: 0
; ScratchSize: 0
; MemoryBound: 0
; FloatMode: 240
; IeeeMode: 1
; LDSByteSize: 0 bytes/workgroup (compile time only)
; SGPRBlocks: 0
; VGPRBlocks: 0
; NumSGPRsForWavesPerEU: 6
; NumVGPRsForWavesPerEU: 1
; AccumOffset: 4
; Occupancy: 8
; WaveLimiterHint : 0
; COMPUTE_PGM_RSRC2:SCRATCH_EN: 0
; COMPUTE_PGM_RSRC2:USER_SGPR: 2
; COMPUTE_PGM_RSRC2:TRAP_HANDLER: 0
; COMPUTE_PGM_RSRC2:TGID_X_EN: 1
; COMPUTE_PGM_RSRC2:TGID_Y_EN: 0
; COMPUTE_PGM_RSRC2:TGID_Z_EN: 0
; COMPUTE_PGM_RSRC2:TIDIG_COMP_CNT: 0
; COMPUTE_PGM_RSRC3_GFX90A:ACCUM_OFFSET: 0
; COMPUTE_PGM_RSRC3_GFX90A:TG_SPLIT: 0
	.section	.text._ZN7rocprim17ROCPRIM_400000_NS6detail17trampoline_kernelINS0_14default_configENS1_35adjacent_difference_config_selectorILb0EdEEZNS1_24adjacent_difference_implIS3_Lb0ELb0EPdS7_N6thrust23THRUST_200600_302600_NS4plusIdEEEE10hipError_tPvRmT2_T3_mT4_P12ihipStream_tbEUlT_E_NS1_11comp_targetILNS1_3genE0ELNS1_11target_archE4294967295ELNS1_3gpuE0ELNS1_3repE0EEENS1_30default_config_static_selectorELNS0_4arch9wavefront6targetE1EEEvT1_,"axG",@progbits,_ZN7rocprim17ROCPRIM_400000_NS6detail17trampoline_kernelINS0_14default_configENS1_35adjacent_difference_config_selectorILb0EdEEZNS1_24adjacent_difference_implIS3_Lb0ELb0EPdS7_N6thrust23THRUST_200600_302600_NS4plusIdEEEE10hipError_tPvRmT2_T3_mT4_P12ihipStream_tbEUlT_E_NS1_11comp_targetILNS1_3genE0ELNS1_11target_archE4294967295ELNS1_3gpuE0ELNS1_3repE0EEENS1_30default_config_static_selectorELNS0_4arch9wavefront6targetE1EEEvT1_,comdat
	.protected	_ZN7rocprim17ROCPRIM_400000_NS6detail17trampoline_kernelINS0_14default_configENS1_35adjacent_difference_config_selectorILb0EdEEZNS1_24adjacent_difference_implIS3_Lb0ELb0EPdS7_N6thrust23THRUST_200600_302600_NS4plusIdEEEE10hipError_tPvRmT2_T3_mT4_P12ihipStream_tbEUlT_E_NS1_11comp_targetILNS1_3genE0ELNS1_11target_archE4294967295ELNS1_3gpuE0ELNS1_3repE0EEENS1_30default_config_static_selectorELNS0_4arch9wavefront6targetE1EEEvT1_ ; -- Begin function _ZN7rocprim17ROCPRIM_400000_NS6detail17trampoline_kernelINS0_14default_configENS1_35adjacent_difference_config_selectorILb0EdEEZNS1_24adjacent_difference_implIS3_Lb0ELb0EPdS7_N6thrust23THRUST_200600_302600_NS4plusIdEEEE10hipError_tPvRmT2_T3_mT4_P12ihipStream_tbEUlT_E_NS1_11comp_targetILNS1_3genE0ELNS1_11target_archE4294967295ELNS1_3gpuE0ELNS1_3repE0EEENS1_30default_config_static_selectorELNS0_4arch9wavefront6targetE1EEEvT1_
	.globl	_ZN7rocprim17ROCPRIM_400000_NS6detail17trampoline_kernelINS0_14default_configENS1_35adjacent_difference_config_selectorILb0EdEEZNS1_24adjacent_difference_implIS3_Lb0ELb0EPdS7_N6thrust23THRUST_200600_302600_NS4plusIdEEEE10hipError_tPvRmT2_T3_mT4_P12ihipStream_tbEUlT_E_NS1_11comp_targetILNS1_3genE0ELNS1_11target_archE4294967295ELNS1_3gpuE0ELNS1_3repE0EEENS1_30default_config_static_selectorELNS0_4arch9wavefront6targetE1EEEvT1_
	.p2align	8
	.type	_ZN7rocprim17ROCPRIM_400000_NS6detail17trampoline_kernelINS0_14default_configENS1_35adjacent_difference_config_selectorILb0EdEEZNS1_24adjacent_difference_implIS3_Lb0ELb0EPdS7_N6thrust23THRUST_200600_302600_NS4plusIdEEEE10hipError_tPvRmT2_T3_mT4_P12ihipStream_tbEUlT_E_NS1_11comp_targetILNS1_3genE0ELNS1_11target_archE4294967295ELNS1_3gpuE0ELNS1_3repE0EEENS1_30default_config_static_selectorELNS0_4arch9wavefront6targetE1EEEvT1_,@function
_ZN7rocprim17ROCPRIM_400000_NS6detail17trampoline_kernelINS0_14default_configENS1_35adjacent_difference_config_selectorILb0EdEEZNS1_24adjacent_difference_implIS3_Lb0ELb0EPdS7_N6thrust23THRUST_200600_302600_NS4plusIdEEEE10hipError_tPvRmT2_T3_mT4_P12ihipStream_tbEUlT_E_NS1_11comp_targetILNS1_3genE0ELNS1_11target_archE4294967295ELNS1_3gpuE0ELNS1_3repE0EEENS1_30default_config_static_selectorELNS0_4arch9wavefront6targetE1EEEvT1_: ; @_ZN7rocprim17ROCPRIM_400000_NS6detail17trampoline_kernelINS0_14default_configENS1_35adjacent_difference_config_selectorILb0EdEEZNS1_24adjacent_difference_implIS3_Lb0ELb0EPdS7_N6thrust23THRUST_200600_302600_NS4plusIdEEEE10hipError_tPvRmT2_T3_mT4_P12ihipStream_tbEUlT_E_NS1_11comp_targetILNS1_3genE0ELNS1_11target_archE4294967295ELNS1_3gpuE0ELNS1_3repE0EEENS1_30default_config_static_selectorELNS0_4arch9wavefront6targetE1EEEvT1_
; %bb.0:
	.section	.rodata,"a",@progbits
	.p2align	6, 0x0
	.amdhsa_kernel _ZN7rocprim17ROCPRIM_400000_NS6detail17trampoline_kernelINS0_14default_configENS1_35adjacent_difference_config_selectorILb0EdEEZNS1_24adjacent_difference_implIS3_Lb0ELb0EPdS7_N6thrust23THRUST_200600_302600_NS4plusIdEEEE10hipError_tPvRmT2_T3_mT4_P12ihipStream_tbEUlT_E_NS1_11comp_targetILNS1_3genE0ELNS1_11target_archE4294967295ELNS1_3gpuE0ELNS1_3repE0EEENS1_30default_config_static_selectorELNS0_4arch9wavefront6targetE1EEEvT1_
		.amdhsa_group_segment_fixed_size 0
		.amdhsa_private_segment_fixed_size 0
		.amdhsa_kernarg_size 56
		.amdhsa_user_sgpr_count 2
		.amdhsa_user_sgpr_dispatch_ptr 0
		.amdhsa_user_sgpr_queue_ptr 0
		.amdhsa_user_sgpr_kernarg_segment_ptr 1
		.amdhsa_user_sgpr_dispatch_id 0
		.amdhsa_user_sgpr_kernarg_preload_length 0
		.amdhsa_user_sgpr_kernarg_preload_offset 0
		.amdhsa_user_sgpr_private_segment_size 0
		.amdhsa_uses_dynamic_stack 0
		.amdhsa_enable_private_segment 0
		.amdhsa_system_sgpr_workgroup_id_x 1
		.amdhsa_system_sgpr_workgroup_id_y 0
		.amdhsa_system_sgpr_workgroup_id_z 0
		.amdhsa_system_sgpr_workgroup_info 0
		.amdhsa_system_vgpr_workitem_id 0
		.amdhsa_next_free_vgpr 1
		.amdhsa_next_free_sgpr 0
		.amdhsa_accum_offset 4
		.amdhsa_reserve_vcc 0
		.amdhsa_float_round_mode_32 0
		.amdhsa_float_round_mode_16_64 0
		.amdhsa_float_denorm_mode_32 3
		.amdhsa_float_denorm_mode_16_64 3
		.amdhsa_dx10_clamp 1
		.amdhsa_ieee_mode 1
		.amdhsa_fp16_overflow 0
		.amdhsa_tg_split 0
		.amdhsa_exception_fp_ieee_invalid_op 0
		.amdhsa_exception_fp_denorm_src 0
		.amdhsa_exception_fp_ieee_div_zero 0
		.amdhsa_exception_fp_ieee_overflow 0
		.amdhsa_exception_fp_ieee_underflow 0
		.amdhsa_exception_fp_ieee_inexact 0
		.amdhsa_exception_int_div_zero 0
	.end_amdhsa_kernel
	.section	.text._ZN7rocprim17ROCPRIM_400000_NS6detail17trampoline_kernelINS0_14default_configENS1_35adjacent_difference_config_selectorILb0EdEEZNS1_24adjacent_difference_implIS3_Lb0ELb0EPdS7_N6thrust23THRUST_200600_302600_NS4plusIdEEEE10hipError_tPvRmT2_T3_mT4_P12ihipStream_tbEUlT_E_NS1_11comp_targetILNS1_3genE0ELNS1_11target_archE4294967295ELNS1_3gpuE0ELNS1_3repE0EEENS1_30default_config_static_selectorELNS0_4arch9wavefront6targetE1EEEvT1_,"axG",@progbits,_ZN7rocprim17ROCPRIM_400000_NS6detail17trampoline_kernelINS0_14default_configENS1_35adjacent_difference_config_selectorILb0EdEEZNS1_24adjacent_difference_implIS3_Lb0ELb0EPdS7_N6thrust23THRUST_200600_302600_NS4plusIdEEEE10hipError_tPvRmT2_T3_mT4_P12ihipStream_tbEUlT_E_NS1_11comp_targetILNS1_3genE0ELNS1_11target_archE4294967295ELNS1_3gpuE0ELNS1_3repE0EEENS1_30default_config_static_selectorELNS0_4arch9wavefront6targetE1EEEvT1_,comdat
.Lfunc_end441:
	.size	_ZN7rocprim17ROCPRIM_400000_NS6detail17trampoline_kernelINS0_14default_configENS1_35adjacent_difference_config_selectorILb0EdEEZNS1_24adjacent_difference_implIS3_Lb0ELb0EPdS7_N6thrust23THRUST_200600_302600_NS4plusIdEEEE10hipError_tPvRmT2_T3_mT4_P12ihipStream_tbEUlT_E_NS1_11comp_targetILNS1_3genE0ELNS1_11target_archE4294967295ELNS1_3gpuE0ELNS1_3repE0EEENS1_30default_config_static_selectorELNS0_4arch9wavefront6targetE1EEEvT1_, .Lfunc_end441-_ZN7rocprim17ROCPRIM_400000_NS6detail17trampoline_kernelINS0_14default_configENS1_35adjacent_difference_config_selectorILb0EdEEZNS1_24adjacent_difference_implIS3_Lb0ELb0EPdS7_N6thrust23THRUST_200600_302600_NS4plusIdEEEE10hipError_tPvRmT2_T3_mT4_P12ihipStream_tbEUlT_E_NS1_11comp_targetILNS1_3genE0ELNS1_11target_archE4294967295ELNS1_3gpuE0ELNS1_3repE0EEENS1_30default_config_static_selectorELNS0_4arch9wavefront6targetE1EEEvT1_
                                        ; -- End function
	.section	.AMDGPU.csdata,"",@progbits
; Kernel info:
; codeLenInByte = 0
; NumSgprs: 6
; NumVgprs: 0
; NumAgprs: 0
; TotalNumVgprs: 0
; ScratchSize: 0
; MemoryBound: 0
; FloatMode: 240
; IeeeMode: 1
; LDSByteSize: 0 bytes/workgroup (compile time only)
; SGPRBlocks: 0
; VGPRBlocks: 0
; NumSGPRsForWavesPerEU: 6
; NumVGPRsForWavesPerEU: 1
; AccumOffset: 4
; Occupancy: 8
; WaveLimiterHint : 0
; COMPUTE_PGM_RSRC2:SCRATCH_EN: 0
; COMPUTE_PGM_RSRC2:USER_SGPR: 2
; COMPUTE_PGM_RSRC2:TRAP_HANDLER: 0
; COMPUTE_PGM_RSRC2:TGID_X_EN: 1
; COMPUTE_PGM_RSRC2:TGID_Y_EN: 0
; COMPUTE_PGM_RSRC2:TGID_Z_EN: 0
; COMPUTE_PGM_RSRC2:TIDIG_COMP_CNT: 0
; COMPUTE_PGM_RSRC3_GFX90A:ACCUM_OFFSET: 0
; COMPUTE_PGM_RSRC3_GFX90A:TG_SPLIT: 0
	.section	.text._ZN7rocprim17ROCPRIM_400000_NS6detail17trampoline_kernelINS0_14default_configENS1_35adjacent_difference_config_selectorILb0EdEEZNS1_24adjacent_difference_implIS3_Lb0ELb0EPdS7_N6thrust23THRUST_200600_302600_NS4plusIdEEEE10hipError_tPvRmT2_T3_mT4_P12ihipStream_tbEUlT_E_NS1_11comp_targetILNS1_3genE10ELNS1_11target_archE1201ELNS1_3gpuE5ELNS1_3repE0EEENS1_30default_config_static_selectorELNS0_4arch9wavefront6targetE1EEEvT1_,"axG",@progbits,_ZN7rocprim17ROCPRIM_400000_NS6detail17trampoline_kernelINS0_14default_configENS1_35adjacent_difference_config_selectorILb0EdEEZNS1_24adjacent_difference_implIS3_Lb0ELb0EPdS7_N6thrust23THRUST_200600_302600_NS4plusIdEEEE10hipError_tPvRmT2_T3_mT4_P12ihipStream_tbEUlT_E_NS1_11comp_targetILNS1_3genE10ELNS1_11target_archE1201ELNS1_3gpuE5ELNS1_3repE0EEENS1_30default_config_static_selectorELNS0_4arch9wavefront6targetE1EEEvT1_,comdat
	.protected	_ZN7rocprim17ROCPRIM_400000_NS6detail17trampoline_kernelINS0_14default_configENS1_35adjacent_difference_config_selectorILb0EdEEZNS1_24adjacent_difference_implIS3_Lb0ELb0EPdS7_N6thrust23THRUST_200600_302600_NS4plusIdEEEE10hipError_tPvRmT2_T3_mT4_P12ihipStream_tbEUlT_E_NS1_11comp_targetILNS1_3genE10ELNS1_11target_archE1201ELNS1_3gpuE5ELNS1_3repE0EEENS1_30default_config_static_selectorELNS0_4arch9wavefront6targetE1EEEvT1_ ; -- Begin function _ZN7rocprim17ROCPRIM_400000_NS6detail17trampoline_kernelINS0_14default_configENS1_35adjacent_difference_config_selectorILb0EdEEZNS1_24adjacent_difference_implIS3_Lb0ELb0EPdS7_N6thrust23THRUST_200600_302600_NS4plusIdEEEE10hipError_tPvRmT2_T3_mT4_P12ihipStream_tbEUlT_E_NS1_11comp_targetILNS1_3genE10ELNS1_11target_archE1201ELNS1_3gpuE5ELNS1_3repE0EEENS1_30default_config_static_selectorELNS0_4arch9wavefront6targetE1EEEvT1_
	.globl	_ZN7rocprim17ROCPRIM_400000_NS6detail17trampoline_kernelINS0_14default_configENS1_35adjacent_difference_config_selectorILb0EdEEZNS1_24adjacent_difference_implIS3_Lb0ELb0EPdS7_N6thrust23THRUST_200600_302600_NS4plusIdEEEE10hipError_tPvRmT2_T3_mT4_P12ihipStream_tbEUlT_E_NS1_11comp_targetILNS1_3genE10ELNS1_11target_archE1201ELNS1_3gpuE5ELNS1_3repE0EEENS1_30default_config_static_selectorELNS0_4arch9wavefront6targetE1EEEvT1_
	.p2align	8
	.type	_ZN7rocprim17ROCPRIM_400000_NS6detail17trampoline_kernelINS0_14default_configENS1_35adjacent_difference_config_selectorILb0EdEEZNS1_24adjacent_difference_implIS3_Lb0ELb0EPdS7_N6thrust23THRUST_200600_302600_NS4plusIdEEEE10hipError_tPvRmT2_T3_mT4_P12ihipStream_tbEUlT_E_NS1_11comp_targetILNS1_3genE10ELNS1_11target_archE1201ELNS1_3gpuE5ELNS1_3repE0EEENS1_30default_config_static_selectorELNS0_4arch9wavefront6targetE1EEEvT1_,@function
_ZN7rocprim17ROCPRIM_400000_NS6detail17trampoline_kernelINS0_14default_configENS1_35adjacent_difference_config_selectorILb0EdEEZNS1_24adjacent_difference_implIS3_Lb0ELb0EPdS7_N6thrust23THRUST_200600_302600_NS4plusIdEEEE10hipError_tPvRmT2_T3_mT4_P12ihipStream_tbEUlT_E_NS1_11comp_targetILNS1_3genE10ELNS1_11target_archE1201ELNS1_3gpuE5ELNS1_3repE0EEENS1_30default_config_static_selectorELNS0_4arch9wavefront6targetE1EEEvT1_: ; @_ZN7rocprim17ROCPRIM_400000_NS6detail17trampoline_kernelINS0_14default_configENS1_35adjacent_difference_config_selectorILb0EdEEZNS1_24adjacent_difference_implIS3_Lb0ELb0EPdS7_N6thrust23THRUST_200600_302600_NS4plusIdEEEE10hipError_tPvRmT2_T3_mT4_P12ihipStream_tbEUlT_E_NS1_11comp_targetILNS1_3genE10ELNS1_11target_archE1201ELNS1_3gpuE5ELNS1_3repE0EEENS1_30default_config_static_selectorELNS0_4arch9wavefront6targetE1EEEvT1_
; %bb.0:
	.section	.rodata,"a",@progbits
	.p2align	6, 0x0
	.amdhsa_kernel _ZN7rocprim17ROCPRIM_400000_NS6detail17trampoline_kernelINS0_14default_configENS1_35adjacent_difference_config_selectorILb0EdEEZNS1_24adjacent_difference_implIS3_Lb0ELb0EPdS7_N6thrust23THRUST_200600_302600_NS4plusIdEEEE10hipError_tPvRmT2_T3_mT4_P12ihipStream_tbEUlT_E_NS1_11comp_targetILNS1_3genE10ELNS1_11target_archE1201ELNS1_3gpuE5ELNS1_3repE0EEENS1_30default_config_static_selectorELNS0_4arch9wavefront6targetE1EEEvT1_
		.amdhsa_group_segment_fixed_size 0
		.amdhsa_private_segment_fixed_size 0
		.amdhsa_kernarg_size 56
		.amdhsa_user_sgpr_count 2
		.amdhsa_user_sgpr_dispatch_ptr 0
		.amdhsa_user_sgpr_queue_ptr 0
		.amdhsa_user_sgpr_kernarg_segment_ptr 1
		.amdhsa_user_sgpr_dispatch_id 0
		.amdhsa_user_sgpr_kernarg_preload_length 0
		.amdhsa_user_sgpr_kernarg_preload_offset 0
		.amdhsa_user_sgpr_private_segment_size 0
		.amdhsa_uses_dynamic_stack 0
		.amdhsa_enable_private_segment 0
		.amdhsa_system_sgpr_workgroup_id_x 1
		.amdhsa_system_sgpr_workgroup_id_y 0
		.amdhsa_system_sgpr_workgroup_id_z 0
		.amdhsa_system_sgpr_workgroup_info 0
		.amdhsa_system_vgpr_workitem_id 0
		.amdhsa_next_free_vgpr 1
		.amdhsa_next_free_sgpr 0
		.amdhsa_accum_offset 4
		.amdhsa_reserve_vcc 0
		.amdhsa_float_round_mode_32 0
		.amdhsa_float_round_mode_16_64 0
		.amdhsa_float_denorm_mode_32 3
		.amdhsa_float_denorm_mode_16_64 3
		.amdhsa_dx10_clamp 1
		.amdhsa_ieee_mode 1
		.amdhsa_fp16_overflow 0
		.amdhsa_tg_split 0
		.amdhsa_exception_fp_ieee_invalid_op 0
		.amdhsa_exception_fp_denorm_src 0
		.amdhsa_exception_fp_ieee_div_zero 0
		.amdhsa_exception_fp_ieee_overflow 0
		.amdhsa_exception_fp_ieee_underflow 0
		.amdhsa_exception_fp_ieee_inexact 0
		.amdhsa_exception_int_div_zero 0
	.end_amdhsa_kernel
	.section	.text._ZN7rocprim17ROCPRIM_400000_NS6detail17trampoline_kernelINS0_14default_configENS1_35adjacent_difference_config_selectorILb0EdEEZNS1_24adjacent_difference_implIS3_Lb0ELb0EPdS7_N6thrust23THRUST_200600_302600_NS4plusIdEEEE10hipError_tPvRmT2_T3_mT4_P12ihipStream_tbEUlT_E_NS1_11comp_targetILNS1_3genE10ELNS1_11target_archE1201ELNS1_3gpuE5ELNS1_3repE0EEENS1_30default_config_static_selectorELNS0_4arch9wavefront6targetE1EEEvT1_,"axG",@progbits,_ZN7rocprim17ROCPRIM_400000_NS6detail17trampoline_kernelINS0_14default_configENS1_35adjacent_difference_config_selectorILb0EdEEZNS1_24adjacent_difference_implIS3_Lb0ELb0EPdS7_N6thrust23THRUST_200600_302600_NS4plusIdEEEE10hipError_tPvRmT2_T3_mT4_P12ihipStream_tbEUlT_E_NS1_11comp_targetILNS1_3genE10ELNS1_11target_archE1201ELNS1_3gpuE5ELNS1_3repE0EEENS1_30default_config_static_selectorELNS0_4arch9wavefront6targetE1EEEvT1_,comdat
.Lfunc_end442:
	.size	_ZN7rocprim17ROCPRIM_400000_NS6detail17trampoline_kernelINS0_14default_configENS1_35adjacent_difference_config_selectorILb0EdEEZNS1_24adjacent_difference_implIS3_Lb0ELb0EPdS7_N6thrust23THRUST_200600_302600_NS4plusIdEEEE10hipError_tPvRmT2_T3_mT4_P12ihipStream_tbEUlT_E_NS1_11comp_targetILNS1_3genE10ELNS1_11target_archE1201ELNS1_3gpuE5ELNS1_3repE0EEENS1_30default_config_static_selectorELNS0_4arch9wavefront6targetE1EEEvT1_, .Lfunc_end442-_ZN7rocprim17ROCPRIM_400000_NS6detail17trampoline_kernelINS0_14default_configENS1_35adjacent_difference_config_selectorILb0EdEEZNS1_24adjacent_difference_implIS3_Lb0ELb0EPdS7_N6thrust23THRUST_200600_302600_NS4plusIdEEEE10hipError_tPvRmT2_T3_mT4_P12ihipStream_tbEUlT_E_NS1_11comp_targetILNS1_3genE10ELNS1_11target_archE1201ELNS1_3gpuE5ELNS1_3repE0EEENS1_30default_config_static_selectorELNS0_4arch9wavefront6targetE1EEEvT1_
                                        ; -- End function
	.section	.AMDGPU.csdata,"",@progbits
; Kernel info:
; codeLenInByte = 0
; NumSgprs: 6
; NumVgprs: 0
; NumAgprs: 0
; TotalNumVgprs: 0
; ScratchSize: 0
; MemoryBound: 0
; FloatMode: 240
; IeeeMode: 1
; LDSByteSize: 0 bytes/workgroup (compile time only)
; SGPRBlocks: 0
; VGPRBlocks: 0
; NumSGPRsForWavesPerEU: 6
; NumVGPRsForWavesPerEU: 1
; AccumOffset: 4
; Occupancy: 8
; WaveLimiterHint : 0
; COMPUTE_PGM_RSRC2:SCRATCH_EN: 0
; COMPUTE_PGM_RSRC2:USER_SGPR: 2
; COMPUTE_PGM_RSRC2:TRAP_HANDLER: 0
; COMPUTE_PGM_RSRC2:TGID_X_EN: 1
; COMPUTE_PGM_RSRC2:TGID_Y_EN: 0
; COMPUTE_PGM_RSRC2:TGID_Z_EN: 0
; COMPUTE_PGM_RSRC2:TIDIG_COMP_CNT: 0
; COMPUTE_PGM_RSRC3_GFX90A:ACCUM_OFFSET: 0
; COMPUTE_PGM_RSRC3_GFX90A:TG_SPLIT: 0
	.section	.text._ZN7rocprim17ROCPRIM_400000_NS6detail17trampoline_kernelINS0_14default_configENS1_35adjacent_difference_config_selectorILb0EdEEZNS1_24adjacent_difference_implIS3_Lb0ELb0EPdS7_N6thrust23THRUST_200600_302600_NS4plusIdEEEE10hipError_tPvRmT2_T3_mT4_P12ihipStream_tbEUlT_E_NS1_11comp_targetILNS1_3genE5ELNS1_11target_archE942ELNS1_3gpuE9ELNS1_3repE0EEENS1_30default_config_static_selectorELNS0_4arch9wavefront6targetE1EEEvT1_,"axG",@progbits,_ZN7rocprim17ROCPRIM_400000_NS6detail17trampoline_kernelINS0_14default_configENS1_35adjacent_difference_config_selectorILb0EdEEZNS1_24adjacent_difference_implIS3_Lb0ELb0EPdS7_N6thrust23THRUST_200600_302600_NS4plusIdEEEE10hipError_tPvRmT2_T3_mT4_P12ihipStream_tbEUlT_E_NS1_11comp_targetILNS1_3genE5ELNS1_11target_archE942ELNS1_3gpuE9ELNS1_3repE0EEENS1_30default_config_static_selectorELNS0_4arch9wavefront6targetE1EEEvT1_,comdat
	.protected	_ZN7rocprim17ROCPRIM_400000_NS6detail17trampoline_kernelINS0_14default_configENS1_35adjacent_difference_config_selectorILb0EdEEZNS1_24adjacent_difference_implIS3_Lb0ELb0EPdS7_N6thrust23THRUST_200600_302600_NS4plusIdEEEE10hipError_tPvRmT2_T3_mT4_P12ihipStream_tbEUlT_E_NS1_11comp_targetILNS1_3genE5ELNS1_11target_archE942ELNS1_3gpuE9ELNS1_3repE0EEENS1_30default_config_static_selectorELNS0_4arch9wavefront6targetE1EEEvT1_ ; -- Begin function _ZN7rocprim17ROCPRIM_400000_NS6detail17trampoline_kernelINS0_14default_configENS1_35adjacent_difference_config_selectorILb0EdEEZNS1_24adjacent_difference_implIS3_Lb0ELb0EPdS7_N6thrust23THRUST_200600_302600_NS4plusIdEEEE10hipError_tPvRmT2_T3_mT4_P12ihipStream_tbEUlT_E_NS1_11comp_targetILNS1_3genE5ELNS1_11target_archE942ELNS1_3gpuE9ELNS1_3repE0EEENS1_30default_config_static_selectorELNS0_4arch9wavefront6targetE1EEEvT1_
	.globl	_ZN7rocprim17ROCPRIM_400000_NS6detail17trampoline_kernelINS0_14default_configENS1_35adjacent_difference_config_selectorILb0EdEEZNS1_24adjacent_difference_implIS3_Lb0ELb0EPdS7_N6thrust23THRUST_200600_302600_NS4plusIdEEEE10hipError_tPvRmT2_T3_mT4_P12ihipStream_tbEUlT_E_NS1_11comp_targetILNS1_3genE5ELNS1_11target_archE942ELNS1_3gpuE9ELNS1_3repE0EEENS1_30default_config_static_selectorELNS0_4arch9wavefront6targetE1EEEvT1_
	.p2align	8
	.type	_ZN7rocprim17ROCPRIM_400000_NS6detail17trampoline_kernelINS0_14default_configENS1_35adjacent_difference_config_selectorILb0EdEEZNS1_24adjacent_difference_implIS3_Lb0ELb0EPdS7_N6thrust23THRUST_200600_302600_NS4plusIdEEEE10hipError_tPvRmT2_T3_mT4_P12ihipStream_tbEUlT_E_NS1_11comp_targetILNS1_3genE5ELNS1_11target_archE942ELNS1_3gpuE9ELNS1_3repE0EEENS1_30default_config_static_selectorELNS0_4arch9wavefront6targetE1EEEvT1_,@function
_ZN7rocprim17ROCPRIM_400000_NS6detail17trampoline_kernelINS0_14default_configENS1_35adjacent_difference_config_selectorILb0EdEEZNS1_24adjacent_difference_implIS3_Lb0ELb0EPdS7_N6thrust23THRUST_200600_302600_NS4plusIdEEEE10hipError_tPvRmT2_T3_mT4_P12ihipStream_tbEUlT_E_NS1_11comp_targetILNS1_3genE5ELNS1_11target_archE942ELNS1_3gpuE9ELNS1_3repE0EEENS1_30default_config_static_selectorELNS0_4arch9wavefront6targetE1EEEvT1_: ; @_ZN7rocprim17ROCPRIM_400000_NS6detail17trampoline_kernelINS0_14default_configENS1_35adjacent_difference_config_selectorILb0EdEEZNS1_24adjacent_difference_implIS3_Lb0ELb0EPdS7_N6thrust23THRUST_200600_302600_NS4plusIdEEEE10hipError_tPvRmT2_T3_mT4_P12ihipStream_tbEUlT_E_NS1_11comp_targetILNS1_3genE5ELNS1_11target_archE942ELNS1_3gpuE9ELNS1_3repE0EEENS1_30default_config_static_selectorELNS0_4arch9wavefront6targetE1EEEvT1_
; %bb.0:
	s_load_dwordx8 s[4:11], s[0:1], 0x0
	s_mov_b32 s12, 0xcec4e8e0
	v_bfrev_b32_e32 v1, 1
	s_movk_i32 s3, 0x340
	s_load_dwordx2 s[0:1], s[0:1], 0x30
	s_waitcnt lgkmcnt(0)
	s_lshl_b64 s[6:7], s[6:7], 3
	s_add_u32 s20, s4, s6
	s_addc_u32 s21, s5, s7
	s_add_u32 s12, 0x150, s12
	s_addc_u32 s13, 0, 0
	v_add_co_u32_e32 v1, vcc, s12, v1
	s_cmp_lg_u64 vcc, 0
	v_readfirstlane_b32 s14, v1
	s_addc_u32 s12, s13, 0x4ec4eb
	s_mul_hi_u32 s15, s14, 0xfffffcc0
	s_mul_i32 s13, s12, 0xfffffcc0
	s_sub_i32 s15, s15, s14
	s_add_i32 s15, s15, s13
	s_mul_i32 s17, s14, 0xfffffcc0
	s_mul_hi_u32 s13, s14, s15
	s_mul_i32 s16, s14, s15
	s_mul_hi_u32 s14, s14, s17
	s_add_u32 s14, s14, s16
	s_addc_u32 s13, 0, s13
	s_mul_hi_u32 s18, s12, s17
	s_mul_i32 s17, s12, s17
	s_add_u32 s14, s14, s17
	s_mul_hi_u32 s16, s12, s15
	s_addc_u32 s13, s13, s18
	s_addc_u32 s14, s16, 0
	s_mul_i32 s15, s12, s15
	s_add_u32 s13, s13, s15
	s_addc_u32 s14, 0, s14
	v_add_co_u32_e32 v1, vcc, s13, v1
	s_cmp_lg_u64 vcc, 0
	s_addc_u32 s12, s12, s14
	v_readfirstlane_b32 s15, v1
	s_mul_i32 s14, s10, s12
	s_mul_hi_u32 s16, s10, s15
	s_mul_hi_u32 s13, s10, s12
	s_add_u32 s14, s16, s14
	s_addc_u32 s13, 0, s13
	s_mul_hi_u32 s17, s11, s15
	s_mul_i32 s15, s11, s15
	s_add_u32 s14, s14, s15
	s_mul_hi_u32 s16, s11, s12
	s_addc_u32 s13, s13, s17
	s_addc_u32 s14, s16, 0
	s_mul_i32 s12, s11, s12
	s_add_u32 s12, s13, s12
	s_addc_u32 s13, 0, s14
	s_add_u32 s14, s12, 1
	s_addc_u32 s15, s13, 0
	s_add_u32 s16, s12, 2
	s_mul_i32 s18, s13, 0x340
	s_mul_hi_u32 s19, s12, 0x340
	s_addc_u32 s17, s13, 0
	s_add_i32 s19, s19, s18
	s_mul_i32 s18, s12, 0x340
	v_mov_b32_e32 v1, s18
	v_sub_co_u32_e32 v1, vcc, s10, v1
	s_cmp_lg_u64 vcc, 0
	s_subb_u32 s18, s11, s19
	v_subrev_co_u32_e32 v2, vcc, s3, v1
	s_cmp_lg_u64 vcc, 0
	s_subb_u32 s3, s18, 0
	v_readfirstlane_b32 s19, v2
	s_cmpk_gt_u32 s19, 0x33f
	s_cselect_b32 s19, -1, 0
	s_cmp_eq_u32 s3, 0
	s_cselect_b32 s3, s19, -1
	s_cmp_lg_u32 s3, 0
	s_cselect_b32 s3, s16, s14
	s_cselect_b32 s14, s17, s15
	v_readfirstlane_b32 s15, v1
	s_cmpk_gt_u32 s15, 0x33f
	s_cselect_b32 s15, -1, 0
	s_cmp_eq_u32 s18, 0
	s_cselect_b32 s15, s15, -1
	s_cmp_lg_u32 s15, 0
	s_cselect_b32 s14, s14, s13
	s_cselect_b32 s3, s3, s12
	s_mul_i32 s12, s14, 0x340
	s_mul_hi_u32 s13, s3, 0x340
	s_add_i32 s13, s13, s12
	s_mul_i32 s12, s3, 0x340
	s_sub_u32 s12, s10, s12
	s_subb_u32 s13, s11, s13
	s_cmp_lg_u64 s[12:13], 0
	s_cselect_b64 s[12:13], -1, 0
	v_cndmask_b32_e64 v1, 0, 1, s[12:13]
	s_mul_i32 s4, s2, 0x340
	v_readfirstlane_b32 s11, v1
	s_add_u32 s12, s3, s11
	s_addc_u32 s13, s14, 0
	s_add_u32 s2, s0, s2
	s_addc_u32 s3, s1, 0
	s_add_u32 s14, s12, -1
	s_addc_u32 s15, s13, -1
	v_mov_b64_e32 v[2:3], s[14:15]
	v_cmp_ge_u64_e64 s[0:1], s[2:3], v[2:3]
	s_mov_b32 s5, 0
	s_mov_b64 s[16:17], -1
	s_and_b64 vcc, exec, s[0:1]
	s_mul_i32 s11, s14, 0xfffffcc0
	s_cbranch_vccz .LBB443_28
; %bb.1:
	s_add_i32 s22, s11, s10
	s_lshl_b64 s[16:17], s[4:5], 3
	s_add_u32 s16, s20, s16
	s_addc_u32 s17, s21, s17
	v_cmp_gt_u32_e32 vcc, s22, v0
                                        ; implicit-def: $vgpr2_vgpr3_vgpr4_vgpr5_vgpr6_vgpr7_vgpr8_vgpr9_vgpr10_vgpr11_vgpr12_vgpr13_vgpr14_vgpr15_vgpr16_vgpr17_vgpr18_vgpr19_vgpr20_vgpr21_vgpr22_vgpr23_vgpr24_vgpr25_vgpr26_vgpr27_vgpr28_vgpr29_vgpr30_vgpr31_vgpr32_vgpr33
	s_and_saveexec_b64 s[18:19], vcc
	s_cbranch_execz .LBB443_3
; %bb.2:
	v_lshlrev_b32_e32 v1, 3, v0
	global_load_dwordx2 v[2:3], v1, s[16:17]
.LBB443_3:
	s_or_b64 exec, exec, s[18:19]
	v_or_b32_e32 v1, 64, v0
	v_cmp_gt_u32_e32 vcc, s22, v1
	s_and_saveexec_b64 s[18:19], vcc
	s_cbranch_execz .LBB443_5
; %bb.4:
	v_lshlrev_b32_e32 v1, 3, v0
	global_load_dwordx2 v[4:5], v1, s[16:17] offset:512
.LBB443_5:
	s_or_b64 exec, exec, s[18:19]
	v_or_b32_e32 v1, 0x80, v0
	v_cmp_gt_u32_e32 vcc, s22, v1
	s_and_saveexec_b64 s[18:19], vcc
	s_cbranch_execz .LBB443_7
; %bb.6:
	v_lshlrev_b32_e32 v1, 3, v0
	global_load_dwordx2 v[6:7], v1, s[16:17] offset:1024
.LBB443_7:
	;; [unrolled: 9-line block ×7, first 2 shown]
	s_or_b64 exec, exec, s[18:19]
	v_or_b32_e32 v1, 0x200, v0
	v_cmp_gt_u32_e32 vcc, s22, v1
	s_and_saveexec_b64 s[18:19], vcc
	s_cbranch_execz .LBB443_19
; %bb.18:
	v_lshlrev_b32_e32 v1, 3, v1
	global_load_dwordx2 v[18:19], v1, s[16:17]
.LBB443_19:
	s_or_b64 exec, exec, s[18:19]
	v_or_b32_e32 v1, 0x240, v0
	v_cmp_gt_u32_e32 vcc, s22, v1
	s_and_saveexec_b64 s[18:19], vcc
	s_cbranch_execz .LBB443_21
; %bb.20:
	v_lshlrev_b32_e32 v1, 3, v1
	global_load_dwordx2 v[20:21], v1, s[16:17]
.LBB443_21:
	;; [unrolled: 9-line block ×5, first 2 shown]
	s_or_b64 exec, exec, s[18:19]
	v_lshlrev_b32_e32 v1, 3, v0
	s_mov_b64 s[16:17], 0
	s_waitcnt vmcnt(0)
	ds_write2st64_b64 v1, v[2:3], v[4:5] offset1:1
	ds_write2st64_b64 v1, v[6:7], v[8:9] offset0:2 offset1:3
	ds_write2st64_b64 v1, v[10:11], v[12:13] offset0:4 offset1:5
	;; [unrolled: 1-line block ×5, first 2 shown]
	ds_write_b64 v1, v[26:27] offset:6144
	s_waitcnt lgkmcnt(0)
	; wave barrier
.LBB443_28:
	s_and_b64 vcc, exec, s[16:17]
	v_lshlrev_b32_e32 v52, 3, v0
	s_cbranch_vccz .LBB443_30
; %bb.29:
	s_lshl_b64 s[16:17], s[4:5], 3
	s_add_u32 s16, s20, s16
	s_addc_u32 s17, s21, s17
	v_mov_b32_e32 v53, 0
	v_lshl_add_u64 v[2:3], s[16:17], 0, v[52:53]
	s_movk_i32 s5, 0x1000
	v_add_co_u32_e32 v2, vcc, s5, v2
	global_load_dwordx2 v[4:5], v52, s[16:17]
	global_load_dwordx2 v[6:7], v52, s[16:17] offset:512
	global_load_dwordx2 v[8:9], v52, s[16:17] offset:1024
	;; [unrolled: 1-line block ×7, first 2 shown]
	v_addc_co_u32_e32 v3, vcc, 0, v3, vcc
	global_load_dwordx2 v[20:21], v[2:3], off
	global_load_dwordx2 v[22:23], v[2:3], off offset:512
	global_load_dwordx2 v[24:25], v[2:3], off offset:1024
	;; [unrolled: 1-line block ×4, first 2 shown]
	s_waitcnt vmcnt(11)
	ds_write2st64_b64 v52, v[4:5], v[6:7] offset1:1
	s_waitcnt vmcnt(9)
	ds_write2st64_b64 v52, v[8:9], v[10:11] offset0:2 offset1:3
	s_waitcnt vmcnt(7)
	ds_write2st64_b64 v52, v[12:13], v[14:15] offset0:4 offset1:5
	;; [unrolled: 2-line block ×5, first 2 shown]
	s_waitcnt vmcnt(0)
	ds_write_b64 v52, v[28:29] offset:6144
	s_waitcnt lgkmcnt(0)
	; wave barrier
.LBB443_30:
	v_mul_u32_u24_e32 v1, 13, v0
	v_lshlrev_b32_e32 v1, 3, v1
	s_waitcnt lgkmcnt(0)
	ds_read2_b64 v[24:27], v1 offset1:1
	ds_read2_b64 v[32:35], v1 offset0:2 offset1:3
	ds_read2_b64 v[36:39], v1 offset0:4 offset1:5
	;; [unrolled: 1-line block ×5, first 2 shown]
	ds_read_b64 v[66:67], v1 offset:96
	s_cmp_eq_u64 s[2:3], 0
	s_waitcnt lgkmcnt(0)
	; wave barrier
	s_waitcnt lgkmcnt(0)
	s_cbranch_scc1 .LBB443_35
; %bb.31:
	s_mov_b32 s5, 0
	s_lshl_b64 s[16:17], s[4:5], 3
	s_add_u32 s5, s20, s16
	s_addc_u32 s17, s21, s17
	s_add_u32 s16, s5, -8
	s_addc_u32 s17, s17, -1
	s_load_dwordx2 s[16:17], s[16:17], 0x0
	s_cmp_eq_u64 s[2:3], s[14:15]
	s_cbranch_scc1 .LBB443_36
; %bb.32:
	v_cmp_ne_u32_e32 vcc, 0, v0
	s_waitcnt lgkmcnt(0)
	v_mov_b64_e32 v[4:5], s[16:17]
	ds_write_b64 v52, v[66:67]
	s_waitcnt lgkmcnt(0)
	; wave barrier
	s_waitcnt lgkmcnt(0)
	s_and_saveexec_b64 s[14:15], vcc
	s_cbranch_execz .LBB443_34
; %bb.33:
	v_add_u32_e32 v1, -8, v52
	ds_read_b64 v[4:5], v1
.LBB443_34:
	s_or_b64 exec, exec, s[14:15]
	v_add_f64 v[54:55], v[50:51], v[66:67]
	v_add_f64 v[56:57], v[48:49], v[50:51]
	;; [unrolled: 1-line block ×12, first 2 shown]
	s_waitcnt lgkmcnt(0)
	v_add_f64 v[28:29], v[24:25], v[4:5]
	s_branch .LBB443_40
.LBB443_35:
                                        ; implicit-def: $vgpr2_vgpr3_vgpr4_vgpr5
                                        ; implicit-def: $vgpr54_vgpr55
                                        ; implicit-def: $vgpr56_vgpr57
                                        ; implicit-def: $vgpr28_vgpr29
                                        ; implicit-def: $vgpr64_vgpr65
                                        ; implicit-def: $vgpr62_vgpr63
                                        ; implicit-def: $vgpr60_vgpr61
                                        ; implicit-def: $vgpr58_vgpr59
                                        ; implicit-def: $vgpr4_vgpr5_vgpr6_vgpr7
                                        ; implicit-def: $vgpr8_vgpr9_vgpr10_vgpr11
                                        ; implicit-def: $vgpr12_vgpr13_vgpr14_vgpr15
                                        ; implicit-def: $vgpr16_vgpr17_vgpr18_vgpr19
                                        ; implicit-def: $vgpr20_vgpr21_vgpr22_vgpr23
	s_branch .LBB443_41
.LBB443_36:
                                        ; implicit-def: $vgpr2_vgpr3_vgpr4_vgpr5
                                        ; implicit-def: $vgpr54_vgpr55
                                        ; implicit-def: $vgpr56_vgpr57
                                        ; implicit-def: $vgpr28_vgpr29
                                        ; implicit-def: $vgpr64_vgpr65
                                        ; implicit-def: $vgpr62_vgpr63
                                        ; implicit-def: $vgpr60_vgpr61
                                        ; implicit-def: $vgpr58_vgpr59
                                        ; implicit-def: $vgpr4_vgpr5_vgpr6_vgpr7
                                        ; implicit-def: $vgpr8_vgpr9_vgpr10_vgpr11
                                        ; implicit-def: $vgpr12_vgpr13_vgpr14_vgpr15
                                        ; implicit-def: $vgpr16_vgpr17_vgpr18_vgpr19
                                        ; implicit-def: $vgpr20_vgpr21_vgpr22_vgpr23
	s_cbranch_execz .LBB443_40
; %bb.37:
	v_mul_u32_u24_e32 v1, 13, v0
	v_cmp_ne_u32_e32 vcc, 0, v0
	s_waitcnt lgkmcnt(0)
	v_mov_b64_e32 v[4:5], s[16:17]
	ds_write_b64 v52, v[66:67]
	s_waitcnt lgkmcnt(0)
	; wave barrier
	s_waitcnt lgkmcnt(0)
	s_and_saveexec_b64 s[14:15], vcc
	s_cbranch_execz .LBB443_39
; %bb.38:
	v_add_u32_e32 v2, -8, v52
	ds_read_b64 v[4:5], v2
.LBB443_39:
	s_or_b64 exec, exec, s[14:15]
	s_mulk_i32 s2, 0xfcc0
	s_add_i32 s2, s2, s10
	v_add_u32_e32 v6, 12, v1
	v_add_f64 v[2:3], v[50:51], v[66:67]
	v_cmp_gt_u32_e32 vcc, s2, v6
	v_add_u32_e32 v6, 11, v1
	v_add_u32_e32 v8, 9, v1
	v_cndmask_b32_e32 v55, v67, v3, vcc
	v_cndmask_b32_e32 v54, v66, v2, vcc
	v_add_f64 v[2:3], v[48:49], v[50:51]
	v_cmp_gt_u32_e32 vcc, s2, v6
	v_add_u32_e32 v6, 10, v1
	v_add_u32_e32 v10, 8, v1
	v_cndmask_b32_e32 v57, v51, v3, vcc
	v_cndmask_b32_e32 v56, v50, v2, vcc
	v_add_f64 v[2:3], v[46:47], v[48:49]
	v_cmp_gt_u32_e32 vcc, s2, v6
	v_add_f64 v[6:7], v[44:45], v[46:47]
	v_add_u32_e32 v12, 6, v1
	v_cndmask_b32_e32 v3, v49, v3, vcc
	v_cndmask_b32_e32 v2, v48, v2, vcc
	v_cmp_gt_u32_e32 vcc, s2, v8
	v_add_f64 v[8:9], v[42:43], v[44:45]
	s_waitcnt lgkmcnt(0)
	v_add_f64 v[4:5], v[24:25], v[4:5]
	v_cndmask_b32_e32 v7, v47, v7, vcc
	v_cndmask_b32_e32 v6, v46, v6, vcc
	v_cmp_gt_u32_e32 vcc, s2, v10
	v_add_u32_e32 v10, 7, v1
	s_nop 0
	v_cndmask_b32_e32 v59, v45, v9, vcc
	v_cndmask_b32_e32 v58, v44, v8, vcc
	v_add_f64 v[8:9], v[40:41], v[42:43]
	v_cmp_gt_u32_e32 vcc, s2, v10
	s_nop 1
	v_cndmask_b32_e32 v11, v43, v9, vcc
	v_cndmask_b32_e32 v10, v42, v8, vcc
	v_add_f64 v[8:9], v[38:39], v[40:41]
	v_cmp_gt_u32_e32 vcc, s2, v12
	v_add_u32_e32 v12, 5, v1
	s_nop 0
	v_cndmask_b32_e32 v61, v41, v9, vcc
	v_cndmask_b32_e32 v60, v40, v8, vcc
	v_add_f64 v[8:9], v[36:37], v[38:39]
	v_cmp_gt_u32_e32 vcc, s2, v12
	v_add_u32_e32 v12, 4, v1
	;; [unrolled: 6-line block ×5, first 2 shown]
	s_nop 0
	v_cndmask_b32_e32 v65, v33, v9, vcc
	v_cndmask_b32_e32 v64, v32, v8, vcc
	v_add_f64 v[8:9], v[24:25], v[26:27]
	v_cmp_gt_u32_e32 vcc, s2, v12
	s_nop 1
	v_cndmask_b32_e32 v23, v27, v9, vcc
	v_cndmask_b32_e32 v22, v26, v8, vcc
	v_cmp_gt_u32_e32 vcc, s2, v1
	s_nop 1
	v_cndmask_b32_e32 v29, v25, v5, vcc
	v_cndmask_b32_e32 v28, v24, v4, vcc
.LBB443_40:
	s_cbranch_execnz .LBB443_49
.LBB443_41:
	s_cmp_eq_u64 s[12:13], 1
	v_add_f64 v[54:55], v[50:51], v[66:67]
	v_add_f64 v[56:57], v[48:49], v[50:51]
	;; [unrolled: 1-line block ×12, first 2 shown]
	v_cmp_ne_u32_e32 vcc, 0, v0
	s_cbranch_scc1 .LBB443_45
; %bb.42:
	v_mov_b64_e32 v[28:29], v[24:25]
	ds_write_b64 v52, v[66:67]
	s_waitcnt lgkmcnt(0)
	; wave barrier
	s_waitcnt lgkmcnt(0)
	s_and_saveexec_b64 s[2:3], vcc
	s_cbranch_execz .LBB443_44
; %bb.43:
	v_add_u32_e32 v1, -8, v52
	ds_read_b64 v[4:5], v1
	s_waitcnt lgkmcnt(0)
	v_add_f64 v[28:29], v[24:25], v[4:5]
.LBB443_44:
	s_or_b64 exec, exec, s[2:3]
	s_cbranch_execz .LBB443_46
	s_branch .LBB443_49
.LBB443_45:
                                        ; implicit-def: $vgpr28_vgpr29_vgpr30_vgpr31
.LBB443_46:
	v_mad_u32_u24 v4, v0, 13, 12
	v_cmp_gt_u32_e32 vcc, s10, v4
	v_mad_u32_u24 v4, v0, 13, 11
	v_mul_u32_u24_e32 v1, 13, v0
	v_cndmask_b32_e32 v55, v67, v55, vcc
	v_cndmask_b32_e32 v54, v66, v54, vcc
	v_cmp_gt_u32_e32 vcc, s10, v4
	v_mad_u32_u24 v4, v0, 13, 10
	v_cmp_gt_u32_e64 s[2:3], s10, v1
	v_cndmask_b32_e32 v57, v51, v57, vcc
	v_cndmask_b32_e32 v56, v50, v56, vcc
	v_cmp_gt_u32_e32 vcc, s10, v4
	v_mad_u32_u24 v4, v0, 13, 9
	ds_write_b64 v52, v[66:67]
	v_cndmask_b32_e32 v3, v49, v3, vcc
	v_cndmask_b32_e32 v2, v48, v2, vcc
	v_cmp_gt_u32_e32 vcc, s10, v4
	v_mad_u32_u24 v4, v0, 13, 8
	s_waitcnt lgkmcnt(0)
	v_cndmask_b32_e32 v7, v47, v7, vcc
	v_cndmask_b32_e32 v6, v46, v6, vcc
	v_cmp_gt_u32_e32 vcc, s10, v4
	v_mad_u32_u24 v4, v0, 13, 7
	; wave barrier
	s_nop 0
	v_cndmask_b32_e32 v59, v45, v59, vcc
	v_cndmask_b32_e32 v58, v44, v58, vcc
	v_cmp_gt_u32_e32 vcc, s10, v4
	v_mad_u32_u24 v4, v0, 13, 6
	s_nop 0
	v_cndmask_b32_e32 v11, v43, v11, vcc
	v_cndmask_b32_e32 v10, v42, v10, vcc
	v_cmp_gt_u32_e32 vcc, s10, v4
	v_mad_u32_u24 v4, v0, 13, 5
	;; [unrolled: 5-line block ×6, first 2 shown]
	s_nop 0
	v_cndmask_b32_e32 v65, v33, v65, vcc
	v_cndmask_b32_e32 v64, v32, v64, vcc
	v_cmp_gt_u32_e32 vcc, s10, v4
	s_nop 1
	v_cndmask_b32_e32 v23, v27, v23, vcc
	v_cndmask_b32_e32 v22, v26, v22, vcc
	v_cmp_ne_u32_e32 vcc, 0, v0
	s_and_b64 s[12:13], vcc, s[2:3]
	s_and_saveexec_b64 s[2:3], s[12:13]
	s_cbranch_execz .LBB443_48
; %bb.47:
	v_add_u32_e32 v1, -8, v52
	ds_read_b64 v[4:5], v1
	s_waitcnt lgkmcnt(0)
	v_add_f64 v[24:25], v[24:25], v[4:5]
.LBB443_48:
	s_or_b64 exec, exec, s[2:3]
	v_mov_b64_e32 v[28:29], v[24:25]
.LBB443_49:
	s_add_u32 s6, s8, s6
	s_addc_u32 s7, s9, s7
	s_and_b64 vcc, exec, s[0:1]
	s_waitcnt lgkmcnt(0)
	; wave barrier
	s_waitcnt lgkmcnt(0)
	s_cbranch_vccz .LBB443_75
; %bb.50:
	s_movk_i32 s2, 0x68
	v_mul_i32_i24_e32 v8, 0xffffffa0, v0
	v_mul_u32_u24_e32 v1, 0x68, v0
	v_mad_u32_u24 v4, v0, s2, v8
	ds_write2_b64 v1, v[28:29], v[22:23] offset1:1
	ds_write2_b64 v1, v[64:65], v[18:19] offset0:2 offset1:3
	ds_write2_b64 v1, v[62:63], v[14:15] offset0:4 offset1:5
	;; [unrolled: 1-line block ×5, first 2 shown]
	ds_write_b64 v1, v[54:55] offset:96
	s_waitcnt lgkmcnt(0)
	; wave barrier
	s_waitcnt lgkmcnt(0)
	ds_read2st64_b64 v[46:49], v4 offset0:1 offset1:2
	ds_read2st64_b64 v[42:45], v4 offset0:3 offset1:4
	;; [unrolled: 1-line block ×6, first 2 shown]
	s_mov_b32 s5, 0
	s_add_i32 s11, s11, s10
	s_lshl_b64 s[0:1], s[4:5], 3
	s_add_u32 s0, s6, s0
	s_addc_u32 s1, s7, s1
	v_mov_b32_e32 v53, 0
	v_lshl_add_u64 v[4:5], s[0:1], 0, v[52:53]
	v_cmp_gt_u32_e32 vcc, s11, v0
	s_and_saveexec_b64 s[0:1], vcc
	s_cbranch_execz .LBB443_52
; %bb.51:
	v_add_u32_e32 v1, v1, v8
	ds_read_b64 v[8:9], v1
	s_waitcnt lgkmcnt(0)
	global_store_dwordx2 v[4:5], v[8:9], off
.LBB443_52:
	s_or_b64 exec, exec, s[0:1]
	v_or_b32_e32 v1, 64, v0
	v_cmp_gt_u32_e32 vcc, s11, v1
	s_and_saveexec_b64 s[0:1], vcc
	s_cbranch_execz .LBB443_54
; %bb.53:
	s_waitcnt lgkmcnt(5)
	global_store_dwordx2 v[4:5], v[46:47], off offset:512
.LBB443_54:
	s_or_b64 exec, exec, s[0:1]
	v_or_b32_e32 v1, 0x80, v0
	v_cmp_gt_u32_e32 vcc, s11, v1
	s_and_saveexec_b64 s[0:1], vcc
	s_cbranch_execz .LBB443_56
; %bb.55:
	s_waitcnt lgkmcnt(5)
	global_store_dwordx2 v[4:5], v[48:49], off offset:1024
.LBB443_56:
	;; [unrolled: 9-line block ×7, first 2 shown]
	s_or_b64 exec, exec, s[0:1]
	v_or_b32_e32 v1, 0x200, v0
	v_cmp_gt_u32_e32 vcc, s11, v1
	s_and_saveexec_b64 s[0:1], vcc
	s_cbranch_execz .LBB443_68
; %bb.67:
	v_add_co_u32_e32 v8, vcc, 0x1000, v4
	s_nop 1
	v_addc_co_u32_e32 v9, vcc, 0, v5, vcc
	s_waitcnt lgkmcnt(2)
	global_store_dwordx2 v[8:9], v[36:37], off
.LBB443_68:
	s_or_b64 exec, exec, s[0:1]
	v_or_b32_e32 v1, 0x240, v0
	v_cmp_gt_u32_e32 vcc, s11, v1
	s_and_saveexec_b64 s[0:1], vcc
	s_cbranch_execz .LBB443_70
; %bb.69:
	v_add_co_u32_e32 v8, vcc, 0x1000, v4
	s_nop 1
	v_addc_co_u32_e32 v9, vcc, 0, v5, vcc
	s_waitcnt lgkmcnt(1)
	global_store_dwordx2 v[8:9], v[30:31], off offset:512
.LBB443_70:
	s_or_b64 exec, exec, s[0:1]
	v_or_b32_e32 v1, 0x280, v0
	v_cmp_gt_u32_e32 vcc, s11, v1
	s_and_saveexec_b64 s[0:1], vcc
	s_cbranch_execz .LBB443_72
; %bb.71:
	v_add_co_u32_e32 v8, vcc, 0x1000, v4
	s_nop 1
	v_addc_co_u32_e32 v9, vcc, 0, v5, vcc
	s_waitcnt lgkmcnt(1)
	global_store_dwordx2 v[8:9], v[32:33], off offset:1024
.LBB443_72:
	;; [unrolled: 12-line block ×3, first 2 shown]
	s_or_b64 exec, exec, s[0:1]
	v_or_b32_e32 v1, 0x300, v0
	v_cmp_gt_u32_e64 s[0:1], s11, v1
	s_branch .LBB443_77
.LBB443_75:
	s_mov_b64 s[0:1], 0
                                        ; implicit-def: $vgpr26_vgpr27
                                        ; implicit-def: $vgpr4_vgpr5
	s_cbranch_execz .LBB443_77
; %bb.76:
	s_mov_b32 s5, 0
	v_mul_u32_u24_e32 v1, 0x68, v0
	s_lshl_b64 s[2:3], s[4:5], 3
	s_movk_i32 s4, 0x68
	ds_write2_b64 v1, v[28:29], v[22:23] offset1:1
	ds_write2_b64 v1, v[64:65], v[18:19] offset0:2 offset1:3
	ds_write2_b64 v1, v[62:63], v[14:15] offset0:4 offset1:5
	ds_write2_b64 v1, v[60:61], v[10:11] offset0:6 offset1:7
	ds_write2_b64 v1, v[58:59], v[6:7] offset0:8 offset1:9
	ds_write2_b64 v1, v[2:3], v[56:57] offset0:10 offset1:11
	ds_write_b64 v1, v[54:55] offset:96
	v_mul_i32_i24_e32 v1, 0xffffffa0, v0
	s_add_u32 s2, s6, s2
	v_mad_u32_u24 v4, v0, s4, v1
	s_addc_u32 s3, s7, s3
	s_waitcnt lgkmcnt(0)
	; wave barrier
	s_waitcnt lgkmcnt(0)
	ds_read2st64_b64 v[0:3], v4 offset1:1
	ds_read2st64_b64 v[6:9], v4 offset0:2 offset1:3
	ds_read2st64_b64 v[10:13], v4 offset0:4 offset1:5
	ds_read2st64_b64 v[14:17], v4 offset0:6 offset1:7
	ds_read2st64_b64 v[18:21], v4 offset0:8 offset1:9
	ds_read2st64_b64 v[22:25], v4 offset0:10 offset1:11
	ds_read_b64 v[26:27], v4 offset:6144
	v_mov_b32_e32 v53, 0
	v_lshl_add_u64 v[4:5], s[2:3], 0, v[52:53]
	s_waitcnt lgkmcnt(6)
	global_store_dwordx2 v52, v[0:1], s[2:3]
	global_store_dwordx2 v52, v[2:3], s[2:3] offset:512
	s_waitcnt lgkmcnt(5)
	global_store_dwordx2 v52, v[6:7], s[2:3] offset:1024
	global_store_dwordx2 v52, v[8:9], s[2:3] offset:1536
	s_waitcnt lgkmcnt(4)
	global_store_dwordx2 v52, v[10:11], s[2:3] offset:2048
	;; [unrolled: 3-line block ×3, first 2 shown]
	global_store_dwordx2 v52, v[16:17], s[2:3] offset:3584
	v_add_co_u32_e32 v0, vcc, 0x1000, v4
	s_or_b64 s[0:1], s[0:1], exec
	s_nop 0
	v_addc_co_u32_e32 v1, vcc, 0, v5, vcc
	s_waitcnt lgkmcnt(2)
	global_store_dwordx2 v[0:1], v[18:19], off
	global_store_dwordx2 v[0:1], v[20:21], off offset:512
	s_waitcnt lgkmcnt(1)
	global_store_dwordx2 v[0:1], v[22:23], off offset:1024
	global_store_dwordx2 v[0:1], v[24:25], off offset:1536
.LBB443_77:
	s_and_saveexec_b64 s[2:3], s[0:1]
	s_cbranch_execnz .LBB443_79
; %bb.78:
	s_endpgm
.LBB443_79:
	v_add_co_u32_e32 v0, vcc, 0x1000, v4
	s_nop 1
	v_addc_co_u32_e32 v1, vcc, 0, v5, vcc
	s_waitcnt lgkmcnt(0)
	global_store_dwordx2 v[0:1], v[26:27], off offset:2048
	s_endpgm
	.section	.rodata,"a",@progbits
	.p2align	6, 0x0
	.amdhsa_kernel _ZN7rocprim17ROCPRIM_400000_NS6detail17trampoline_kernelINS0_14default_configENS1_35adjacent_difference_config_selectorILb0EdEEZNS1_24adjacent_difference_implIS3_Lb0ELb0EPdS7_N6thrust23THRUST_200600_302600_NS4plusIdEEEE10hipError_tPvRmT2_T3_mT4_P12ihipStream_tbEUlT_E_NS1_11comp_targetILNS1_3genE5ELNS1_11target_archE942ELNS1_3gpuE9ELNS1_3repE0EEENS1_30default_config_static_selectorELNS0_4arch9wavefront6targetE1EEEvT1_
		.amdhsa_group_segment_fixed_size 6656
		.amdhsa_private_segment_fixed_size 0
		.amdhsa_kernarg_size 56
		.amdhsa_user_sgpr_count 2
		.amdhsa_user_sgpr_dispatch_ptr 0
		.amdhsa_user_sgpr_queue_ptr 0
		.amdhsa_user_sgpr_kernarg_segment_ptr 1
		.amdhsa_user_sgpr_dispatch_id 0
		.amdhsa_user_sgpr_kernarg_preload_length 0
		.amdhsa_user_sgpr_kernarg_preload_offset 0
		.amdhsa_user_sgpr_private_segment_size 0
		.amdhsa_uses_dynamic_stack 0
		.amdhsa_enable_private_segment 0
		.amdhsa_system_sgpr_workgroup_id_x 1
		.amdhsa_system_sgpr_workgroup_id_y 0
		.amdhsa_system_sgpr_workgroup_id_z 0
		.amdhsa_system_sgpr_workgroup_info 0
		.amdhsa_system_vgpr_workitem_id 0
		.amdhsa_next_free_vgpr 68
		.amdhsa_next_free_sgpr 23
		.amdhsa_accum_offset 68
		.amdhsa_reserve_vcc 1
		.amdhsa_float_round_mode_32 0
		.amdhsa_float_round_mode_16_64 0
		.amdhsa_float_denorm_mode_32 3
		.amdhsa_float_denorm_mode_16_64 3
		.amdhsa_dx10_clamp 1
		.amdhsa_ieee_mode 1
		.amdhsa_fp16_overflow 0
		.amdhsa_tg_split 0
		.amdhsa_exception_fp_ieee_invalid_op 0
		.amdhsa_exception_fp_denorm_src 0
		.amdhsa_exception_fp_ieee_div_zero 0
		.amdhsa_exception_fp_ieee_overflow 0
		.amdhsa_exception_fp_ieee_underflow 0
		.amdhsa_exception_fp_ieee_inexact 0
		.amdhsa_exception_int_div_zero 0
	.end_amdhsa_kernel
	.section	.text._ZN7rocprim17ROCPRIM_400000_NS6detail17trampoline_kernelINS0_14default_configENS1_35adjacent_difference_config_selectorILb0EdEEZNS1_24adjacent_difference_implIS3_Lb0ELb0EPdS7_N6thrust23THRUST_200600_302600_NS4plusIdEEEE10hipError_tPvRmT2_T3_mT4_P12ihipStream_tbEUlT_E_NS1_11comp_targetILNS1_3genE5ELNS1_11target_archE942ELNS1_3gpuE9ELNS1_3repE0EEENS1_30default_config_static_selectorELNS0_4arch9wavefront6targetE1EEEvT1_,"axG",@progbits,_ZN7rocprim17ROCPRIM_400000_NS6detail17trampoline_kernelINS0_14default_configENS1_35adjacent_difference_config_selectorILb0EdEEZNS1_24adjacent_difference_implIS3_Lb0ELb0EPdS7_N6thrust23THRUST_200600_302600_NS4plusIdEEEE10hipError_tPvRmT2_T3_mT4_P12ihipStream_tbEUlT_E_NS1_11comp_targetILNS1_3genE5ELNS1_11target_archE942ELNS1_3gpuE9ELNS1_3repE0EEENS1_30default_config_static_selectorELNS0_4arch9wavefront6targetE1EEEvT1_,comdat
.Lfunc_end443:
	.size	_ZN7rocprim17ROCPRIM_400000_NS6detail17trampoline_kernelINS0_14default_configENS1_35adjacent_difference_config_selectorILb0EdEEZNS1_24adjacent_difference_implIS3_Lb0ELb0EPdS7_N6thrust23THRUST_200600_302600_NS4plusIdEEEE10hipError_tPvRmT2_T3_mT4_P12ihipStream_tbEUlT_E_NS1_11comp_targetILNS1_3genE5ELNS1_11target_archE942ELNS1_3gpuE9ELNS1_3repE0EEENS1_30default_config_static_selectorELNS0_4arch9wavefront6targetE1EEEvT1_, .Lfunc_end443-_ZN7rocprim17ROCPRIM_400000_NS6detail17trampoline_kernelINS0_14default_configENS1_35adjacent_difference_config_selectorILb0EdEEZNS1_24adjacent_difference_implIS3_Lb0ELb0EPdS7_N6thrust23THRUST_200600_302600_NS4plusIdEEEE10hipError_tPvRmT2_T3_mT4_P12ihipStream_tbEUlT_E_NS1_11comp_targetILNS1_3genE5ELNS1_11target_archE942ELNS1_3gpuE9ELNS1_3repE0EEENS1_30default_config_static_selectorELNS0_4arch9wavefront6targetE1EEEvT1_
                                        ; -- End function
	.section	.AMDGPU.csdata,"",@progbits
; Kernel info:
; codeLenInByte = 3592
; NumSgprs: 29
; NumVgprs: 68
; NumAgprs: 0
; TotalNumVgprs: 68
; ScratchSize: 0
; MemoryBound: 0
; FloatMode: 240
; IeeeMode: 1
; LDSByteSize: 6656 bytes/workgroup (compile time only)
; SGPRBlocks: 3
; VGPRBlocks: 8
; NumSGPRsForWavesPerEU: 29
; NumVGPRsForWavesPerEU: 68
; AccumOffset: 68
; Occupancy: 3
; WaveLimiterHint : 1
; COMPUTE_PGM_RSRC2:SCRATCH_EN: 0
; COMPUTE_PGM_RSRC2:USER_SGPR: 2
; COMPUTE_PGM_RSRC2:TRAP_HANDLER: 0
; COMPUTE_PGM_RSRC2:TGID_X_EN: 1
; COMPUTE_PGM_RSRC2:TGID_Y_EN: 0
; COMPUTE_PGM_RSRC2:TGID_Z_EN: 0
; COMPUTE_PGM_RSRC2:TIDIG_COMP_CNT: 0
; COMPUTE_PGM_RSRC3_GFX90A:ACCUM_OFFSET: 16
; COMPUTE_PGM_RSRC3_GFX90A:TG_SPLIT: 0
	.section	.text._ZN7rocprim17ROCPRIM_400000_NS6detail17trampoline_kernelINS0_14default_configENS1_35adjacent_difference_config_selectorILb0EdEEZNS1_24adjacent_difference_implIS3_Lb0ELb0EPdS7_N6thrust23THRUST_200600_302600_NS4plusIdEEEE10hipError_tPvRmT2_T3_mT4_P12ihipStream_tbEUlT_E_NS1_11comp_targetILNS1_3genE4ELNS1_11target_archE910ELNS1_3gpuE8ELNS1_3repE0EEENS1_30default_config_static_selectorELNS0_4arch9wavefront6targetE1EEEvT1_,"axG",@progbits,_ZN7rocprim17ROCPRIM_400000_NS6detail17trampoline_kernelINS0_14default_configENS1_35adjacent_difference_config_selectorILb0EdEEZNS1_24adjacent_difference_implIS3_Lb0ELb0EPdS7_N6thrust23THRUST_200600_302600_NS4plusIdEEEE10hipError_tPvRmT2_T3_mT4_P12ihipStream_tbEUlT_E_NS1_11comp_targetILNS1_3genE4ELNS1_11target_archE910ELNS1_3gpuE8ELNS1_3repE0EEENS1_30default_config_static_selectorELNS0_4arch9wavefront6targetE1EEEvT1_,comdat
	.protected	_ZN7rocprim17ROCPRIM_400000_NS6detail17trampoline_kernelINS0_14default_configENS1_35adjacent_difference_config_selectorILb0EdEEZNS1_24adjacent_difference_implIS3_Lb0ELb0EPdS7_N6thrust23THRUST_200600_302600_NS4plusIdEEEE10hipError_tPvRmT2_T3_mT4_P12ihipStream_tbEUlT_E_NS1_11comp_targetILNS1_3genE4ELNS1_11target_archE910ELNS1_3gpuE8ELNS1_3repE0EEENS1_30default_config_static_selectorELNS0_4arch9wavefront6targetE1EEEvT1_ ; -- Begin function _ZN7rocprim17ROCPRIM_400000_NS6detail17trampoline_kernelINS0_14default_configENS1_35adjacent_difference_config_selectorILb0EdEEZNS1_24adjacent_difference_implIS3_Lb0ELb0EPdS7_N6thrust23THRUST_200600_302600_NS4plusIdEEEE10hipError_tPvRmT2_T3_mT4_P12ihipStream_tbEUlT_E_NS1_11comp_targetILNS1_3genE4ELNS1_11target_archE910ELNS1_3gpuE8ELNS1_3repE0EEENS1_30default_config_static_selectorELNS0_4arch9wavefront6targetE1EEEvT1_
	.globl	_ZN7rocprim17ROCPRIM_400000_NS6detail17trampoline_kernelINS0_14default_configENS1_35adjacent_difference_config_selectorILb0EdEEZNS1_24adjacent_difference_implIS3_Lb0ELb0EPdS7_N6thrust23THRUST_200600_302600_NS4plusIdEEEE10hipError_tPvRmT2_T3_mT4_P12ihipStream_tbEUlT_E_NS1_11comp_targetILNS1_3genE4ELNS1_11target_archE910ELNS1_3gpuE8ELNS1_3repE0EEENS1_30default_config_static_selectorELNS0_4arch9wavefront6targetE1EEEvT1_
	.p2align	8
	.type	_ZN7rocprim17ROCPRIM_400000_NS6detail17trampoline_kernelINS0_14default_configENS1_35adjacent_difference_config_selectorILb0EdEEZNS1_24adjacent_difference_implIS3_Lb0ELb0EPdS7_N6thrust23THRUST_200600_302600_NS4plusIdEEEE10hipError_tPvRmT2_T3_mT4_P12ihipStream_tbEUlT_E_NS1_11comp_targetILNS1_3genE4ELNS1_11target_archE910ELNS1_3gpuE8ELNS1_3repE0EEENS1_30default_config_static_selectorELNS0_4arch9wavefront6targetE1EEEvT1_,@function
_ZN7rocprim17ROCPRIM_400000_NS6detail17trampoline_kernelINS0_14default_configENS1_35adjacent_difference_config_selectorILb0EdEEZNS1_24adjacent_difference_implIS3_Lb0ELb0EPdS7_N6thrust23THRUST_200600_302600_NS4plusIdEEEE10hipError_tPvRmT2_T3_mT4_P12ihipStream_tbEUlT_E_NS1_11comp_targetILNS1_3genE4ELNS1_11target_archE910ELNS1_3gpuE8ELNS1_3repE0EEENS1_30default_config_static_selectorELNS0_4arch9wavefront6targetE1EEEvT1_: ; @_ZN7rocprim17ROCPRIM_400000_NS6detail17trampoline_kernelINS0_14default_configENS1_35adjacent_difference_config_selectorILb0EdEEZNS1_24adjacent_difference_implIS3_Lb0ELb0EPdS7_N6thrust23THRUST_200600_302600_NS4plusIdEEEE10hipError_tPvRmT2_T3_mT4_P12ihipStream_tbEUlT_E_NS1_11comp_targetILNS1_3genE4ELNS1_11target_archE910ELNS1_3gpuE8ELNS1_3repE0EEENS1_30default_config_static_selectorELNS0_4arch9wavefront6targetE1EEEvT1_
; %bb.0:
	.section	.rodata,"a",@progbits
	.p2align	6, 0x0
	.amdhsa_kernel _ZN7rocprim17ROCPRIM_400000_NS6detail17trampoline_kernelINS0_14default_configENS1_35adjacent_difference_config_selectorILb0EdEEZNS1_24adjacent_difference_implIS3_Lb0ELb0EPdS7_N6thrust23THRUST_200600_302600_NS4plusIdEEEE10hipError_tPvRmT2_T3_mT4_P12ihipStream_tbEUlT_E_NS1_11comp_targetILNS1_3genE4ELNS1_11target_archE910ELNS1_3gpuE8ELNS1_3repE0EEENS1_30default_config_static_selectorELNS0_4arch9wavefront6targetE1EEEvT1_
		.amdhsa_group_segment_fixed_size 0
		.amdhsa_private_segment_fixed_size 0
		.amdhsa_kernarg_size 56
		.amdhsa_user_sgpr_count 2
		.amdhsa_user_sgpr_dispatch_ptr 0
		.amdhsa_user_sgpr_queue_ptr 0
		.amdhsa_user_sgpr_kernarg_segment_ptr 1
		.amdhsa_user_sgpr_dispatch_id 0
		.amdhsa_user_sgpr_kernarg_preload_length 0
		.amdhsa_user_sgpr_kernarg_preload_offset 0
		.amdhsa_user_sgpr_private_segment_size 0
		.amdhsa_uses_dynamic_stack 0
		.amdhsa_enable_private_segment 0
		.amdhsa_system_sgpr_workgroup_id_x 1
		.amdhsa_system_sgpr_workgroup_id_y 0
		.amdhsa_system_sgpr_workgroup_id_z 0
		.amdhsa_system_sgpr_workgroup_info 0
		.amdhsa_system_vgpr_workitem_id 0
		.amdhsa_next_free_vgpr 1
		.amdhsa_next_free_sgpr 0
		.amdhsa_accum_offset 4
		.amdhsa_reserve_vcc 0
		.amdhsa_float_round_mode_32 0
		.amdhsa_float_round_mode_16_64 0
		.amdhsa_float_denorm_mode_32 3
		.amdhsa_float_denorm_mode_16_64 3
		.amdhsa_dx10_clamp 1
		.amdhsa_ieee_mode 1
		.amdhsa_fp16_overflow 0
		.amdhsa_tg_split 0
		.amdhsa_exception_fp_ieee_invalid_op 0
		.amdhsa_exception_fp_denorm_src 0
		.amdhsa_exception_fp_ieee_div_zero 0
		.amdhsa_exception_fp_ieee_overflow 0
		.amdhsa_exception_fp_ieee_underflow 0
		.amdhsa_exception_fp_ieee_inexact 0
		.amdhsa_exception_int_div_zero 0
	.end_amdhsa_kernel
	.section	.text._ZN7rocprim17ROCPRIM_400000_NS6detail17trampoline_kernelINS0_14default_configENS1_35adjacent_difference_config_selectorILb0EdEEZNS1_24adjacent_difference_implIS3_Lb0ELb0EPdS7_N6thrust23THRUST_200600_302600_NS4plusIdEEEE10hipError_tPvRmT2_T3_mT4_P12ihipStream_tbEUlT_E_NS1_11comp_targetILNS1_3genE4ELNS1_11target_archE910ELNS1_3gpuE8ELNS1_3repE0EEENS1_30default_config_static_selectorELNS0_4arch9wavefront6targetE1EEEvT1_,"axG",@progbits,_ZN7rocprim17ROCPRIM_400000_NS6detail17trampoline_kernelINS0_14default_configENS1_35adjacent_difference_config_selectorILb0EdEEZNS1_24adjacent_difference_implIS3_Lb0ELb0EPdS7_N6thrust23THRUST_200600_302600_NS4plusIdEEEE10hipError_tPvRmT2_T3_mT4_P12ihipStream_tbEUlT_E_NS1_11comp_targetILNS1_3genE4ELNS1_11target_archE910ELNS1_3gpuE8ELNS1_3repE0EEENS1_30default_config_static_selectorELNS0_4arch9wavefront6targetE1EEEvT1_,comdat
.Lfunc_end444:
	.size	_ZN7rocprim17ROCPRIM_400000_NS6detail17trampoline_kernelINS0_14default_configENS1_35adjacent_difference_config_selectorILb0EdEEZNS1_24adjacent_difference_implIS3_Lb0ELb0EPdS7_N6thrust23THRUST_200600_302600_NS4plusIdEEEE10hipError_tPvRmT2_T3_mT4_P12ihipStream_tbEUlT_E_NS1_11comp_targetILNS1_3genE4ELNS1_11target_archE910ELNS1_3gpuE8ELNS1_3repE0EEENS1_30default_config_static_selectorELNS0_4arch9wavefront6targetE1EEEvT1_, .Lfunc_end444-_ZN7rocprim17ROCPRIM_400000_NS6detail17trampoline_kernelINS0_14default_configENS1_35adjacent_difference_config_selectorILb0EdEEZNS1_24adjacent_difference_implIS3_Lb0ELb0EPdS7_N6thrust23THRUST_200600_302600_NS4plusIdEEEE10hipError_tPvRmT2_T3_mT4_P12ihipStream_tbEUlT_E_NS1_11comp_targetILNS1_3genE4ELNS1_11target_archE910ELNS1_3gpuE8ELNS1_3repE0EEENS1_30default_config_static_selectorELNS0_4arch9wavefront6targetE1EEEvT1_
                                        ; -- End function
	.section	.AMDGPU.csdata,"",@progbits
; Kernel info:
; codeLenInByte = 0
; NumSgprs: 6
; NumVgprs: 0
; NumAgprs: 0
; TotalNumVgprs: 0
; ScratchSize: 0
; MemoryBound: 0
; FloatMode: 240
; IeeeMode: 1
; LDSByteSize: 0 bytes/workgroup (compile time only)
; SGPRBlocks: 0
; VGPRBlocks: 0
; NumSGPRsForWavesPerEU: 6
; NumVGPRsForWavesPerEU: 1
; AccumOffset: 4
; Occupancy: 8
; WaveLimiterHint : 0
; COMPUTE_PGM_RSRC2:SCRATCH_EN: 0
; COMPUTE_PGM_RSRC2:USER_SGPR: 2
; COMPUTE_PGM_RSRC2:TRAP_HANDLER: 0
; COMPUTE_PGM_RSRC2:TGID_X_EN: 1
; COMPUTE_PGM_RSRC2:TGID_Y_EN: 0
; COMPUTE_PGM_RSRC2:TGID_Z_EN: 0
; COMPUTE_PGM_RSRC2:TIDIG_COMP_CNT: 0
; COMPUTE_PGM_RSRC3_GFX90A:ACCUM_OFFSET: 0
; COMPUTE_PGM_RSRC3_GFX90A:TG_SPLIT: 0
	.section	.text._ZN7rocprim17ROCPRIM_400000_NS6detail17trampoline_kernelINS0_14default_configENS1_35adjacent_difference_config_selectorILb0EdEEZNS1_24adjacent_difference_implIS3_Lb0ELb0EPdS7_N6thrust23THRUST_200600_302600_NS4plusIdEEEE10hipError_tPvRmT2_T3_mT4_P12ihipStream_tbEUlT_E_NS1_11comp_targetILNS1_3genE3ELNS1_11target_archE908ELNS1_3gpuE7ELNS1_3repE0EEENS1_30default_config_static_selectorELNS0_4arch9wavefront6targetE1EEEvT1_,"axG",@progbits,_ZN7rocprim17ROCPRIM_400000_NS6detail17trampoline_kernelINS0_14default_configENS1_35adjacent_difference_config_selectorILb0EdEEZNS1_24adjacent_difference_implIS3_Lb0ELb0EPdS7_N6thrust23THRUST_200600_302600_NS4plusIdEEEE10hipError_tPvRmT2_T3_mT4_P12ihipStream_tbEUlT_E_NS1_11comp_targetILNS1_3genE3ELNS1_11target_archE908ELNS1_3gpuE7ELNS1_3repE0EEENS1_30default_config_static_selectorELNS0_4arch9wavefront6targetE1EEEvT1_,comdat
	.protected	_ZN7rocprim17ROCPRIM_400000_NS6detail17trampoline_kernelINS0_14default_configENS1_35adjacent_difference_config_selectorILb0EdEEZNS1_24adjacent_difference_implIS3_Lb0ELb0EPdS7_N6thrust23THRUST_200600_302600_NS4plusIdEEEE10hipError_tPvRmT2_T3_mT4_P12ihipStream_tbEUlT_E_NS1_11comp_targetILNS1_3genE3ELNS1_11target_archE908ELNS1_3gpuE7ELNS1_3repE0EEENS1_30default_config_static_selectorELNS0_4arch9wavefront6targetE1EEEvT1_ ; -- Begin function _ZN7rocprim17ROCPRIM_400000_NS6detail17trampoline_kernelINS0_14default_configENS1_35adjacent_difference_config_selectorILb0EdEEZNS1_24adjacent_difference_implIS3_Lb0ELb0EPdS7_N6thrust23THRUST_200600_302600_NS4plusIdEEEE10hipError_tPvRmT2_T3_mT4_P12ihipStream_tbEUlT_E_NS1_11comp_targetILNS1_3genE3ELNS1_11target_archE908ELNS1_3gpuE7ELNS1_3repE0EEENS1_30default_config_static_selectorELNS0_4arch9wavefront6targetE1EEEvT1_
	.globl	_ZN7rocprim17ROCPRIM_400000_NS6detail17trampoline_kernelINS0_14default_configENS1_35adjacent_difference_config_selectorILb0EdEEZNS1_24adjacent_difference_implIS3_Lb0ELb0EPdS7_N6thrust23THRUST_200600_302600_NS4plusIdEEEE10hipError_tPvRmT2_T3_mT4_P12ihipStream_tbEUlT_E_NS1_11comp_targetILNS1_3genE3ELNS1_11target_archE908ELNS1_3gpuE7ELNS1_3repE0EEENS1_30default_config_static_selectorELNS0_4arch9wavefront6targetE1EEEvT1_
	.p2align	8
	.type	_ZN7rocprim17ROCPRIM_400000_NS6detail17trampoline_kernelINS0_14default_configENS1_35adjacent_difference_config_selectorILb0EdEEZNS1_24adjacent_difference_implIS3_Lb0ELb0EPdS7_N6thrust23THRUST_200600_302600_NS4plusIdEEEE10hipError_tPvRmT2_T3_mT4_P12ihipStream_tbEUlT_E_NS1_11comp_targetILNS1_3genE3ELNS1_11target_archE908ELNS1_3gpuE7ELNS1_3repE0EEENS1_30default_config_static_selectorELNS0_4arch9wavefront6targetE1EEEvT1_,@function
_ZN7rocprim17ROCPRIM_400000_NS6detail17trampoline_kernelINS0_14default_configENS1_35adjacent_difference_config_selectorILb0EdEEZNS1_24adjacent_difference_implIS3_Lb0ELb0EPdS7_N6thrust23THRUST_200600_302600_NS4plusIdEEEE10hipError_tPvRmT2_T3_mT4_P12ihipStream_tbEUlT_E_NS1_11comp_targetILNS1_3genE3ELNS1_11target_archE908ELNS1_3gpuE7ELNS1_3repE0EEENS1_30default_config_static_selectorELNS0_4arch9wavefront6targetE1EEEvT1_: ; @_ZN7rocprim17ROCPRIM_400000_NS6detail17trampoline_kernelINS0_14default_configENS1_35adjacent_difference_config_selectorILb0EdEEZNS1_24adjacent_difference_implIS3_Lb0ELb0EPdS7_N6thrust23THRUST_200600_302600_NS4plusIdEEEE10hipError_tPvRmT2_T3_mT4_P12ihipStream_tbEUlT_E_NS1_11comp_targetILNS1_3genE3ELNS1_11target_archE908ELNS1_3gpuE7ELNS1_3repE0EEENS1_30default_config_static_selectorELNS0_4arch9wavefront6targetE1EEEvT1_
; %bb.0:
	.section	.rodata,"a",@progbits
	.p2align	6, 0x0
	.amdhsa_kernel _ZN7rocprim17ROCPRIM_400000_NS6detail17trampoline_kernelINS0_14default_configENS1_35adjacent_difference_config_selectorILb0EdEEZNS1_24adjacent_difference_implIS3_Lb0ELb0EPdS7_N6thrust23THRUST_200600_302600_NS4plusIdEEEE10hipError_tPvRmT2_T3_mT4_P12ihipStream_tbEUlT_E_NS1_11comp_targetILNS1_3genE3ELNS1_11target_archE908ELNS1_3gpuE7ELNS1_3repE0EEENS1_30default_config_static_selectorELNS0_4arch9wavefront6targetE1EEEvT1_
		.amdhsa_group_segment_fixed_size 0
		.amdhsa_private_segment_fixed_size 0
		.amdhsa_kernarg_size 56
		.amdhsa_user_sgpr_count 2
		.amdhsa_user_sgpr_dispatch_ptr 0
		.amdhsa_user_sgpr_queue_ptr 0
		.amdhsa_user_sgpr_kernarg_segment_ptr 1
		.amdhsa_user_sgpr_dispatch_id 0
		.amdhsa_user_sgpr_kernarg_preload_length 0
		.amdhsa_user_sgpr_kernarg_preload_offset 0
		.amdhsa_user_sgpr_private_segment_size 0
		.amdhsa_uses_dynamic_stack 0
		.amdhsa_enable_private_segment 0
		.amdhsa_system_sgpr_workgroup_id_x 1
		.amdhsa_system_sgpr_workgroup_id_y 0
		.amdhsa_system_sgpr_workgroup_id_z 0
		.amdhsa_system_sgpr_workgroup_info 0
		.amdhsa_system_vgpr_workitem_id 0
		.amdhsa_next_free_vgpr 1
		.amdhsa_next_free_sgpr 0
		.amdhsa_accum_offset 4
		.amdhsa_reserve_vcc 0
		.amdhsa_float_round_mode_32 0
		.amdhsa_float_round_mode_16_64 0
		.amdhsa_float_denorm_mode_32 3
		.amdhsa_float_denorm_mode_16_64 3
		.amdhsa_dx10_clamp 1
		.amdhsa_ieee_mode 1
		.amdhsa_fp16_overflow 0
		.amdhsa_tg_split 0
		.amdhsa_exception_fp_ieee_invalid_op 0
		.amdhsa_exception_fp_denorm_src 0
		.amdhsa_exception_fp_ieee_div_zero 0
		.amdhsa_exception_fp_ieee_overflow 0
		.amdhsa_exception_fp_ieee_underflow 0
		.amdhsa_exception_fp_ieee_inexact 0
		.amdhsa_exception_int_div_zero 0
	.end_amdhsa_kernel
	.section	.text._ZN7rocprim17ROCPRIM_400000_NS6detail17trampoline_kernelINS0_14default_configENS1_35adjacent_difference_config_selectorILb0EdEEZNS1_24adjacent_difference_implIS3_Lb0ELb0EPdS7_N6thrust23THRUST_200600_302600_NS4plusIdEEEE10hipError_tPvRmT2_T3_mT4_P12ihipStream_tbEUlT_E_NS1_11comp_targetILNS1_3genE3ELNS1_11target_archE908ELNS1_3gpuE7ELNS1_3repE0EEENS1_30default_config_static_selectorELNS0_4arch9wavefront6targetE1EEEvT1_,"axG",@progbits,_ZN7rocprim17ROCPRIM_400000_NS6detail17trampoline_kernelINS0_14default_configENS1_35adjacent_difference_config_selectorILb0EdEEZNS1_24adjacent_difference_implIS3_Lb0ELb0EPdS7_N6thrust23THRUST_200600_302600_NS4plusIdEEEE10hipError_tPvRmT2_T3_mT4_P12ihipStream_tbEUlT_E_NS1_11comp_targetILNS1_3genE3ELNS1_11target_archE908ELNS1_3gpuE7ELNS1_3repE0EEENS1_30default_config_static_selectorELNS0_4arch9wavefront6targetE1EEEvT1_,comdat
.Lfunc_end445:
	.size	_ZN7rocprim17ROCPRIM_400000_NS6detail17trampoline_kernelINS0_14default_configENS1_35adjacent_difference_config_selectorILb0EdEEZNS1_24adjacent_difference_implIS3_Lb0ELb0EPdS7_N6thrust23THRUST_200600_302600_NS4plusIdEEEE10hipError_tPvRmT2_T3_mT4_P12ihipStream_tbEUlT_E_NS1_11comp_targetILNS1_3genE3ELNS1_11target_archE908ELNS1_3gpuE7ELNS1_3repE0EEENS1_30default_config_static_selectorELNS0_4arch9wavefront6targetE1EEEvT1_, .Lfunc_end445-_ZN7rocprim17ROCPRIM_400000_NS6detail17trampoline_kernelINS0_14default_configENS1_35adjacent_difference_config_selectorILb0EdEEZNS1_24adjacent_difference_implIS3_Lb0ELb0EPdS7_N6thrust23THRUST_200600_302600_NS4plusIdEEEE10hipError_tPvRmT2_T3_mT4_P12ihipStream_tbEUlT_E_NS1_11comp_targetILNS1_3genE3ELNS1_11target_archE908ELNS1_3gpuE7ELNS1_3repE0EEENS1_30default_config_static_selectorELNS0_4arch9wavefront6targetE1EEEvT1_
                                        ; -- End function
	.section	.AMDGPU.csdata,"",@progbits
; Kernel info:
; codeLenInByte = 0
; NumSgprs: 6
; NumVgprs: 0
; NumAgprs: 0
; TotalNumVgprs: 0
; ScratchSize: 0
; MemoryBound: 0
; FloatMode: 240
; IeeeMode: 1
; LDSByteSize: 0 bytes/workgroup (compile time only)
; SGPRBlocks: 0
; VGPRBlocks: 0
; NumSGPRsForWavesPerEU: 6
; NumVGPRsForWavesPerEU: 1
; AccumOffset: 4
; Occupancy: 8
; WaveLimiterHint : 0
; COMPUTE_PGM_RSRC2:SCRATCH_EN: 0
; COMPUTE_PGM_RSRC2:USER_SGPR: 2
; COMPUTE_PGM_RSRC2:TRAP_HANDLER: 0
; COMPUTE_PGM_RSRC2:TGID_X_EN: 1
; COMPUTE_PGM_RSRC2:TGID_Y_EN: 0
; COMPUTE_PGM_RSRC2:TGID_Z_EN: 0
; COMPUTE_PGM_RSRC2:TIDIG_COMP_CNT: 0
; COMPUTE_PGM_RSRC3_GFX90A:ACCUM_OFFSET: 0
; COMPUTE_PGM_RSRC3_GFX90A:TG_SPLIT: 0
	.section	.text._ZN7rocprim17ROCPRIM_400000_NS6detail17trampoline_kernelINS0_14default_configENS1_35adjacent_difference_config_selectorILb0EdEEZNS1_24adjacent_difference_implIS3_Lb0ELb0EPdS7_N6thrust23THRUST_200600_302600_NS4plusIdEEEE10hipError_tPvRmT2_T3_mT4_P12ihipStream_tbEUlT_E_NS1_11comp_targetILNS1_3genE2ELNS1_11target_archE906ELNS1_3gpuE6ELNS1_3repE0EEENS1_30default_config_static_selectorELNS0_4arch9wavefront6targetE1EEEvT1_,"axG",@progbits,_ZN7rocprim17ROCPRIM_400000_NS6detail17trampoline_kernelINS0_14default_configENS1_35adjacent_difference_config_selectorILb0EdEEZNS1_24adjacent_difference_implIS3_Lb0ELb0EPdS7_N6thrust23THRUST_200600_302600_NS4plusIdEEEE10hipError_tPvRmT2_T3_mT4_P12ihipStream_tbEUlT_E_NS1_11comp_targetILNS1_3genE2ELNS1_11target_archE906ELNS1_3gpuE6ELNS1_3repE0EEENS1_30default_config_static_selectorELNS0_4arch9wavefront6targetE1EEEvT1_,comdat
	.protected	_ZN7rocprim17ROCPRIM_400000_NS6detail17trampoline_kernelINS0_14default_configENS1_35adjacent_difference_config_selectorILb0EdEEZNS1_24adjacent_difference_implIS3_Lb0ELb0EPdS7_N6thrust23THRUST_200600_302600_NS4plusIdEEEE10hipError_tPvRmT2_T3_mT4_P12ihipStream_tbEUlT_E_NS1_11comp_targetILNS1_3genE2ELNS1_11target_archE906ELNS1_3gpuE6ELNS1_3repE0EEENS1_30default_config_static_selectorELNS0_4arch9wavefront6targetE1EEEvT1_ ; -- Begin function _ZN7rocprim17ROCPRIM_400000_NS6detail17trampoline_kernelINS0_14default_configENS1_35adjacent_difference_config_selectorILb0EdEEZNS1_24adjacent_difference_implIS3_Lb0ELb0EPdS7_N6thrust23THRUST_200600_302600_NS4plusIdEEEE10hipError_tPvRmT2_T3_mT4_P12ihipStream_tbEUlT_E_NS1_11comp_targetILNS1_3genE2ELNS1_11target_archE906ELNS1_3gpuE6ELNS1_3repE0EEENS1_30default_config_static_selectorELNS0_4arch9wavefront6targetE1EEEvT1_
	.globl	_ZN7rocprim17ROCPRIM_400000_NS6detail17trampoline_kernelINS0_14default_configENS1_35adjacent_difference_config_selectorILb0EdEEZNS1_24adjacent_difference_implIS3_Lb0ELb0EPdS7_N6thrust23THRUST_200600_302600_NS4plusIdEEEE10hipError_tPvRmT2_T3_mT4_P12ihipStream_tbEUlT_E_NS1_11comp_targetILNS1_3genE2ELNS1_11target_archE906ELNS1_3gpuE6ELNS1_3repE0EEENS1_30default_config_static_selectorELNS0_4arch9wavefront6targetE1EEEvT1_
	.p2align	8
	.type	_ZN7rocprim17ROCPRIM_400000_NS6detail17trampoline_kernelINS0_14default_configENS1_35adjacent_difference_config_selectorILb0EdEEZNS1_24adjacent_difference_implIS3_Lb0ELb0EPdS7_N6thrust23THRUST_200600_302600_NS4plusIdEEEE10hipError_tPvRmT2_T3_mT4_P12ihipStream_tbEUlT_E_NS1_11comp_targetILNS1_3genE2ELNS1_11target_archE906ELNS1_3gpuE6ELNS1_3repE0EEENS1_30default_config_static_selectorELNS0_4arch9wavefront6targetE1EEEvT1_,@function
_ZN7rocprim17ROCPRIM_400000_NS6detail17trampoline_kernelINS0_14default_configENS1_35adjacent_difference_config_selectorILb0EdEEZNS1_24adjacent_difference_implIS3_Lb0ELb0EPdS7_N6thrust23THRUST_200600_302600_NS4plusIdEEEE10hipError_tPvRmT2_T3_mT4_P12ihipStream_tbEUlT_E_NS1_11comp_targetILNS1_3genE2ELNS1_11target_archE906ELNS1_3gpuE6ELNS1_3repE0EEENS1_30default_config_static_selectorELNS0_4arch9wavefront6targetE1EEEvT1_: ; @_ZN7rocprim17ROCPRIM_400000_NS6detail17trampoline_kernelINS0_14default_configENS1_35adjacent_difference_config_selectorILb0EdEEZNS1_24adjacent_difference_implIS3_Lb0ELb0EPdS7_N6thrust23THRUST_200600_302600_NS4plusIdEEEE10hipError_tPvRmT2_T3_mT4_P12ihipStream_tbEUlT_E_NS1_11comp_targetILNS1_3genE2ELNS1_11target_archE906ELNS1_3gpuE6ELNS1_3repE0EEENS1_30default_config_static_selectorELNS0_4arch9wavefront6targetE1EEEvT1_
; %bb.0:
	.section	.rodata,"a",@progbits
	.p2align	6, 0x0
	.amdhsa_kernel _ZN7rocprim17ROCPRIM_400000_NS6detail17trampoline_kernelINS0_14default_configENS1_35adjacent_difference_config_selectorILb0EdEEZNS1_24adjacent_difference_implIS3_Lb0ELb0EPdS7_N6thrust23THRUST_200600_302600_NS4plusIdEEEE10hipError_tPvRmT2_T3_mT4_P12ihipStream_tbEUlT_E_NS1_11comp_targetILNS1_3genE2ELNS1_11target_archE906ELNS1_3gpuE6ELNS1_3repE0EEENS1_30default_config_static_selectorELNS0_4arch9wavefront6targetE1EEEvT1_
		.amdhsa_group_segment_fixed_size 0
		.amdhsa_private_segment_fixed_size 0
		.amdhsa_kernarg_size 56
		.amdhsa_user_sgpr_count 2
		.amdhsa_user_sgpr_dispatch_ptr 0
		.amdhsa_user_sgpr_queue_ptr 0
		.amdhsa_user_sgpr_kernarg_segment_ptr 1
		.amdhsa_user_sgpr_dispatch_id 0
		.amdhsa_user_sgpr_kernarg_preload_length 0
		.amdhsa_user_sgpr_kernarg_preload_offset 0
		.amdhsa_user_sgpr_private_segment_size 0
		.amdhsa_uses_dynamic_stack 0
		.amdhsa_enable_private_segment 0
		.amdhsa_system_sgpr_workgroup_id_x 1
		.amdhsa_system_sgpr_workgroup_id_y 0
		.amdhsa_system_sgpr_workgroup_id_z 0
		.amdhsa_system_sgpr_workgroup_info 0
		.amdhsa_system_vgpr_workitem_id 0
		.amdhsa_next_free_vgpr 1
		.amdhsa_next_free_sgpr 0
		.amdhsa_accum_offset 4
		.amdhsa_reserve_vcc 0
		.amdhsa_float_round_mode_32 0
		.amdhsa_float_round_mode_16_64 0
		.amdhsa_float_denorm_mode_32 3
		.amdhsa_float_denorm_mode_16_64 3
		.amdhsa_dx10_clamp 1
		.amdhsa_ieee_mode 1
		.amdhsa_fp16_overflow 0
		.amdhsa_tg_split 0
		.amdhsa_exception_fp_ieee_invalid_op 0
		.amdhsa_exception_fp_denorm_src 0
		.amdhsa_exception_fp_ieee_div_zero 0
		.amdhsa_exception_fp_ieee_overflow 0
		.amdhsa_exception_fp_ieee_underflow 0
		.amdhsa_exception_fp_ieee_inexact 0
		.amdhsa_exception_int_div_zero 0
	.end_amdhsa_kernel
	.section	.text._ZN7rocprim17ROCPRIM_400000_NS6detail17trampoline_kernelINS0_14default_configENS1_35adjacent_difference_config_selectorILb0EdEEZNS1_24adjacent_difference_implIS3_Lb0ELb0EPdS7_N6thrust23THRUST_200600_302600_NS4plusIdEEEE10hipError_tPvRmT2_T3_mT4_P12ihipStream_tbEUlT_E_NS1_11comp_targetILNS1_3genE2ELNS1_11target_archE906ELNS1_3gpuE6ELNS1_3repE0EEENS1_30default_config_static_selectorELNS0_4arch9wavefront6targetE1EEEvT1_,"axG",@progbits,_ZN7rocprim17ROCPRIM_400000_NS6detail17trampoline_kernelINS0_14default_configENS1_35adjacent_difference_config_selectorILb0EdEEZNS1_24adjacent_difference_implIS3_Lb0ELb0EPdS7_N6thrust23THRUST_200600_302600_NS4plusIdEEEE10hipError_tPvRmT2_T3_mT4_P12ihipStream_tbEUlT_E_NS1_11comp_targetILNS1_3genE2ELNS1_11target_archE906ELNS1_3gpuE6ELNS1_3repE0EEENS1_30default_config_static_selectorELNS0_4arch9wavefront6targetE1EEEvT1_,comdat
.Lfunc_end446:
	.size	_ZN7rocprim17ROCPRIM_400000_NS6detail17trampoline_kernelINS0_14default_configENS1_35adjacent_difference_config_selectorILb0EdEEZNS1_24adjacent_difference_implIS3_Lb0ELb0EPdS7_N6thrust23THRUST_200600_302600_NS4plusIdEEEE10hipError_tPvRmT2_T3_mT4_P12ihipStream_tbEUlT_E_NS1_11comp_targetILNS1_3genE2ELNS1_11target_archE906ELNS1_3gpuE6ELNS1_3repE0EEENS1_30default_config_static_selectorELNS0_4arch9wavefront6targetE1EEEvT1_, .Lfunc_end446-_ZN7rocprim17ROCPRIM_400000_NS6detail17trampoline_kernelINS0_14default_configENS1_35adjacent_difference_config_selectorILb0EdEEZNS1_24adjacent_difference_implIS3_Lb0ELb0EPdS7_N6thrust23THRUST_200600_302600_NS4plusIdEEEE10hipError_tPvRmT2_T3_mT4_P12ihipStream_tbEUlT_E_NS1_11comp_targetILNS1_3genE2ELNS1_11target_archE906ELNS1_3gpuE6ELNS1_3repE0EEENS1_30default_config_static_selectorELNS0_4arch9wavefront6targetE1EEEvT1_
                                        ; -- End function
	.section	.AMDGPU.csdata,"",@progbits
; Kernel info:
; codeLenInByte = 0
; NumSgprs: 6
; NumVgprs: 0
; NumAgprs: 0
; TotalNumVgprs: 0
; ScratchSize: 0
; MemoryBound: 0
; FloatMode: 240
; IeeeMode: 1
; LDSByteSize: 0 bytes/workgroup (compile time only)
; SGPRBlocks: 0
; VGPRBlocks: 0
; NumSGPRsForWavesPerEU: 6
; NumVGPRsForWavesPerEU: 1
; AccumOffset: 4
; Occupancy: 8
; WaveLimiterHint : 0
; COMPUTE_PGM_RSRC2:SCRATCH_EN: 0
; COMPUTE_PGM_RSRC2:USER_SGPR: 2
; COMPUTE_PGM_RSRC2:TRAP_HANDLER: 0
; COMPUTE_PGM_RSRC2:TGID_X_EN: 1
; COMPUTE_PGM_RSRC2:TGID_Y_EN: 0
; COMPUTE_PGM_RSRC2:TGID_Z_EN: 0
; COMPUTE_PGM_RSRC2:TIDIG_COMP_CNT: 0
; COMPUTE_PGM_RSRC3_GFX90A:ACCUM_OFFSET: 0
; COMPUTE_PGM_RSRC3_GFX90A:TG_SPLIT: 0
	.section	.text._ZN7rocprim17ROCPRIM_400000_NS6detail17trampoline_kernelINS0_14default_configENS1_35adjacent_difference_config_selectorILb0EdEEZNS1_24adjacent_difference_implIS3_Lb0ELb0EPdS7_N6thrust23THRUST_200600_302600_NS4plusIdEEEE10hipError_tPvRmT2_T3_mT4_P12ihipStream_tbEUlT_E_NS1_11comp_targetILNS1_3genE9ELNS1_11target_archE1100ELNS1_3gpuE3ELNS1_3repE0EEENS1_30default_config_static_selectorELNS0_4arch9wavefront6targetE1EEEvT1_,"axG",@progbits,_ZN7rocprim17ROCPRIM_400000_NS6detail17trampoline_kernelINS0_14default_configENS1_35adjacent_difference_config_selectorILb0EdEEZNS1_24adjacent_difference_implIS3_Lb0ELb0EPdS7_N6thrust23THRUST_200600_302600_NS4plusIdEEEE10hipError_tPvRmT2_T3_mT4_P12ihipStream_tbEUlT_E_NS1_11comp_targetILNS1_3genE9ELNS1_11target_archE1100ELNS1_3gpuE3ELNS1_3repE0EEENS1_30default_config_static_selectorELNS0_4arch9wavefront6targetE1EEEvT1_,comdat
	.protected	_ZN7rocprim17ROCPRIM_400000_NS6detail17trampoline_kernelINS0_14default_configENS1_35adjacent_difference_config_selectorILb0EdEEZNS1_24adjacent_difference_implIS3_Lb0ELb0EPdS7_N6thrust23THRUST_200600_302600_NS4plusIdEEEE10hipError_tPvRmT2_T3_mT4_P12ihipStream_tbEUlT_E_NS1_11comp_targetILNS1_3genE9ELNS1_11target_archE1100ELNS1_3gpuE3ELNS1_3repE0EEENS1_30default_config_static_selectorELNS0_4arch9wavefront6targetE1EEEvT1_ ; -- Begin function _ZN7rocprim17ROCPRIM_400000_NS6detail17trampoline_kernelINS0_14default_configENS1_35adjacent_difference_config_selectorILb0EdEEZNS1_24adjacent_difference_implIS3_Lb0ELb0EPdS7_N6thrust23THRUST_200600_302600_NS4plusIdEEEE10hipError_tPvRmT2_T3_mT4_P12ihipStream_tbEUlT_E_NS1_11comp_targetILNS1_3genE9ELNS1_11target_archE1100ELNS1_3gpuE3ELNS1_3repE0EEENS1_30default_config_static_selectorELNS0_4arch9wavefront6targetE1EEEvT1_
	.globl	_ZN7rocprim17ROCPRIM_400000_NS6detail17trampoline_kernelINS0_14default_configENS1_35adjacent_difference_config_selectorILb0EdEEZNS1_24adjacent_difference_implIS3_Lb0ELb0EPdS7_N6thrust23THRUST_200600_302600_NS4plusIdEEEE10hipError_tPvRmT2_T3_mT4_P12ihipStream_tbEUlT_E_NS1_11comp_targetILNS1_3genE9ELNS1_11target_archE1100ELNS1_3gpuE3ELNS1_3repE0EEENS1_30default_config_static_selectorELNS0_4arch9wavefront6targetE1EEEvT1_
	.p2align	8
	.type	_ZN7rocprim17ROCPRIM_400000_NS6detail17trampoline_kernelINS0_14default_configENS1_35adjacent_difference_config_selectorILb0EdEEZNS1_24adjacent_difference_implIS3_Lb0ELb0EPdS7_N6thrust23THRUST_200600_302600_NS4plusIdEEEE10hipError_tPvRmT2_T3_mT4_P12ihipStream_tbEUlT_E_NS1_11comp_targetILNS1_3genE9ELNS1_11target_archE1100ELNS1_3gpuE3ELNS1_3repE0EEENS1_30default_config_static_selectorELNS0_4arch9wavefront6targetE1EEEvT1_,@function
_ZN7rocprim17ROCPRIM_400000_NS6detail17trampoline_kernelINS0_14default_configENS1_35adjacent_difference_config_selectorILb0EdEEZNS1_24adjacent_difference_implIS3_Lb0ELb0EPdS7_N6thrust23THRUST_200600_302600_NS4plusIdEEEE10hipError_tPvRmT2_T3_mT4_P12ihipStream_tbEUlT_E_NS1_11comp_targetILNS1_3genE9ELNS1_11target_archE1100ELNS1_3gpuE3ELNS1_3repE0EEENS1_30default_config_static_selectorELNS0_4arch9wavefront6targetE1EEEvT1_: ; @_ZN7rocprim17ROCPRIM_400000_NS6detail17trampoline_kernelINS0_14default_configENS1_35adjacent_difference_config_selectorILb0EdEEZNS1_24adjacent_difference_implIS3_Lb0ELb0EPdS7_N6thrust23THRUST_200600_302600_NS4plusIdEEEE10hipError_tPvRmT2_T3_mT4_P12ihipStream_tbEUlT_E_NS1_11comp_targetILNS1_3genE9ELNS1_11target_archE1100ELNS1_3gpuE3ELNS1_3repE0EEENS1_30default_config_static_selectorELNS0_4arch9wavefront6targetE1EEEvT1_
; %bb.0:
	.section	.rodata,"a",@progbits
	.p2align	6, 0x0
	.amdhsa_kernel _ZN7rocprim17ROCPRIM_400000_NS6detail17trampoline_kernelINS0_14default_configENS1_35adjacent_difference_config_selectorILb0EdEEZNS1_24adjacent_difference_implIS3_Lb0ELb0EPdS7_N6thrust23THRUST_200600_302600_NS4plusIdEEEE10hipError_tPvRmT2_T3_mT4_P12ihipStream_tbEUlT_E_NS1_11comp_targetILNS1_3genE9ELNS1_11target_archE1100ELNS1_3gpuE3ELNS1_3repE0EEENS1_30default_config_static_selectorELNS0_4arch9wavefront6targetE1EEEvT1_
		.amdhsa_group_segment_fixed_size 0
		.amdhsa_private_segment_fixed_size 0
		.amdhsa_kernarg_size 56
		.amdhsa_user_sgpr_count 2
		.amdhsa_user_sgpr_dispatch_ptr 0
		.amdhsa_user_sgpr_queue_ptr 0
		.amdhsa_user_sgpr_kernarg_segment_ptr 1
		.amdhsa_user_sgpr_dispatch_id 0
		.amdhsa_user_sgpr_kernarg_preload_length 0
		.amdhsa_user_sgpr_kernarg_preload_offset 0
		.amdhsa_user_sgpr_private_segment_size 0
		.amdhsa_uses_dynamic_stack 0
		.amdhsa_enable_private_segment 0
		.amdhsa_system_sgpr_workgroup_id_x 1
		.amdhsa_system_sgpr_workgroup_id_y 0
		.amdhsa_system_sgpr_workgroup_id_z 0
		.amdhsa_system_sgpr_workgroup_info 0
		.amdhsa_system_vgpr_workitem_id 0
		.amdhsa_next_free_vgpr 1
		.amdhsa_next_free_sgpr 0
		.amdhsa_accum_offset 4
		.amdhsa_reserve_vcc 0
		.amdhsa_float_round_mode_32 0
		.amdhsa_float_round_mode_16_64 0
		.amdhsa_float_denorm_mode_32 3
		.amdhsa_float_denorm_mode_16_64 3
		.amdhsa_dx10_clamp 1
		.amdhsa_ieee_mode 1
		.amdhsa_fp16_overflow 0
		.amdhsa_tg_split 0
		.amdhsa_exception_fp_ieee_invalid_op 0
		.amdhsa_exception_fp_denorm_src 0
		.amdhsa_exception_fp_ieee_div_zero 0
		.amdhsa_exception_fp_ieee_overflow 0
		.amdhsa_exception_fp_ieee_underflow 0
		.amdhsa_exception_fp_ieee_inexact 0
		.amdhsa_exception_int_div_zero 0
	.end_amdhsa_kernel
	.section	.text._ZN7rocprim17ROCPRIM_400000_NS6detail17trampoline_kernelINS0_14default_configENS1_35adjacent_difference_config_selectorILb0EdEEZNS1_24adjacent_difference_implIS3_Lb0ELb0EPdS7_N6thrust23THRUST_200600_302600_NS4plusIdEEEE10hipError_tPvRmT2_T3_mT4_P12ihipStream_tbEUlT_E_NS1_11comp_targetILNS1_3genE9ELNS1_11target_archE1100ELNS1_3gpuE3ELNS1_3repE0EEENS1_30default_config_static_selectorELNS0_4arch9wavefront6targetE1EEEvT1_,"axG",@progbits,_ZN7rocprim17ROCPRIM_400000_NS6detail17trampoline_kernelINS0_14default_configENS1_35adjacent_difference_config_selectorILb0EdEEZNS1_24adjacent_difference_implIS3_Lb0ELb0EPdS7_N6thrust23THRUST_200600_302600_NS4plusIdEEEE10hipError_tPvRmT2_T3_mT4_P12ihipStream_tbEUlT_E_NS1_11comp_targetILNS1_3genE9ELNS1_11target_archE1100ELNS1_3gpuE3ELNS1_3repE0EEENS1_30default_config_static_selectorELNS0_4arch9wavefront6targetE1EEEvT1_,comdat
.Lfunc_end447:
	.size	_ZN7rocprim17ROCPRIM_400000_NS6detail17trampoline_kernelINS0_14default_configENS1_35adjacent_difference_config_selectorILb0EdEEZNS1_24adjacent_difference_implIS3_Lb0ELb0EPdS7_N6thrust23THRUST_200600_302600_NS4plusIdEEEE10hipError_tPvRmT2_T3_mT4_P12ihipStream_tbEUlT_E_NS1_11comp_targetILNS1_3genE9ELNS1_11target_archE1100ELNS1_3gpuE3ELNS1_3repE0EEENS1_30default_config_static_selectorELNS0_4arch9wavefront6targetE1EEEvT1_, .Lfunc_end447-_ZN7rocprim17ROCPRIM_400000_NS6detail17trampoline_kernelINS0_14default_configENS1_35adjacent_difference_config_selectorILb0EdEEZNS1_24adjacent_difference_implIS3_Lb0ELb0EPdS7_N6thrust23THRUST_200600_302600_NS4plusIdEEEE10hipError_tPvRmT2_T3_mT4_P12ihipStream_tbEUlT_E_NS1_11comp_targetILNS1_3genE9ELNS1_11target_archE1100ELNS1_3gpuE3ELNS1_3repE0EEENS1_30default_config_static_selectorELNS0_4arch9wavefront6targetE1EEEvT1_
                                        ; -- End function
	.section	.AMDGPU.csdata,"",@progbits
; Kernel info:
; codeLenInByte = 0
; NumSgprs: 6
; NumVgprs: 0
; NumAgprs: 0
; TotalNumVgprs: 0
; ScratchSize: 0
; MemoryBound: 0
; FloatMode: 240
; IeeeMode: 1
; LDSByteSize: 0 bytes/workgroup (compile time only)
; SGPRBlocks: 0
; VGPRBlocks: 0
; NumSGPRsForWavesPerEU: 6
; NumVGPRsForWavesPerEU: 1
; AccumOffset: 4
; Occupancy: 8
; WaveLimiterHint : 0
; COMPUTE_PGM_RSRC2:SCRATCH_EN: 0
; COMPUTE_PGM_RSRC2:USER_SGPR: 2
; COMPUTE_PGM_RSRC2:TRAP_HANDLER: 0
; COMPUTE_PGM_RSRC2:TGID_X_EN: 1
; COMPUTE_PGM_RSRC2:TGID_Y_EN: 0
; COMPUTE_PGM_RSRC2:TGID_Z_EN: 0
; COMPUTE_PGM_RSRC2:TIDIG_COMP_CNT: 0
; COMPUTE_PGM_RSRC3_GFX90A:ACCUM_OFFSET: 0
; COMPUTE_PGM_RSRC3_GFX90A:TG_SPLIT: 0
	.section	.text._ZN7rocprim17ROCPRIM_400000_NS6detail17trampoline_kernelINS0_14default_configENS1_35adjacent_difference_config_selectorILb0EdEEZNS1_24adjacent_difference_implIS3_Lb0ELb0EPdS7_N6thrust23THRUST_200600_302600_NS4plusIdEEEE10hipError_tPvRmT2_T3_mT4_P12ihipStream_tbEUlT_E_NS1_11comp_targetILNS1_3genE8ELNS1_11target_archE1030ELNS1_3gpuE2ELNS1_3repE0EEENS1_30default_config_static_selectorELNS0_4arch9wavefront6targetE1EEEvT1_,"axG",@progbits,_ZN7rocprim17ROCPRIM_400000_NS6detail17trampoline_kernelINS0_14default_configENS1_35adjacent_difference_config_selectorILb0EdEEZNS1_24adjacent_difference_implIS3_Lb0ELb0EPdS7_N6thrust23THRUST_200600_302600_NS4plusIdEEEE10hipError_tPvRmT2_T3_mT4_P12ihipStream_tbEUlT_E_NS1_11comp_targetILNS1_3genE8ELNS1_11target_archE1030ELNS1_3gpuE2ELNS1_3repE0EEENS1_30default_config_static_selectorELNS0_4arch9wavefront6targetE1EEEvT1_,comdat
	.protected	_ZN7rocprim17ROCPRIM_400000_NS6detail17trampoline_kernelINS0_14default_configENS1_35adjacent_difference_config_selectorILb0EdEEZNS1_24adjacent_difference_implIS3_Lb0ELb0EPdS7_N6thrust23THRUST_200600_302600_NS4plusIdEEEE10hipError_tPvRmT2_T3_mT4_P12ihipStream_tbEUlT_E_NS1_11comp_targetILNS1_3genE8ELNS1_11target_archE1030ELNS1_3gpuE2ELNS1_3repE0EEENS1_30default_config_static_selectorELNS0_4arch9wavefront6targetE1EEEvT1_ ; -- Begin function _ZN7rocprim17ROCPRIM_400000_NS6detail17trampoline_kernelINS0_14default_configENS1_35adjacent_difference_config_selectorILb0EdEEZNS1_24adjacent_difference_implIS3_Lb0ELb0EPdS7_N6thrust23THRUST_200600_302600_NS4plusIdEEEE10hipError_tPvRmT2_T3_mT4_P12ihipStream_tbEUlT_E_NS1_11comp_targetILNS1_3genE8ELNS1_11target_archE1030ELNS1_3gpuE2ELNS1_3repE0EEENS1_30default_config_static_selectorELNS0_4arch9wavefront6targetE1EEEvT1_
	.globl	_ZN7rocprim17ROCPRIM_400000_NS6detail17trampoline_kernelINS0_14default_configENS1_35adjacent_difference_config_selectorILb0EdEEZNS1_24adjacent_difference_implIS3_Lb0ELb0EPdS7_N6thrust23THRUST_200600_302600_NS4plusIdEEEE10hipError_tPvRmT2_T3_mT4_P12ihipStream_tbEUlT_E_NS1_11comp_targetILNS1_3genE8ELNS1_11target_archE1030ELNS1_3gpuE2ELNS1_3repE0EEENS1_30default_config_static_selectorELNS0_4arch9wavefront6targetE1EEEvT1_
	.p2align	8
	.type	_ZN7rocprim17ROCPRIM_400000_NS6detail17trampoline_kernelINS0_14default_configENS1_35adjacent_difference_config_selectorILb0EdEEZNS1_24adjacent_difference_implIS3_Lb0ELb0EPdS7_N6thrust23THRUST_200600_302600_NS4plusIdEEEE10hipError_tPvRmT2_T3_mT4_P12ihipStream_tbEUlT_E_NS1_11comp_targetILNS1_3genE8ELNS1_11target_archE1030ELNS1_3gpuE2ELNS1_3repE0EEENS1_30default_config_static_selectorELNS0_4arch9wavefront6targetE1EEEvT1_,@function
_ZN7rocprim17ROCPRIM_400000_NS6detail17trampoline_kernelINS0_14default_configENS1_35adjacent_difference_config_selectorILb0EdEEZNS1_24adjacent_difference_implIS3_Lb0ELb0EPdS7_N6thrust23THRUST_200600_302600_NS4plusIdEEEE10hipError_tPvRmT2_T3_mT4_P12ihipStream_tbEUlT_E_NS1_11comp_targetILNS1_3genE8ELNS1_11target_archE1030ELNS1_3gpuE2ELNS1_3repE0EEENS1_30default_config_static_selectorELNS0_4arch9wavefront6targetE1EEEvT1_: ; @_ZN7rocprim17ROCPRIM_400000_NS6detail17trampoline_kernelINS0_14default_configENS1_35adjacent_difference_config_selectorILb0EdEEZNS1_24adjacent_difference_implIS3_Lb0ELb0EPdS7_N6thrust23THRUST_200600_302600_NS4plusIdEEEE10hipError_tPvRmT2_T3_mT4_P12ihipStream_tbEUlT_E_NS1_11comp_targetILNS1_3genE8ELNS1_11target_archE1030ELNS1_3gpuE2ELNS1_3repE0EEENS1_30default_config_static_selectorELNS0_4arch9wavefront6targetE1EEEvT1_
; %bb.0:
	.section	.rodata,"a",@progbits
	.p2align	6, 0x0
	.amdhsa_kernel _ZN7rocprim17ROCPRIM_400000_NS6detail17trampoline_kernelINS0_14default_configENS1_35adjacent_difference_config_selectorILb0EdEEZNS1_24adjacent_difference_implIS3_Lb0ELb0EPdS7_N6thrust23THRUST_200600_302600_NS4plusIdEEEE10hipError_tPvRmT2_T3_mT4_P12ihipStream_tbEUlT_E_NS1_11comp_targetILNS1_3genE8ELNS1_11target_archE1030ELNS1_3gpuE2ELNS1_3repE0EEENS1_30default_config_static_selectorELNS0_4arch9wavefront6targetE1EEEvT1_
		.amdhsa_group_segment_fixed_size 0
		.amdhsa_private_segment_fixed_size 0
		.amdhsa_kernarg_size 56
		.amdhsa_user_sgpr_count 2
		.amdhsa_user_sgpr_dispatch_ptr 0
		.amdhsa_user_sgpr_queue_ptr 0
		.amdhsa_user_sgpr_kernarg_segment_ptr 1
		.amdhsa_user_sgpr_dispatch_id 0
		.amdhsa_user_sgpr_kernarg_preload_length 0
		.amdhsa_user_sgpr_kernarg_preload_offset 0
		.amdhsa_user_sgpr_private_segment_size 0
		.amdhsa_uses_dynamic_stack 0
		.amdhsa_enable_private_segment 0
		.amdhsa_system_sgpr_workgroup_id_x 1
		.amdhsa_system_sgpr_workgroup_id_y 0
		.amdhsa_system_sgpr_workgroup_id_z 0
		.amdhsa_system_sgpr_workgroup_info 0
		.amdhsa_system_vgpr_workitem_id 0
		.amdhsa_next_free_vgpr 1
		.amdhsa_next_free_sgpr 0
		.amdhsa_accum_offset 4
		.amdhsa_reserve_vcc 0
		.amdhsa_float_round_mode_32 0
		.amdhsa_float_round_mode_16_64 0
		.amdhsa_float_denorm_mode_32 3
		.amdhsa_float_denorm_mode_16_64 3
		.amdhsa_dx10_clamp 1
		.amdhsa_ieee_mode 1
		.amdhsa_fp16_overflow 0
		.amdhsa_tg_split 0
		.amdhsa_exception_fp_ieee_invalid_op 0
		.amdhsa_exception_fp_denorm_src 0
		.amdhsa_exception_fp_ieee_div_zero 0
		.amdhsa_exception_fp_ieee_overflow 0
		.amdhsa_exception_fp_ieee_underflow 0
		.amdhsa_exception_fp_ieee_inexact 0
		.amdhsa_exception_int_div_zero 0
	.end_amdhsa_kernel
	.section	.text._ZN7rocprim17ROCPRIM_400000_NS6detail17trampoline_kernelINS0_14default_configENS1_35adjacent_difference_config_selectorILb0EdEEZNS1_24adjacent_difference_implIS3_Lb0ELb0EPdS7_N6thrust23THRUST_200600_302600_NS4plusIdEEEE10hipError_tPvRmT2_T3_mT4_P12ihipStream_tbEUlT_E_NS1_11comp_targetILNS1_3genE8ELNS1_11target_archE1030ELNS1_3gpuE2ELNS1_3repE0EEENS1_30default_config_static_selectorELNS0_4arch9wavefront6targetE1EEEvT1_,"axG",@progbits,_ZN7rocprim17ROCPRIM_400000_NS6detail17trampoline_kernelINS0_14default_configENS1_35adjacent_difference_config_selectorILb0EdEEZNS1_24adjacent_difference_implIS3_Lb0ELb0EPdS7_N6thrust23THRUST_200600_302600_NS4plusIdEEEE10hipError_tPvRmT2_T3_mT4_P12ihipStream_tbEUlT_E_NS1_11comp_targetILNS1_3genE8ELNS1_11target_archE1030ELNS1_3gpuE2ELNS1_3repE0EEENS1_30default_config_static_selectorELNS0_4arch9wavefront6targetE1EEEvT1_,comdat
.Lfunc_end448:
	.size	_ZN7rocprim17ROCPRIM_400000_NS6detail17trampoline_kernelINS0_14default_configENS1_35adjacent_difference_config_selectorILb0EdEEZNS1_24adjacent_difference_implIS3_Lb0ELb0EPdS7_N6thrust23THRUST_200600_302600_NS4plusIdEEEE10hipError_tPvRmT2_T3_mT4_P12ihipStream_tbEUlT_E_NS1_11comp_targetILNS1_3genE8ELNS1_11target_archE1030ELNS1_3gpuE2ELNS1_3repE0EEENS1_30default_config_static_selectorELNS0_4arch9wavefront6targetE1EEEvT1_, .Lfunc_end448-_ZN7rocprim17ROCPRIM_400000_NS6detail17trampoline_kernelINS0_14default_configENS1_35adjacent_difference_config_selectorILb0EdEEZNS1_24adjacent_difference_implIS3_Lb0ELb0EPdS7_N6thrust23THRUST_200600_302600_NS4plusIdEEEE10hipError_tPvRmT2_T3_mT4_P12ihipStream_tbEUlT_E_NS1_11comp_targetILNS1_3genE8ELNS1_11target_archE1030ELNS1_3gpuE2ELNS1_3repE0EEENS1_30default_config_static_selectorELNS0_4arch9wavefront6targetE1EEEvT1_
                                        ; -- End function
	.section	.AMDGPU.csdata,"",@progbits
; Kernel info:
; codeLenInByte = 0
; NumSgprs: 6
; NumVgprs: 0
; NumAgprs: 0
; TotalNumVgprs: 0
; ScratchSize: 0
; MemoryBound: 0
; FloatMode: 240
; IeeeMode: 1
; LDSByteSize: 0 bytes/workgroup (compile time only)
; SGPRBlocks: 0
; VGPRBlocks: 0
; NumSGPRsForWavesPerEU: 6
; NumVGPRsForWavesPerEU: 1
; AccumOffset: 4
; Occupancy: 8
; WaveLimiterHint : 0
; COMPUTE_PGM_RSRC2:SCRATCH_EN: 0
; COMPUTE_PGM_RSRC2:USER_SGPR: 2
; COMPUTE_PGM_RSRC2:TRAP_HANDLER: 0
; COMPUTE_PGM_RSRC2:TGID_X_EN: 1
; COMPUTE_PGM_RSRC2:TGID_Y_EN: 0
; COMPUTE_PGM_RSRC2:TGID_Z_EN: 0
; COMPUTE_PGM_RSRC2:TIDIG_COMP_CNT: 0
; COMPUTE_PGM_RSRC3_GFX90A:ACCUM_OFFSET: 0
; COMPUTE_PGM_RSRC3_GFX90A:TG_SPLIT: 0
	.section	.text._ZN7rocprim17ROCPRIM_400000_NS6detail17trampoline_kernelINS0_14default_configENS1_25transform_config_selectorIdLb0EEEZNS1_14transform_implILb0ES3_S5_NS0_18transform_iteratorINS0_17counting_iteratorImlEEZNS1_24adjacent_difference_implIS3_Lb1ELb0EPdSB_N6thrust23THRUST_200600_302600_NS4plusIdEEEE10hipError_tPvRmT2_T3_mT4_P12ihipStream_tbEUlmE_dEESB_NS0_8identityIvEEEESG_SJ_SK_mSL_SN_bEUlT_E_NS1_11comp_targetILNS1_3genE0ELNS1_11target_archE4294967295ELNS1_3gpuE0ELNS1_3repE0EEENS1_30default_config_static_selectorELNS0_4arch9wavefront6targetE1EEEvT1_,"axG",@progbits,_ZN7rocprim17ROCPRIM_400000_NS6detail17trampoline_kernelINS0_14default_configENS1_25transform_config_selectorIdLb0EEEZNS1_14transform_implILb0ES3_S5_NS0_18transform_iteratorINS0_17counting_iteratorImlEEZNS1_24adjacent_difference_implIS3_Lb1ELb0EPdSB_N6thrust23THRUST_200600_302600_NS4plusIdEEEE10hipError_tPvRmT2_T3_mT4_P12ihipStream_tbEUlmE_dEESB_NS0_8identityIvEEEESG_SJ_SK_mSL_SN_bEUlT_E_NS1_11comp_targetILNS1_3genE0ELNS1_11target_archE4294967295ELNS1_3gpuE0ELNS1_3repE0EEENS1_30default_config_static_selectorELNS0_4arch9wavefront6targetE1EEEvT1_,comdat
	.protected	_ZN7rocprim17ROCPRIM_400000_NS6detail17trampoline_kernelINS0_14default_configENS1_25transform_config_selectorIdLb0EEEZNS1_14transform_implILb0ES3_S5_NS0_18transform_iteratorINS0_17counting_iteratorImlEEZNS1_24adjacent_difference_implIS3_Lb1ELb0EPdSB_N6thrust23THRUST_200600_302600_NS4plusIdEEEE10hipError_tPvRmT2_T3_mT4_P12ihipStream_tbEUlmE_dEESB_NS0_8identityIvEEEESG_SJ_SK_mSL_SN_bEUlT_E_NS1_11comp_targetILNS1_3genE0ELNS1_11target_archE4294967295ELNS1_3gpuE0ELNS1_3repE0EEENS1_30default_config_static_selectorELNS0_4arch9wavefront6targetE1EEEvT1_ ; -- Begin function _ZN7rocprim17ROCPRIM_400000_NS6detail17trampoline_kernelINS0_14default_configENS1_25transform_config_selectorIdLb0EEEZNS1_14transform_implILb0ES3_S5_NS0_18transform_iteratorINS0_17counting_iteratorImlEEZNS1_24adjacent_difference_implIS3_Lb1ELb0EPdSB_N6thrust23THRUST_200600_302600_NS4plusIdEEEE10hipError_tPvRmT2_T3_mT4_P12ihipStream_tbEUlmE_dEESB_NS0_8identityIvEEEESG_SJ_SK_mSL_SN_bEUlT_E_NS1_11comp_targetILNS1_3genE0ELNS1_11target_archE4294967295ELNS1_3gpuE0ELNS1_3repE0EEENS1_30default_config_static_selectorELNS0_4arch9wavefront6targetE1EEEvT1_
	.globl	_ZN7rocprim17ROCPRIM_400000_NS6detail17trampoline_kernelINS0_14default_configENS1_25transform_config_selectorIdLb0EEEZNS1_14transform_implILb0ES3_S5_NS0_18transform_iteratorINS0_17counting_iteratorImlEEZNS1_24adjacent_difference_implIS3_Lb1ELb0EPdSB_N6thrust23THRUST_200600_302600_NS4plusIdEEEE10hipError_tPvRmT2_T3_mT4_P12ihipStream_tbEUlmE_dEESB_NS0_8identityIvEEEESG_SJ_SK_mSL_SN_bEUlT_E_NS1_11comp_targetILNS1_3genE0ELNS1_11target_archE4294967295ELNS1_3gpuE0ELNS1_3repE0EEENS1_30default_config_static_selectorELNS0_4arch9wavefront6targetE1EEEvT1_
	.p2align	8
	.type	_ZN7rocprim17ROCPRIM_400000_NS6detail17trampoline_kernelINS0_14default_configENS1_25transform_config_selectorIdLb0EEEZNS1_14transform_implILb0ES3_S5_NS0_18transform_iteratorINS0_17counting_iteratorImlEEZNS1_24adjacent_difference_implIS3_Lb1ELb0EPdSB_N6thrust23THRUST_200600_302600_NS4plusIdEEEE10hipError_tPvRmT2_T3_mT4_P12ihipStream_tbEUlmE_dEESB_NS0_8identityIvEEEESG_SJ_SK_mSL_SN_bEUlT_E_NS1_11comp_targetILNS1_3genE0ELNS1_11target_archE4294967295ELNS1_3gpuE0ELNS1_3repE0EEENS1_30default_config_static_selectorELNS0_4arch9wavefront6targetE1EEEvT1_,@function
_ZN7rocprim17ROCPRIM_400000_NS6detail17trampoline_kernelINS0_14default_configENS1_25transform_config_selectorIdLb0EEEZNS1_14transform_implILb0ES3_S5_NS0_18transform_iteratorINS0_17counting_iteratorImlEEZNS1_24adjacent_difference_implIS3_Lb1ELb0EPdSB_N6thrust23THRUST_200600_302600_NS4plusIdEEEE10hipError_tPvRmT2_T3_mT4_P12ihipStream_tbEUlmE_dEESB_NS0_8identityIvEEEESG_SJ_SK_mSL_SN_bEUlT_E_NS1_11comp_targetILNS1_3genE0ELNS1_11target_archE4294967295ELNS1_3gpuE0ELNS1_3repE0EEENS1_30default_config_static_selectorELNS0_4arch9wavefront6targetE1EEEvT1_: ; @_ZN7rocprim17ROCPRIM_400000_NS6detail17trampoline_kernelINS0_14default_configENS1_25transform_config_selectorIdLb0EEEZNS1_14transform_implILb0ES3_S5_NS0_18transform_iteratorINS0_17counting_iteratorImlEEZNS1_24adjacent_difference_implIS3_Lb1ELb0EPdSB_N6thrust23THRUST_200600_302600_NS4plusIdEEEE10hipError_tPvRmT2_T3_mT4_P12ihipStream_tbEUlmE_dEESB_NS0_8identityIvEEEESG_SJ_SK_mSL_SN_bEUlT_E_NS1_11comp_targetILNS1_3genE0ELNS1_11target_archE4294967295ELNS1_3gpuE0ELNS1_3repE0EEENS1_30default_config_static_selectorELNS0_4arch9wavefront6targetE1EEEvT1_
; %bb.0:
	.section	.rodata,"a",@progbits
	.p2align	6, 0x0
	.amdhsa_kernel _ZN7rocprim17ROCPRIM_400000_NS6detail17trampoline_kernelINS0_14default_configENS1_25transform_config_selectorIdLb0EEEZNS1_14transform_implILb0ES3_S5_NS0_18transform_iteratorINS0_17counting_iteratorImlEEZNS1_24adjacent_difference_implIS3_Lb1ELb0EPdSB_N6thrust23THRUST_200600_302600_NS4plusIdEEEE10hipError_tPvRmT2_T3_mT4_P12ihipStream_tbEUlmE_dEESB_NS0_8identityIvEEEESG_SJ_SK_mSL_SN_bEUlT_E_NS1_11comp_targetILNS1_3genE0ELNS1_11target_archE4294967295ELNS1_3gpuE0ELNS1_3repE0EEENS1_30default_config_static_selectorELNS0_4arch9wavefront6targetE1EEEvT1_
		.amdhsa_group_segment_fixed_size 0
		.amdhsa_private_segment_fixed_size 0
		.amdhsa_kernarg_size 56
		.amdhsa_user_sgpr_count 2
		.amdhsa_user_sgpr_dispatch_ptr 0
		.amdhsa_user_sgpr_queue_ptr 0
		.amdhsa_user_sgpr_kernarg_segment_ptr 1
		.amdhsa_user_sgpr_dispatch_id 0
		.amdhsa_user_sgpr_kernarg_preload_length 0
		.amdhsa_user_sgpr_kernarg_preload_offset 0
		.amdhsa_user_sgpr_private_segment_size 0
		.amdhsa_uses_dynamic_stack 0
		.amdhsa_enable_private_segment 0
		.amdhsa_system_sgpr_workgroup_id_x 1
		.amdhsa_system_sgpr_workgroup_id_y 0
		.amdhsa_system_sgpr_workgroup_id_z 0
		.amdhsa_system_sgpr_workgroup_info 0
		.amdhsa_system_vgpr_workitem_id 0
		.amdhsa_next_free_vgpr 1
		.amdhsa_next_free_sgpr 0
		.amdhsa_accum_offset 4
		.amdhsa_reserve_vcc 0
		.amdhsa_float_round_mode_32 0
		.amdhsa_float_round_mode_16_64 0
		.amdhsa_float_denorm_mode_32 3
		.amdhsa_float_denorm_mode_16_64 3
		.amdhsa_dx10_clamp 1
		.amdhsa_ieee_mode 1
		.amdhsa_fp16_overflow 0
		.amdhsa_tg_split 0
		.amdhsa_exception_fp_ieee_invalid_op 0
		.amdhsa_exception_fp_denorm_src 0
		.amdhsa_exception_fp_ieee_div_zero 0
		.amdhsa_exception_fp_ieee_overflow 0
		.amdhsa_exception_fp_ieee_underflow 0
		.amdhsa_exception_fp_ieee_inexact 0
		.amdhsa_exception_int_div_zero 0
	.end_amdhsa_kernel
	.section	.text._ZN7rocprim17ROCPRIM_400000_NS6detail17trampoline_kernelINS0_14default_configENS1_25transform_config_selectorIdLb0EEEZNS1_14transform_implILb0ES3_S5_NS0_18transform_iteratorINS0_17counting_iteratorImlEEZNS1_24adjacent_difference_implIS3_Lb1ELb0EPdSB_N6thrust23THRUST_200600_302600_NS4plusIdEEEE10hipError_tPvRmT2_T3_mT4_P12ihipStream_tbEUlmE_dEESB_NS0_8identityIvEEEESG_SJ_SK_mSL_SN_bEUlT_E_NS1_11comp_targetILNS1_3genE0ELNS1_11target_archE4294967295ELNS1_3gpuE0ELNS1_3repE0EEENS1_30default_config_static_selectorELNS0_4arch9wavefront6targetE1EEEvT1_,"axG",@progbits,_ZN7rocprim17ROCPRIM_400000_NS6detail17trampoline_kernelINS0_14default_configENS1_25transform_config_selectorIdLb0EEEZNS1_14transform_implILb0ES3_S5_NS0_18transform_iteratorINS0_17counting_iteratorImlEEZNS1_24adjacent_difference_implIS3_Lb1ELb0EPdSB_N6thrust23THRUST_200600_302600_NS4plusIdEEEE10hipError_tPvRmT2_T3_mT4_P12ihipStream_tbEUlmE_dEESB_NS0_8identityIvEEEESG_SJ_SK_mSL_SN_bEUlT_E_NS1_11comp_targetILNS1_3genE0ELNS1_11target_archE4294967295ELNS1_3gpuE0ELNS1_3repE0EEENS1_30default_config_static_selectorELNS0_4arch9wavefront6targetE1EEEvT1_,comdat
.Lfunc_end449:
	.size	_ZN7rocprim17ROCPRIM_400000_NS6detail17trampoline_kernelINS0_14default_configENS1_25transform_config_selectorIdLb0EEEZNS1_14transform_implILb0ES3_S5_NS0_18transform_iteratorINS0_17counting_iteratorImlEEZNS1_24adjacent_difference_implIS3_Lb1ELb0EPdSB_N6thrust23THRUST_200600_302600_NS4plusIdEEEE10hipError_tPvRmT2_T3_mT4_P12ihipStream_tbEUlmE_dEESB_NS0_8identityIvEEEESG_SJ_SK_mSL_SN_bEUlT_E_NS1_11comp_targetILNS1_3genE0ELNS1_11target_archE4294967295ELNS1_3gpuE0ELNS1_3repE0EEENS1_30default_config_static_selectorELNS0_4arch9wavefront6targetE1EEEvT1_, .Lfunc_end449-_ZN7rocprim17ROCPRIM_400000_NS6detail17trampoline_kernelINS0_14default_configENS1_25transform_config_selectorIdLb0EEEZNS1_14transform_implILb0ES3_S5_NS0_18transform_iteratorINS0_17counting_iteratorImlEEZNS1_24adjacent_difference_implIS3_Lb1ELb0EPdSB_N6thrust23THRUST_200600_302600_NS4plusIdEEEE10hipError_tPvRmT2_T3_mT4_P12ihipStream_tbEUlmE_dEESB_NS0_8identityIvEEEESG_SJ_SK_mSL_SN_bEUlT_E_NS1_11comp_targetILNS1_3genE0ELNS1_11target_archE4294967295ELNS1_3gpuE0ELNS1_3repE0EEENS1_30default_config_static_selectorELNS0_4arch9wavefront6targetE1EEEvT1_
                                        ; -- End function
	.section	.AMDGPU.csdata,"",@progbits
; Kernel info:
; codeLenInByte = 0
; NumSgprs: 6
; NumVgprs: 0
; NumAgprs: 0
; TotalNumVgprs: 0
; ScratchSize: 0
; MemoryBound: 0
; FloatMode: 240
; IeeeMode: 1
; LDSByteSize: 0 bytes/workgroup (compile time only)
; SGPRBlocks: 0
; VGPRBlocks: 0
; NumSGPRsForWavesPerEU: 6
; NumVGPRsForWavesPerEU: 1
; AccumOffset: 4
; Occupancy: 8
; WaveLimiterHint : 0
; COMPUTE_PGM_RSRC2:SCRATCH_EN: 0
; COMPUTE_PGM_RSRC2:USER_SGPR: 2
; COMPUTE_PGM_RSRC2:TRAP_HANDLER: 0
; COMPUTE_PGM_RSRC2:TGID_X_EN: 1
; COMPUTE_PGM_RSRC2:TGID_Y_EN: 0
; COMPUTE_PGM_RSRC2:TGID_Z_EN: 0
; COMPUTE_PGM_RSRC2:TIDIG_COMP_CNT: 0
; COMPUTE_PGM_RSRC3_GFX90A:ACCUM_OFFSET: 0
; COMPUTE_PGM_RSRC3_GFX90A:TG_SPLIT: 0
	.section	.text._ZN7rocprim17ROCPRIM_400000_NS6detail17trampoline_kernelINS0_14default_configENS1_25transform_config_selectorIdLb0EEEZNS1_14transform_implILb0ES3_S5_NS0_18transform_iteratorINS0_17counting_iteratorImlEEZNS1_24adjacent_difference_implIS3_Lb1ELb0EPdSB_N6thrust23THRUST_200600_302600_NS4plusIdEEEE10hipError_tPvRmT2_T3_mT4_P12ihipStream_tbEUlmE_dEESB_NS0_8identityIvEEEESG_SJ_SK_mSL_SN_bEUlT_E_NS1_11comp_targetILNS1_3genE5ELNS1_11target_archE942ELNS1_3gpuE9ELNS1_3repE0EEENS1_30default_config_static_selectorELNS0_4arch9wavefront6targetE1EEEvT1_,"axG",@progbits,_ZN7rocprim17ROCPRIM_400000_NS6detail17trampoline_kernelINS0_14default_configENS1_25transform_config_selectorIdLb0EEEZNS1_14transform_implILb0ES3_S5_NS0_18transform_iteratorINS0_17counting_iteratorImlEEZNS1_24adjacent_difference_implIS3_Lb1ELb0EPdSB_N6thrust23THRUST_200600_302600_NS4plusIdEEEE10hipError_tPvRmT2_T3_mT4_P12ihipStream_tbEUlmE_dEESB_NS0_8identityIvEEEESG_SJ_SK_mSL_SN_bEUlT_E_NS1_11comp_targetILNS1_3genE5ELNS1_11target_archE942ELNS1_3gpuE9ELNS1_3repE0EEENS1_30default_config_static_selectorELNS0_4arch9wavefront6targetE1EEEvT1_,comdat
	.protected	_ZN7rocprim17ROCPRIM_400000_NS6detail17trampoline_kernelINS0_14default_configENS1_25transform_config_selectorIdLb0EEEZNS1_14transform_implILb0ES3_S5_NS0_18transform_iteratorINS0_17counting_iteratorImlEEZNS1_24adjacent_difference_implIS3_Lb1ELb0EPdSB_N6thrust23THRUST_200600_302600_NS4plusIdEEEE10hipError_tPvRmT2_T3_mT4_P12ihipStream_tbEUlmE_dEESB_NS0_8identityIvEEEESG_SJ_SK_mSL_SN_bEUlT_E_NS1_11comp_targetILNS1_3genE5ELNS1_11target_archE942ELNS1_3gpuE9ELNS1_3repE0EEENS1_30default_config_static_selectorELNS0_4arch9wavefront6targetE1EEEvT1_ ; -- Begin function _ZN7rocprim17ROCPRIM_400000_NS6detail17trampoline_kernelINS0_14default_configENS1_25transform_config_selectorIdLb0EEEZNS1_14transform_implILb0ES3_S5_NS0_18transform_iteratorINS0_17counting_iteratorImlEEZNS1_24adjacent_difference_implIS3_Lb1ELb0EPdSB_N6thrust23THRUST_200600_302600_NS4plusIdEEEE10hipError_tPvRmT2_T3_mT4_P12ihipStream_tbEUlmE_dEESB_NS0_8identityIvEEEESG_SJ_SK_mSL_SN_bEUlT_E_NS1_11comp_targetILNS1_3genE5ELNS1_11target_archE942ELNS1_3gpuE9ELNS1_3repE0EEENS1_30default_config_static_selectorELNS0_4arch9wavefront6targetE1EEEvT1_
	.globl	_ZN7rocprim17ROCPRIM_400000_NS6detail17trampoline_kernelINS0_14default_configENS1_25transform_config_selectorIdLb0EEEZNS1_14transform_implILb0ES3_S5_NS0_18transform_iteratorINS0_17counting_iteratorImlEEZNS1_24adjacent_difference_implIS3_Lb1ELb0EPdSB_N6thrust23THRUST_200600_302600_NS4plusIdEEEE10hipError_tPvRmT2_T3_mT4_P12ihipStream_tbEUlmE_dEESB_NS0_8identityIvEEEESG_SJ_SK_mSL_SN_bEUlT_E_NS1_11comp_targetILNS1_3genE5ELNS1_11target_archE942ELNS1_3gpuE9ELNS1_3repE0EEENS1_30default_config_static_selectorELNS0_4arch9wavefront6targetE1EEEvT1_
	.p2align	8
	.type	_ZN7rocprim17ROCPRIM_400000_NS6detail17trampoline_kernelINS0_14default_configENS1_25transform_config_selectorIdLb0EEEZNS1_14transform_implILb0ES3_S5_NS0_18transform_iteratorINS0_17counting_iteratorImlEEZNS1_24adjacent_difference_implIS3_Lb1ELb0EPdSB_N6thrust23THRUST_200600_302600_NS4plusIdEEEE10hipError_tPvRmT2_T3_mT4_P12ihipStream_tbEUlmE_dEESB_NS0_8identityIvEEEESG_SJ_SK_mSL_SN_bEUlT_E_NS1_11comp_targetILNS1_3genE5ELNS1_11target_archE942ELNS1_3gpuE9ELNS1_3repE0EEENS1_30default_config_static_selectorELNS0_4arch9wavefront6targetE1EEEvT1_,@function
_ZN7rocprim17ROCPRIM_400000_NS6detail17trampoline_kernelINS0_14default_configENS1_25transform_config_selectorIdLb0EEEZNS1_14transform_implILb0ES3_S5_NS0_18transform_iteratorINS0_17counting_iteratorImlEEZNS1_24adjacent_difference_implIS3_Lb1ELb0EPdSB_N6thrust23THRUST_200600_302600_NS4plusIdEEEE10hipError_tPvRmT2_T3_mT4_P12ihipStream_tbEUlmE_dEESB_NS0_8identityIvEEEESG_SJ_SK_mSL_SN_bEUlT_E_NS1_11comp_targetILNS1_3genE5ELNS1_11target_archE942ELNS1_3gpuE9ELNS1_3repE0EEENS1_30default_config_static_selectorELNS0_4arch9wavefront6targetE1EEEvT1_: ; @_ZN7rocprim17ROCPRIM_400000_NS6detail17trampoline_kernelINS0_14default_configENS1_25transform_config_selectorIdLb0EEEZNS1_14transform_implILb0ES3_S5_NS0_18transform_iteratorINS0_17counting_iteratorImlEEZNS1_24adjacent_difference_implIS3_Lb1ELb0EPdSB_N6thrust23THRUST_200600_302600_NS4plusIdEEEE10hipError_tPvRmT2_T3_mT4_P12ihipStream_tbEUlmE_dEESB_NS0_8identityIvEEEESG_SJ_SK_mSL_SN_bEUlT_E_NS1_11comp_targetILNS1_3genE5ELNS1_11target_archE942ELNS1_3gpuE9ELNS1_3repE0EEENS1_30default_config_static_selectorELNS0_4arch9wavefront6targetE1EEEvT1_
; %bb.0:
	s_load_dwordx4 s[8:11], s[0:1], 0x18
	s_load_dwordx2 s[14:15], s[0:1], 0x28
	s_load_dwordx4 s[4:7], s[0:1], 0x0
	s_load_dword s12, s[0:1], 0x10
	s_load_dword s3, s[0:1], 0x38
	s_waitcnt lgkmcnt(0)
	s_lshl_b64 s[0:1], s[8:9], 3
	s_add_u32 s16, s14, s0
	s_addc_u32 s17, s15, s1
	s_lshl_b32 s14, s2, 11
	s_add_i32 s3, s3, -1
	s_add_u32 s0, s4, s14
	s_addc_u32 s1, s5, 0
	s_add_u32 s4, s0, s8
	s_addc_u32 s5, s1, s9
	s_mov_b32 s15, 0
	s_cmp_lg_u32 s2, s3
	v_lshlrev_b32_e32 v10, 3, v0
	s_cbranch_scc0 .LBB450_2
; %bb.1:
	v_mov_b32_e32 v1, 0
	v_lshl_add_u64 v[2:3], s[4:5], 0, v[0:1]
	v_mad_u64_u32 v[4:5], s[0:1], v2, s12, 0
	v_mov_b32_e32 v2, v5
	v_mad_u64_u32 v[2:3], s[0:1], v3, s12, v[2:3]
	s_mov_b32 s13, s15
	v_mov_b32_e32 v5, v2
	v_lshl_add_u64 v[2:3], v[4:5], 3, s[6:7]
	s_lshl_b64 s[0:1], s[12:13], 12
	v_lshl_add_u64 v[4:5], v[2:3], 0, s[0:1]
	v_lshl_add_u64 v[6:7], v[4:5], 0, s[0:1]
	global_load_dwordx2 v[14:15], v[2:3], off
	global_load_dwordx2 v[16:17], v[4:5], off
	;; [unrolled: 1-line block ×3, first 2 shown]
	v_lshl_add_u64 v[2:3], v[6:7], 0, s[0:1]
	global_load_dwordx2 v[8:9], v[2:3], off
	s_lshl_b64 s[2:3], s[14:15], 3
	s_add_u32 s2, s16, s2
	v_mov_b32_e32 v11, v1
	s_addc_u32 s3, s17, s3
	v_lshl_add_u64 v[12:13], s[2:3], 0, v[10:11]
	v_add_co_u32_e32 v2, vcc, 0x1000, v12
	s_nop 1
	v_addc_co_u32_e32 v3, vcc, 0, v13, vcc
	v_add_co_u32_e32 v4, vcc, 0x2000, v12
	s_mov_b64 s[8:9], -1
	s_nop 0
	v_addc_co_u32_e32 v5, vcc, 0, v13, vcc
	s_waitcnt vmcnt(3)
	global_store_dwordx2 v10, v[14:15], s[2:3]
	s_waitcnt vmcnt(3)
	global_store_dwordx2 v[2:3], v[16:17], off
	s_waitcnt vmcnt(3)
	global_store_dwordx2 v[4:5], v[18:19], off
	s_cbranch_execz .LBB450_3
	s_branch .LBB450_16
.LBB450_2:
	s_mov_b64 s[8:9], 0
                                        ; implicit-def: $vgpr8_vgpr9
                                        ; implicit-def: $vgpr12_vgpr13
.LBB450_3:
	s_sub_i32 s10, s10, s14
	v_cmp_gt_u32_e32 vcc, s10, v0
                                        ; implicit-def: $vgpr2_vgpr3_vgpr4_vgpr5_vgpr6_vgpr7_vgpr8_vgpr9
	s_and_saveexec_b64 s[0:1], vcc
	s_cbranch_execz .LBB450_5
; %bb.4:
	v_mov_b32_e32 v1, 0
	v_lshl_add_u64 v[2:3], s[4:5], 0, v[0:1]
	v_mad_u64_u32 v[4:5], s[2:3], v2, s12, 0
	v_mov_b32_e32 v2, v5
	v_mad_u64_u32 v[2:3], s[2:3], v3, s12, v[2:3]
	v_mov_b32_e32 v5, v2
	v_lshl_add_u64 v[2:3], v[4:5], 3, s[6:7]
	global_load_dwordx2 v[2:3], v[2:3], off
.LBB450_5:
	s_or_b64 exec, exec, s[0:1]
	v_or_b32_e32 v12, 0x200, v0
	v_cmp_gt_u32_e64 s[0:1], s10, v12
	s_and_saveexec_b64 s[2:3], s[0:1]
	s_cbranch_execz .LBB450_7
; %bb.6:
	v_mov_b32_e32 v13, 0
	v_lshl_add_u64 v[4:5], s[4:5], 0, v[12:13]
	v_mad_u64_u32 v[12:13], s[8:9], v4, s12, 0
	v_mov_b32_e32 v4, v13
	v_mad_u64_u32 v[4:5], s[8:9], v5, s12, v[4:5]
	v_mov_b32_e32 v13, v4
	v_lshl_add_u64 v[4:5], v[12:13], 3, s[6:7]
	global_load_dwordx2 v[4:5], v[4:5], off
.LBB450_7:
	s_or_b64 exec, exec, s[2:3]
	v_or_b32_e32 v12, 0x400, v0
	v_cmp_gt_u32_e64 s[2:3], s10, v12
	s_and_saveexec_b64 s[8:9], s[2:3]
	;; [unrolled: 15-line block ×3, first 2 shown]
	s_cbranch_execz .LBB450_11
; %bb.10:
	v_mov_b32_e32 v1, 0
	v_lshl_add_u64 v[0:1], s[4:5], 0, v[0:1]
	s_waitcnt vmcnt(3)
	v_mad_u64_u32 v[8:9], s[4:5], v0, s12, 0
	v_mov_b32_e32 v0, v9
	v_mad_u64_u32 v[0:1], s[4:5], v1, s12, v[0:1]
	v_mov_b32_e32 v9, v0
	v_lshl_add_u64 v[0:1], v[8:9], 3, s[6:7]
	global_load_dwordx2 v[8:9], v[0:1], off
.LBB450_11:
	s_or_b64 exec, exec, s[10:11]
	s_lshl_b64 s[4:5], s[14:15], 3
	s_add_u32 s4, s16, s4
	s_addc_u32 s5, s17, s5
	v_mov_b32_e32 v11, 0
	v_lshl_add_u64 v[12:13], s[4:5], 0, v[10:11]
	s_and_saveexec_b64 s[4:5], vcc
	s_cbranch_execnz .LBB450_19
; %bb.12:
	s_or_b64 exec, exec, s[4:5]
	s_and_saveexec_b64 s[4:5], s[0:1]
	s_cbranch_execnz .LBB450_20
.LBB450_13:
	s_or_b64 exec, exec, s[4:5]
	s_and_saveexec_b64 s[0:1], s[2:3]
	s_cbranch_execz .LBB450_15
.LBB450_14:
	v_add_co_u32_e32 v0, vcc, 0x2000, v12
	s_nop 1
	v_addc_co_u32_e32 v1, vcc, 0, v13, vcc
	s_waitcnt vmcnt(0)
	global_store_dwordx2 v[0:1], v[6:7], off
.LBB450_15:
	s_or_b64 exec, exec, s[0:1]
.LBB450_16:
	s_and_saveexec_b64 s[0:1], s[8:9]
	s_cbranch_execnz .LBB450_18
; %bb.17:
	s_endpgm
.LBB450_18:
	v_add_co_u32_e32 v0, vcc, 0x3000, v12
	s_nop 1
	v_addc_co_u32_e32 v1, vcc, 0, v13, vcc
	s_waitcnt vmcnt(0)
	global_store_dwordx2 v[0:1], v[8:9], off
	s_endpgm
.LBB450_19:
	s_waitcnt vmcnt(0)
	global_store_dwordx2 v[12:13], v[2:3], off
	s_or_b64 exec, exec, s[4:5]
	s_and_saveexec_b64 s[4:5], s[0:1]
	s_cbranch_execz .LBB450_13
.LBB450_20:
	v_add_co_u32_e32 v0, vcc, 0x1000, v12
	s_nop 1
	v_addc_co_u32_e32 v1, vcc, 0, v13, vcc
	s_waitcnt vmcnt(0)
	global_store_dwordx2 v[0:1], v[4:5], off
	s_or_b64 exec, exec, s[4:5]
	s_and_saveexec_b64 s[0:1], s[2:3]
	s_cbranch_execnz .LBB450_14
	s_branch .LBB450_15
	.section	.rodata,"a",@progbits
	.p2align	6, 0x0
	.amdhsa_kernel _ZN7rocprim17ROCPRIM_400000_NS6detail17trampoline_kernelINS0_14default_configENS1_25transform_config_selectorIdLb0EEEZNS1_14transform_implILb0ES3_S5_NS0_18transform_iteratorINS0_17counting_iteratorImlEEZNS1_24adjacent_difference_implIS3_Lb1ELb0EPdSB_N6thrust23THRUST_200600_302600_NS4plusIdEEEE10hipError_tPvRmT2_T3_mT4_P12ihipStream_tbEUlmE_dEESB_NS0_8identityIvEEEESG_SJ_SK_mSL_SN_bEUlT_E_NS1_11comp_targetILNS1_3genE5ELNS1_11target_archE942ELNS1_3gpuE9ELNS1_3repE0EEENS1_30default_config_static_selectorELNS0_4arch9wavefront6targetE1EEEvT1_
		.amdhsa_group_segment_fixed_size 0
		.amdhsa_private_segment_fixed_size 0
		.amdhsa_kernarg_size 312
		.amdhsa_user_sgpr_count 2
		.amdhsa_user_sgpr_dispatch_ptr 0
		.amdhsa_user_sgpr_queue_ptr 0
		.amdhsa_user_sgpr_kernarg_segment_ptr 1
		.amdhsa_user_sgpr_dispatch_id 0
		.amdhsa_user_sgpr_kernarg_preload_length 0
		.amdhsa_user_sgpr_kernarg_preload_offset 0
		.amdhsa_user_sgpr_private_segment_size 0
		.amdhsa_uses_dynamic_stack 0
		.amdhsa_enable_private_segment 0
		.amdhsa_system_sgpr_workgroup_id_x 1
		.amdhsa_system_sgpr_workgroup_id_y 0
		.amdhsa_system_sgpr_workgroup_id_z 0
		.amdhsa_system_sgpr_workgroup_info 0
		.amdhsa_system_vgpr_workitem_id 0
		.amdhsa_next_free_vgpr 20
		.amdhsa_next_free_sgpr 20
		.amdhsa_accum_offset 20
		.amdhsa_reserve_vcc 1
		.amdhsa_float_round_mode_32 0
		.amdhsa_float_round_mode_16_64 0
		.amdhsa_float_denorm_mode_32 3
		.amdhsa_float_denorm_mode_16_64 3
		.amdhsa_dx10_clamp 1
		.amdhsa_ieee_mode 1
		.amdhsa_fp16_overflow 0
		.amdhsa_tg_split 0
		.amdhsa_exception_fp_ieee_invalid_op 0
		.amdhsa_exception_fp_denorm_src 0
		.amdhsa_exception_fp_ieee_div_zero 0
		.amdhsa_exception_fp_ieee_overflow 0
		.amdhsa_exception_fp_ieee_underflow 0
		.amdhsa_exception_fp_ieee_inexact 0
		.amdhsa_exception_int_div_zero 0
	.end_amdhsa_kernel
	.section	.text._ZN7rocprim17ROCPRIM_400000_NS6detail17trampoline_kernelINS0_14default_configENS1_25transform_config_selectorIdLb0EEEZNS1_14transform_implILb0ES3_S5_NS0_18transform_iteratorINS0_17counting_iteratorImlEEZNS1_24adjacent_difference_implIS3_Lb1ELb0EPdSB_N6thrust23THRUST_200600_302600_NS4plusIdEEEE10hipError_tPvRmT2_T3_mT4_P12ihipStream_tbEUlmE_dEESB_NS0_8identityIvEEEESG_SJ_SK_mSL_SN_bEUlT_E_NS1_11comp_targetILNS1_3genE5ELNS1_11target_archE942ELNS1_3gpuE9ELNS1_3repE0EEENS1_30default_config_static_selectorELNS0_4arch9wavefront6targetE1EEEvT1_,"axG",@progbits,_ZN7rocprim17ROCPRIM_400000_NS6detail17trampoline_kernelINS0_14default_configENS1_25transform_config_selectorIdLb0EEEZNS1_14transform_implILb0ES3_S5_NS0_18transform_iteratorINS0_17counting_iteratorImlEEZNS1_24adjacent_difference_implIS3_Lb1ELb0EPdSB_N6thrust23THRUST_200600_302600_NS4plusIdEEEE10hipError_tPvRmT2_T3_mT4_P12ihipStream_tbEUlmE_dEESB_NS0_8identityIvEEEESG_SJ_SK_mSL_SN_bEUlT_E_NS1_11comp_targetILNS1_3genE5ELNS1_11target_archE942ELNS1_3gpuE9ELNS1_3repE0EEENS1_30default_config_static_selectorELNS0_4arch9wavefront6targetE1EEEvT1_,comdat
.Lfunc_end450:
	.size	_ZN7rocprim17ROCPRIM_400000_NS6detail17trampoline_kernelINS0_14default_configENS1_25transform_config_selectorIdLb0EEEZNS1_14transform_implILb0ES3_S5_NS0_18transform_iteratorINS0_17counting_iteratorImlEEZNS1_24adjacent_difference_implIS3_Lb1ELb0EPdSB_N6thrust23THRUST_200600_302600_NS4plusIdEEEE10hipError_tPvRmT2_T3_mT4_P12ihipStream_tbEUlmE_dEESB_NS0_8identityIvEEEESG_SJ_SK_mSL_SN_bEUlT_E_NS1_11comp_targetILNS1_3genE5ELNS1_11target_archE942ELNS1_3gpuE9ELNS1_3repE0EEENS1_30default_config_static_selectorELNS0_4arch9wavefront6targetE1EEEvT1_, .Lfunc_end450-_ZN7rocprim17ROCPRIM_400000_NS6detail17trampoline_kernelINS0_14default_configENS1_25transform_config_selectorIdLb0EEEZNS1_14transform_implILb0ES3_S5_NS0_18transform_iteratorINS0_17counting_iteratorImlEEZNS1_24adjacent_difference_implIS3_Lb1ELb0EPdSB_N6thrust23THRUST_200600_302600_NS4plusIdEEEE10hipError_tPvRmT2_T3_mT4_P12ihipStream_tbEUlmE_dEESB_NS0_8identityIvEEEESG_SJ_SK_mSL_SN_bEUlT_E_NS1_11comp_targetILNS1_3genE5ELNS1_11target_archE942ELNS1_3gpuE9ELNS1_3repE0EEENS1_30default_config_static_selectorELNS0_4arch9wavefront6targetE1EEEvT1_
                                        ; -- End function
	.section	.AMDGPU.csdata,"",@progbits
; Kernel info:
; codeLenInByte = 828
; NumSgprs: 26
; NumVgprs: 20
; NumAgprs: 0
; TotalNumVgprs: 20
; ScratchSize: 0
; MemoryBound: 0
; FloatMode: 240
; IeeeMode: 1
; LDSByteSize: 0 bytes/workgroup (compile time only)
; SGPRBlocks: 3
; VGPRBlocks: 2
; NumSGPRsForWavesPerEU: 26
; NumVGPRsForWavesPerEU: 20
; AccumOffset: 20
; Occupancy: 8
; WaveLimiterHint : 1
; COMPUTE_PGM_RSRC2:SCRATCH_EN: 0
; COMPUTE_PGM_RSRC2:USER_SGPR: 2
; COMPUTE_PGM_RSRC2:TRAP_HANDLER: 0
; COMPUTE_PGM_RSRC2:TGID_X_EN: 1
; COMPUTE_PGM_RSRC2:TGID_Y_EN: 0
; COMPUTE_PGM_RSRC2:TGID_Z_EN: 0
; COMPUTE_PGM_RSRC2:TIDIG_COMP_CNT: 0
; COMPUTE_PGM_RSRC3_GFX90A:ACCUM_OFFSET: 4
; COMPUTE_PGM_RSRC3_GFX90A:TG_SPLIT: 0
	.section	.text._ZN7rocprim17ROCPRIM_400000_NS6detail17trampoline_kernelINS0_14default_configENS1_25transform_config_selectorIdLb0EEEZNS1_14transform_implILb0ES3_S5_NS0_18transform_iteratorINS0_17counting_iteratorImlEEZNS1_24adjacent_difference_implIS3_Lb1ELb0EPdSB_N6thrust23THRUST_200600_302600_NS4plusIdEEEE10hipError_tPvRmT2_T3_mT4_P12ihipStream_tbEUlmE_dEESB_NS0_8identityIvEEEESG_SJ_SK_mSL_SN_bEUlT_E_NS1_11comp_targetILNS1_3genE4ELNS1_11target_archE910ELNS1_3gpuE8ELNS1_3repE0EEENS1_30default_config_static_selectorELNS0_4arch9wavefront6targetE1EEEvT1_,"axG",@progbits,_ZN7rocprim17ROCPRIM_400000_NS6detail17trampoline_kernelINS0_14default_configENS1_25transform_config_selectorIdLb0EEEZNS1_14transform_implILb0ES3_S5_NS0_18transform_iteratorINS0_17counting_iteratorImlEEZNS1_24adjacent_difference_implIS3_Lb1ELb0EPdSB_N6thrust23THRUST_200600_302600_NS4plusIdEEEE10hipError_tPvRmT2_T3_mT4_P12ihipStream_tbEUlmE_dEESB_NS0_8identityIvEEEESG_SJ_SK_mSL_SN_bEUlT_E_NS1_11comp_targetILNS1_3genE4ELNS1_11target_archE910ELNS1_3gpuE8ELNS1_3repE0EEENS1_30default_config_static_selectorELNS0_4arch9wavefront6targetE1EEEvT1_,comdat
	.protected	_ZN7rocprim17ROCPRIM_400000_NS6detail17trampoline_kernelINS0_14default_configENS1_25transform_config_selectorIdLb0EEEZNS1_14transform_implILb0ES3_S5_NS0_18transform_iteratorINS0_17counting_iteratorImlEEZNS1_24adjacent_difference_implIS3_Lb1ELb0EPdSB_N6thrust23THRUST_200600_302600_NS4plusIdEEEE10hipError_tPvRmT2_T3_mT4_P12ihipStream_tbEUlmE_dEESB_NS0_8identityIvEEEESG_SJ_SK_mSL_SN_bEUlT_E_NS1_11comp_targetILNS1_3genE4ELNS1_11target_archE910ELNS1_3gpuE8ELNS1_3repE0EEENS1_30default_config_static_selectorELNS0_4arch9wavefront6targetE1EEEvT1_ ; -- Begin function _ZN7rocprim17ROCPRIM_400000_NS6detail17trampoline_kernelINS0_14default_configENS1_25transform_config_selectorIdLb0EEEZNS1_14transform_implILb0ES3_S5_NS0_18transform_iteratorINS0_17counting_iteratorImlEEZNS1_24adjacent_difference_implIS3_Lb1ELb0EPdSB_N6thrust23THRUST_200600_302600_NS4plusIdEEEE10hipError_tPvRmT2_T3_mT4_P12ihipStream_tbEUlmE_dEESB_NS0_8identityIvEEEESG_SJ_SK_mSL_SN_bEUlT_E_NS1_11comp_targetILNS1_3genE4ELNS1_11target_archE910ELNS1_3gpuE8ELNS1_3repE0EEENS1_30default_config_static_selectorELNS0_4arch9wavefront6targetE1EEEvT1_
	.globl	_ZN7rocprim17ROCPRIM_400000_NS6detail17trampoline_kernelINS0_14default_configENS1_25transform_config_selectorIdLb0EEEZNS1_14transform_implILb0ES3_S5_NS0_18transform_iteratorINS0_17counting_iteratorImlEEZNS1_24adjacent_difference_implIS3_Lb1ELb0EPdSB_N6thrust23THRUST_200600_302600_NS4plusIdEEEE10hipError_tPvRmT2_T3_mT4_P12ihipStream_tbEUlmE_dEESB_NS0_8identityIvEEEESG_SJ_SK_mSL_SN_bEUlT_E_NS1_11comp_targetILNS1_3genE4ELNS1_11target_archE910ELNS1_3gpuE8ELNS1_3repE0EEENS1_30default_config_static_selectorELNS0_4arch9wavefront6targetE1EEEvT1_
	.p2align	8
	.type	_ZN7rocprim17ROCPRIM_400000_NS6detail17trampoline_kernelINS0_14default_configENS1_25transform_config_selectorIdLb0EEEZNS1_14transform_implILb0ES3_S5_NS0_18transform_iteratorINS0_17counting_iteratorImlEEZNS1_24adjacent_difference_implIS3_Lb1ELb0EPdSB_N6thrust23THRUST_200600_302600_NS4plusIdEEEE10hipError_tPvRmT2_T3_mT4_P12ihipStream_tbEUlmE_dEESB_NS0_8identityIvEEEESG_SJ_SK_mSL_SN_bEUlT_E_NS1_11comp_targetILNS1_3genE4ELNS1_11target_archE910ELNS1_3gpuE8ELNS1_3repE0EEENS1_30default_config_static_selectorELNS0_4arch9wavefront6targetE1EEEvT1_,@function
_ZN7rocprim17ROCPRIM_400000_NS6detail17trampoline_kernelINS0_14default_configENS1_25transform_config_selectorIdLb0EEEZNS1_14transform_implILb0ES3_S5_NS0_18transform_iteratorINS0_17counting_iteratorImlEEZNS1_24adjacent_difference_implIS3_Lb1ELb0EPdSB_N6thrust23THRUST_200600_302600_NS4plusIdEEEE10hipError_tPvRmT2_T3_mT4_P12ihipStream_tbEUlmE_dEESB_NS0_8identityIvEEEESG_SJ_SK_mSL_SN_bEUlT_E_NS1_11comp_targetILNS1_3genE4ELNS1_11target_archE910ELNS1_3gpuE8ELNS1_3repE0EEENS1_30default_config_static_selectorELNS0_4arch9wavefront6targetE1EEEvT1_: ; @_ZN7rocprim17ROCPRIM_400000_NS6detail17trampoline_kernelINS0_14default_configENS1_25transform_config_selectorIdLb0EEEZNS1_14transform_implILb0ES3_S5_NS0_18transform_iteratorINS0_17counting_iteratorImlEEZNS1_24adjacent_difference_implIS3_Lb1ELb0EPdSB_N6thrust23THRUST_200600_302600_NS4plusIdEEEE10hipError_tPvRmT2_T3_mT4_P12ihipStream_tbEUlmE_dEESB_NS0_8identityIvEEEESG_SJ_SK_mSL_SN_bEUlT_E_NS1_11comp_targetILNS1_3genE4ELNS1_11target_archE910ELNS1_3gpuE8ELNS1_3repE0EEENS1_30default_config_static_selectorELNS0_4arch9wavefront6targetE1EEEvT1_
; %bb.0:
	.section	.rodata,"a",@progbits
	.p2align	6, 0x0
	.amdhsa_kernel _ZN7rocprim17ROCPRIM_400000_NS6detail17trampoline_kernelINS0_14default_configENS1_25transform_config_selectorIdLb0EEEZNS1_14transform_implILb0ES3_S5_NS0_18transform_iteratorINS0_17counting_iteratorImlEEZNS1_24adjacent_difference_implIS3_Lb1ELb0EPdSB_N6thrust23THRUST_200600_302600_NS4plusIdEEEE10hipError_tPvRmT2_T3_mT4_P12ihipStream_tbEUlmE_dEESB_NS0_8identityIvEEEESG_SJ_SK_mSL_SN_bEUlT_E_NS1_11comp_targetILNS1_3genE4ELNS1_11target_archE910ELNS1_3gpuE8ELNS1_3repE0EEENS1_30default_config_static_selectorELNS0_4arch9wavefront6targetE1EEEvT1_
		.amdhsa_group_segment_fixed_size 0
		.amdhsa_private_segment_fixed_size 0
		.amdhsa_kernarg_size 56
		.amdhsa_user_sgpr_count 2
		.amdhsa_user_sgpr_dispatch_ptr 0
		.amdhsa_user_sgpr_queue_ptr 0
		.amdhsa_user_sgpr_kernarg_segment_ptr 1
		.amdhsa_user_sgpr_dispatch_id 0
		.amdhsa_user_sgpr_kernarg_preload_length 0
		.amdhsa_user_sgpr_kernarg_preload_offset 0
		.amdhsa_user_sgpr_private_segment_size 0
		.amdhsa_uses_dynamic_stack 0
		.amdhsa_enable_private_segment 0
		.amdhsa_system_sgpr_workgroup_id_x 1
		.amdhsa_system_sgpr_workgroup_id_y 0
		.amdhsa_system_sgpr_workgroup_id_z 0
		.amdhsa_system_sgpr_workgroup_info 0
		.amdhsa_system_vgpr_workitem_id 0
		.amdhsa_next_free_vgpr 1
		.amdhsa_next_free_sgpr 0
		.amdhsa_accum_offset 4
		.amdhsa_reserve_vcc 0
		.amdhsa_float_round_mode_32 0
		.amdhsa_float_round_mode_16_64 0
		.amdhsa_float_denorm_mode_32 3
		.amdhsa_float_denorm_mode_16_64 3
		.amdhsa_dx10_clamp 1
		.amdhsa_ieee_mode 1
		.amdhsa_fp16_overflow 0
		.amdhsa_tg_split 0
		.amdhsa_exception_fp_ieee_invalid_op 0
		.amdhsa_exception_fp_denorm_src 0
		.amdhsa_exception_fp_ieee_div_zero 0
		.amdhsa_exception_fp_ieee_overflow 0
		.amdhsa_exception_fp_ieee_underflow 0
		.amdhsa_exception_fp_ieee_inexact 0
		.amdhsa_exception_int_div_zero 0
	.end_amdhsa_kernel
	.section	.text._ZN7rocprim17ROCPRIM_400000_NS6detail17trampoline_kernelINS0_14default_configENS1_25transform_config_selectorIdLb0EEEZNS1_14transform_implILb0ES3_S5_NS0_18transform_iteratorINS0_17counting_iteratorImlEEZNS1_24adjacent_difference_implIS3_Lb1ELb0EPdSB_N6thrust23THRUST_200600_302600_NS4plusIdEEEE10hipError_tPvRmT2_T3_mT4_P12ihipStream_tbEUlmE_dEESB_NS0_8identityIvEEEESG_SJ_SK_mSL_SN_bEUlT_E_NS1_11comp_targetILNS1_3genE4ELNS1_11target_archE910ELNS1_3gpuE8ELNS1_3repE0EEENS1_30default_config_static_selectorELNS0_4arch9wavefront6targetE1EEEvT1_,"axG",@progbits,_ZN7rocprim17ROCPRIM_400000_NS6detail17trampoline_kernelINS0_14default_configENS1_25transform_config_selectorIdLb0EEEZNS1_14transform_implILb0ES3_S5_NS0_18transform_iteratorINS0_17counting_iteratorImlEEZNS1_24adjacent_difference_implIS3_Lb1ELb0EPdSB_N6thrust23THRUST_200600_302600_NS4plusIdEEEE10hipError_tPvRmT2_T3_mT4_P12ihipStream_tbEUlmE_dEESB_NS0_8identityIvEEEESG_SJ_SK_mSL_SN_bEUlT_E_NS1_11comp_targetILNS1_3genE4ELNS1_11target_archE910ELNS1_3gpuE8ELNS1_3repE0EEENS1_30default_config_static_selectorELNS0_4arch9wavefront6targetE1EEEvT1_,comdat
.Lfunc_end451:
	.size	_ZN7rocprim17ROCPRIM_400000_NS6detail17trampoline_kernelINS0_14default_configENS1_25transform_config_selectorIdLb0EEEZNS1_14transform_implILb0ES3_S5_NS0_18transform_iteratorINS0_17counting_iteratorImlEEZNS1_24adjacent_difference_implIS3_Lb1ELb0EPdSB_N6thrust23THRUST_200600_302600_NS4plusIdEEEE10hipError_tPvRmT2_T3_mT4_P12ihipStream_tbEUlmE_dEESB_NS0_8identityIvEEEESG_SJ_SK_mSL_SN_bEUlT_E_NS1_11comp_targetILNS1_3genE4ELNS1_11target_archE910ELNS1_3gpuE8ELNS1_3repE0EEENS1_30default_config_static_selectorELNS0_4arch9wavefront6targetE1EEEvT1_, .Lfunc_end451-_ZN7rocprim17ROCPRIM_400000_NS6detail17trampoline_kernelINS0_14default_configENS1_25transform_config_selectorIdLb0EEEZNS1_14transform_implILb0ES3_S5_NS0_18transform_iteratorINS0_17counting_iteratorImlEEZNS1_24adjacent_difference_implIS3_Lb1ELb0EPdSB_N6thrust23THRUST_200600_302600_NS4plusIdEEEE10hipError_tPvRmT2_T3_mT4_P12ihipStream_tbEUlmE_dEESB_NS0_8identityIvEEEESG_SJ_SK_mSL_SN_bEUlT_E_NS1_11comp_targetILNS1_3genE4ELNS1_11target_archE910ELNS1_3gpuE8ELNS1_3repE0EEENS1_30default_config_static_selectorELNS0_4arch9wavefront6targetE1EEEvT1_
                                        ; -- End function
	.section	.AMDGPU.csdata,"",@progbits
; Kernel info:
; codeLenInByte = 0
; NumSgprs: 6
; NumVgprs: 0
; NumAgprs: 0
; TotalNumVgprs: 0
; ScratchSize: 0
; MemoryBound: 0
; FloatMode: 240
; IeeeMode: 1
; LDSByteSize: 0 bytes/workgroup (compile time only)
; SGPRBlocks: 0
; VGPRBlocks: 0
; NumSGPRsForWavesPerEU: 6
; NumVGPRsForWavesPerEU: 1
; AccumOffset: 4
; Occupancy: 8
; WaveLimiterHint : 0
; COMPUTE_PGM_RSRC2:SCRATCH_EN: 0
; COMPUTE_PGM_RSRC2:USER_SGPR: 2
; COMPUTE_PGM_RSRC2:TRAP_HANDLER: 0
; COMPUTE_PGM_RSRC2:TGID_X_EN: 1
; COMPUTE_PGM_RSRC2:TGID_Y_EN: 0
; COMPUTE_PGM_RSRC2:TGID_Z_EN: 0
; COMPUTE_PGM_RSRC2:TIDIG_COMP_CNT: 0
; COMPUTE_PGM_RSRC3_GFX90A:ACCUM_OFFSET: 0
; COMPUTE_PGM_RSRC3_GFX90A:TG_SPLIT: 0
	.section	.text._ZN7rocprim17ROCPRIM_400000_NS6detail17trampoline_kernelINS0_14default_configENS1_25transform_config_selectorIdLb0EEEZNS1_14transform_implILb0ES3_S5_NS0_18transform_iteratorINS0_17counting_iteratorImlEEZNS1_24adjacent_difference_implIS3_Lb1ELb0EPdSB_N6thrust23THRUST_200600_302600_NS4plusIdEEEE10hipError_tPvRmT2_T3_mT4_P12ihipStream_tbEUlmE_dEESB_NS0_8identityIvEEEESG_SJ_SK_mSL_SN_bEUlT_E_NS1_11comp_targetILNS1_3genE3ELNS1_11target_archE908ELNS1_3gpuE7ELNS1_3repE0EEENS1_30default_config_static_selectorELNS0_4arch9wavefront6targetE1EEEvT1_,"axG",@progbits,_ZN7rocprim17ROCPRIM_400000_NS6detail17trampoline_kernelINS0_14default_configENS1_25transform_config_selectorIdLb0EEEZNS1_14transform_implILb0ES3_S5_NS0_18transform_iteratorINS0_17counting_iteratorImlEEZNS1_24adjacent_difference_implIS3_Lb1ELb0EPdSB_N6thrust23THRUST_200600_302600_NS4plusIdEEEE10hipError_tPvRmT2_T3_mT4_P12ihipStream_tbEUlmE_dEESB_NS0_8identityIvEEEESG_SJ_SK_mSL_SN_bEUlT_E_NS1_11comp_targetILNS1_3genE3ELNS1_11target_archE908ELNS1_3gpuE7ELNS1_3repE0EEENS1_30default_config_static_selectorELNS0_4arch9wavefront6targetE1EEEvT1_,comdat
	.protected	_ZN7rocprim17ROCPRIM_400000_NS6detail17trampoline_kernelINS0_14default_configENS1_25transform_config_selectorIdLb0EEEZNS1_14transform_implILb0ES3_S5_NS0_18transform_iteratorINS0_17counting_iteratorImlEEZNS1_24adjacent_difference_implIS3_Lb1ELb0EPdSB_N6thrust23THRUST_200600_302600_NS4plusIdEEEE10hipError_tPvRmT2_T3_mT4_P12ihipStream_tbEUlmE_dEESB_NS0_8identityIvEEEESG_SJ_SK_mSL_SN_bEUlT_E_NS1_11comp_targetILNS1_3genE3ELNS1_11target_archE908ELNS1_3gpuE7ELNS1_3repE0EEENS1_30default_config_static_selectorELNS0_4arch9wavefront6targetE1EEEvT1_ ; -- Begin function _ZN7rocprim17ROCPRIM_400000_NS6detail17trampoline_kernelINS0_14default_configENS1_25transform_config_selectorIdLb0EEEZNS1_14transform_implILb0ES3_S5_NS0_18transform_iteratorINS0_17counting_iteratorImlEEZNS1_24adjacent_difference_implIS3_Lb1ELb0EPdSB_N6thrust23THRUST_200600_302600_NS4plusIdEEEE10hipError_tPvRmT2_T3_mT4_P12ihipStream_tbEUlmE_dEESB_NS0_8identityIvEEEESG_SJ_SK_mSL_SN_bEUlT_E_NS1_11comp_targetILNS1_3genE3ELNS1_11target_archE908ELNS1_3gpuE7ELNS1_3repE0EEENS1_30default_config_static_selectorELNS0_4arch9wavefront6targetE1EEEvT1_
	.globl	_ZN7rocprim17ROCPRIM_400000_NS6detail17trampoline_kernelINS0_14default_configENS1_25transform_config_selectorIdLb0EEEZNS1_14transform_implILb0ES3_S5_NS0_18transform_iteratorINS0_17counting_iteratorImlEEZNS1_24adjacent_difference_implIS3_Lb1ELb0EPdSB_N6thrust23THRUST_200600_302600_NS4plusIdEEEE10hipError_tPvRmT2_T3_mT4_P12ihipStream_tbEUlmE_dEESB_NS0_8identityIvEEEESG_SJ_SK_mSL_SN_bEUlT_E_NS1_11comp_targetILNS1_3genE3ELNS1_11target_archE908ELNS1_3gpuE7ELNS1_3repE0EEENS1_30default_config_static_selectorELNS0_4arch9wavefront6targetE1EEEvT1_
	.p2align	8
	.type	_ZN7rocprim17ROCPRIM_400000_NS6detail17trampoline_kernelINS0_14default_configENS1_25transform_config_selectorIdLb0EEEZNS1_14transform_implILb0ES3_S5_NS0_18transform_iteratorINS0_17counting_iteratorImlEEZNS1_24adjacent_difference_implIS3_Lb1ELb0EPdSB_N6thrust23THRUST_200600_302600_NS4plusIdEEEE10hipError_tPvRmT2_T3_mT4_P12ihipStream_tbEUlmE_dEESB_NS0_8identityIvEEEESG_SJ_SK_mSL_SN_bEUlT_E_NS1_11comp_targetILNS1_3genE3ELNS1_11target_archE908ELNS1_3gpuE7ELNS1_3repE0EEENS1_30default_config_static_selectorELNS0_4arch9wavefront6targetE1EEEvT1_,@function
_ZN7rocprim17ROCPRIM_400000_NS6detail17trampoline_kernelINS0_14default_configENS1_25transform_config_selectorIdLb0EEEZNS1_14transform_implILb0ES3_S5_NS0_18transform_iteratorINS0_17counting_iteratorImlEEZNS1_24adjacent_difference_implIS3_Lb1ELb0EPdSB_N6thrust23THRUST_200600_302600_NS4plusIdEEEE10hipError_tPvRmT2_T3_mT4_P12ihipStream_tbEUlmE_dEESB_NS0_8identityIvEEEESG_SJ_SK_mSL_SN_bEUlT_E_NS1_11comp_targetILNS1_3genE3ELNS1_11target_archE908ELNS1_3gpuE7ELNS1_3repE0EEENS1_30default_config_static_selectorELNS0_4arch9wavefront6targetE1EEEvT1_: ; @_ZN7rocprim17ROCPRIM_400000_NS6detail17trampoline_kernelINS0_14default_configENS1_25transform_config_selectorIdLb0EEEZNS1_14transform_implILb0ES3_S5_NS0_18transform_iteratorINS0_17counting_iteratorImlEEZNS1_24adjacent_difference_implIS3_Lb1ELb0EPdSB_N6thrust23THRUST_200600_302600_NS4plusIdEEEE10hipError_tPvRmT2_T3_mT4_P12ihipStream_tbEUlmE_dEESB_NS0_8identityIvEEEESG_SJ_SK_mSL_SN_bEUlT_E_NS1_11comp_targetILNS1_3genE3ELNS1_11target_archE908ELNS1_3gpuE7ELNS1_3repE0EEENS1_30default_config_static_selectorELNS0_4arch9wavefront6targetE1EEEvT1_
; %bb.0:
	.section	.rodata,"a",@progbits
	.p2align	6, 0x0
	.amdhsa_kernel _ZN7rocprim17ROCPRIM_400000_NS6detail17trampoline_kernelINS0_14default_configENS1_25transform_config_selectorIdLb0EEEZNS1_14transform_implILb0ES3_S5_NS0_18transform_iteratorINS0_17counting_iteratorImlEEZNS1_24adjacent_difference_implIS3_Lb1ELb0EPdSB_N6thrust23THRUST_200600_302600_NS4plusIdEEEE10hipError_tPvRmT2_T3_mT4_P12ihipStream_tbEUlmE_dEESB_NS0_8identityIvEEEESG_SJ_SK_mSL_SN_bEUlT_E_NS1_11comp_targetILNS1_3genE3ELNS1_11target_archE908ELNS1_3gpuE7ELNS1_3repE0EEENS1_30default_config_static_selectorELNS0_4arch9wavefront6targetE1EEEvT1_
		.amdhsa_group_segment_fixed_size 0
		.amdhsa_private_segment_fixed_size 0
		.amdhsa_kernarg_size 56
		.amdhsa_user_sgpr_count 2
		.amdhsa_user_sgpr_dispatch_ptr 0
		.amdhsa_user_sgpr_queue_ptr 0
		.amdhsa_user_sgpr_kernarg_segment_ptr 1
		.amdhsa_user_sgpr_dispatch_id 0
		.amdhsa_user_sgpr_kernarg_preload_length 0
		.amdhsa_user_sgpr_kernarg_preload_offset 0
		.amdhsa_user_sgpr_private_segment_size 0
		.amdhsa_uses_dynamic_stack 0
		.amdhsa_enable_private_segment 0
		.amdhsa_system_sgpr_workgroup_id_x 1
		.amdhsa_system_sgpr_workgroup_id_y 0
		.amdhsa_system_sgpr_workgroup_id_z 0
		.amdhsa_system_sgpr_workgroup_info 0
		.amdhsa_system_vgpr_workitem_id 0
		.amdhsa_next_free_vgpr 1
		.amdhsa_next_free_sgpr 0
		.amdhsa_accum_offset 4
		.amdhsa_reserve_vcc 0
		.amdhsa_float_round_mode_32 0
		.amdhsa_float_round_mode_16_64 0
		.amdhsa_float_denorm_mode_32 3
		.amdhsa_float_denorm_mode_16_64 3
		.amdhsa_dx10_clamp 1
		.amdhsa_ieee_mode 1
		.amdhsa_fp16_overflow 0
		.amdhsa_tg_split 0
		.amdhsa_exception_fp_ieee_invalid_op 0
		.amdhsa_exception_fp_denorm_src 0
		.amdhsa_exception_fp_ieee_div_zero 0
		.amdhsa_exception_fp_ieee_overflow 0
		.amdhsa_exception_fp_ieee_underflow 0
		.amdhsa_exception_fp_ieee_inexact 0
		.amdhsa_exception_int_div_zero 0
	.end_amdhsa_kernel
	.section	.text._ZN7rocprim17ROCPRIM_400000_NS6detail17trampoline_kernelINS0_14default_configENS1_25transform_config_selectorIdLb0EEEZNS1_14transform_implILb0ES3_S5_NS0_18transform_iteratorINS0_17counting_iteratorImlEEZNS1_24adjacent_difference_implIS3_Lb1ELb0EPdSB_N6thrust23THRUST_200600_302600_NS4plusIdEEEE10hipError_tPvRmT2_T3_mT4_P12ihipStream_tbEUlmE_dEESB_NS0_8identityIvEEEESG_SJ_SK_mSL_SN_bEUlT_E_NS1_11comp_targetILNS1_3genE3ELNS1_11target_archE908ELNS1_3gpuE7ELNS1_3repE0EEENS1_30default_config_static_selectorELNS0_4arch9wavefront6targetE1EEEvT1_,"axG",@progbits,_ZN7rocprim17ROCPRIM_400000_NS6detail17trampoline_kernelINS0_14default_configENS1_25transform_config_selectorIdLb0EEEZNS1_14transform_implILb0ES3_S5_NS0_18transform_iteratorINS0_17counting_iteratorImlEEZNS1_24adjacent_difference_implIS3_Lb1ELb0EPdSB_N6thrust23THRUST_200600_302600_NS4plusIdEEEE10hipError_tPvRmT2_T3_mT4_P12ihipStream_tbEUlmE_dEESB_NS0_8identityIvEEEESG_SJ_SK_mSL_SN_bEUlT_E_NS1_11comp_targetILNS1_3genE3ELNS1_11target_archE908ELNS1_3gpuE7ELNS1_3repE0EEENS1_30default_config_static_selectorELNS0_4arch9wavefront6targetE1EEEvT1_,comdat
.Lfunc_end452:
	.size	_ZN7rocprim17ROCPRIM_400000_NS6detail17trampoline_kernelINS0_14default_configENS1_25transform_config_selectorIdLb0EEEZNS1_14transform_implILb0ES3_S5_NS0_18transform_iteratorINS0_17counting_iteratorImlEEZNS1_24adjacent_difference_implIS3_Lb1ELb0EPdSB_N6thrust23THRUST_200600_302600_NS4plusIdEEEE10hipError_tPvRmT2_T3_mT4_P12ihipStream_tbEUlmE_dEESB_NS0_8identityIvEEEESG_SJ_SK_mSL_SN_bEUlT_E_NS1_11comp_targetILNS1_3genE3ELNS1_11target_archE908ELNS1_3gpuE7ELNS1_3repE0EEENS1_30default_config_static_selectorELNS0_4arch9wavefront6targetE1EEEvT1_, .Lfunc_end452-_ZN7rocprim17ROCPRIM_400000_NS6detail17trampoline_kernelINS0_14default_configENS1_25transform_config_selectorIdLb0EEEZNS1_14transform_implILb0ES3_S5_NS0_18transform_iteratorINS0_17counting_iteratorImlEEZNS1_24adjacent_difference_implIS3_Lb1ELb0EPdSB_N6thrust23THRUST_200600_302600_NS4plusIdEEEE10hipError_tPvRmT2_T3_mT4_P12ihipStream_tbEUlmE_dEESB_NS0_8identityIvEEEESG_SJ_SK_mSL_SN_bEUlT_E_NS1_11comp_targetILNS1_3genE3ELNS1_11target_archE908ELNS1_3gpuE7ELNS1_3repE0EEENS1_30default_config_static_selectorELNS0_4arch9wavefront6targetE1EEEvT1_
                                        ; -- End function
	.section	.AMDGPU.csdata,"",@progbits
; Kernel info:
; codeLenInByte = 0
; NumSgprs: 6
; NumVgprs: 0
; NumAgprs: 0
; TotalNumVgprs: 0
; ScratchSize: 0
; MemoryBound: 0
; FloatMode: 240
; IeeeMode: 1
; LDSByteSize: 0 bytes/workgroup (compile time only)
; SGPRBlocks: 0
; VGPRBlocks: 0
; NumSGPRsForWavesPerEU: 6
; NumVGPRsForWavesPerEU: 1
; AccumOffset: 4
; Occupancy: 8
; WaveLimiterHint : 0
; COMPUTE_PGM_RSRC2:SCRATCH_EN: 0
; COMPUTE_PGM_RSRC2:USER_SGPR: 2
; COMPUTE_PGM_RSRC2:TRAP_HANDLER: 0
; COMPUTE_PGM_RSRC2:TGID_X_EN: 1
; COMPUTE_PGM_RSRC2:TGID_Y_EN: 0
; COMPUTE_PGM_RSRC2:TGID_Z_EN: 0
; COMPUTE_PGM_RSRC2:TIDIG_COMP_CNT: 0
; COMPUTE_PGM_RSRC3_GFX90A:ACCUM_OFFSET: 0
; COMPUTE_PGM_RSRC3_GFX90A:TG_SPLIT: 0
	.section	.text._ZN7rocprim17ROCPRIM_400000_NS6detail17trampoline_kernelINS0_14default_configENS1_25transform_config_selectorIdLb0EEEZNS1_14transform_implILb0ES3_S5_NS0_18transform_iteratorINS0_17counting_iteratorImlEEZNS1_24adjacent_difference_implIS3_Lb1ELb0EPdSB_N6thrust23THRUST_200600_302600_NS4plusIdEEEE10hipError_tPvRmT2_T3_mT4_P12ihipStream_tbEUlmE_dEESB_NS0_8identityIvEEEESG_SJ_SK_mSL_SN_bEUlT_E_NS1_11comp_targetILNS1_3genE2ELNS1_11target_archE906ELNS1_3gpuE6ELNS1_3repE0EEENS1_30default_config_static_selectorELNS0_4arch9wavefront6targetE1EEEvT1_,"axG",@progbits,_ZN7rocprim17ROCPRIM_400000_NS6detail17trampoline_kernelINS0_14default_configENS1_25transform_config_selectorIdLb0EEEZNS1_14transform_implILb0ES3_S5_NS0_18transform_iteratorINS0_17counting_iteratorImlEEZNS1_24adjacent_difference_implIS3_Lb1ELb0EPdSB_N6thrust23THRUST_200600_302600_NS4plusIdEEEE10hipError_tPvRmT2_T3_mT4_P12ihipStream_tbEUlmE_dEESB_NS0_8identityIvEEEESG_SJ_SK_mSL_SN_bEUlT_E_NS1_11comp_targetILNS1_3genE2ELNS1_11target_archE906ELNS1_3gpuE6ELNS1_3repE0EEENS1_30default_config_static_selectorELNS0_4arch9wavefront6targetE1EEEvT1_,comdat
	.protected	_ZN7rocprim17ROCPRIM_400000_NS6detail17trampoline_kernelINS0_14default_configENS1_25transform_config_selectorIdLb0EEEZNS1_14transform_implILb0ES3_S5_NS0_18transform_iteratorINS0_17counting_iteratorImlEEZNS1_24adjacent_difference_implIS3_Lb1ELb0EPdSB_N6thrust23THRUST_200600_302600_NS4plusIdEEEE10hipError_tPvRmT2_T3_mT4_P12ihipStream_tbEUlmE_dEESB_NS0_8identityIvEEEESG_SJ_SK_mSL_SN_bEUlT_E_NS1_11comp_targetILNS1_3genE2ELNS1_11target_archE906ELNS1_3gpuE6ELNS1_3repE0EEENS1_30default_config_static_selectorELNS0_4arch9wavefront6targetE1EEEvT1_ ; -- Begin function _ZN7rocprim17ROCPRIM_400000_NS6detail17trampoline_kernelINS0_14default_configENS1_25transform_config_selectorIdLb0EEEZNS1_14transform_implILb0ES3_S5_NS0_18transform_iteratorINS0_17counting_iteratorImlEEZNS1_24adjacent_difference_implIS3_Lb1ELb0EPdSB_N6thrust23THRUST_200600_302600_NS4plusIdEEEE10hipError_tPvRmT2_T3_mT4_P12ihipStream_tbEUlmE_dEESB_NS0_8identityIvEEEESG_SJ_SK_mSL_SN_bEUlT_E_NS1_11comp_targetILNS1_3genE2ELNS1_11target_archE906ELNS1_3gpuE6ELNS1_3repE0EEENS1_30default_config_static_selectorELNS0_4arch9wavefront6targetE1EEEvT1_
	.globl	_ZN7rocprim17ROCPRIM_400000_NS6detail17trampoline_kernelINS0_14default_configENS1_25transform_config_selectorIdLb0EEEZNS1_14transform_implILb0ES3_S5_NS0_18transform_iteratorINS0_17counting_iteratorImlEEZNS1_24adjacent_difference_implIS3_Lb1ELb0EPdSB_N6thrust23THRUST_200600_302600_NS4plusIdEEEE10hipError_tPvRmT2_T3_mT4_P12ihipStream_tbEUlmE_dEESB_NS0_8identityIvEEEESG_SJ_SK_mSL_SN_bEUlT_E_NS1_11comp_targetILNS1_3genE2ELNS1_11target_archE906ELNS1_3gpuE6ELNS1_3repE0EEENS1_30default_config_static_selectorELNS0_4arch9wavefront6targetE1EEEvT1_
	.p2align	8
	.type	_ZN7rocprim17ROCPRIM_400000_NS6detail17trampoline_kernelINS0_14default_configENS1_25transform_config_selectorIdLb0EEEZNS1_14transform_implILb0ES3_S5_NS0_18transform_iteratorINS0_17counting_iteratorImlEEZNS1_24adjacent_difference_implIS3_Lb1ELb0EPdSB_N6thrust23THRUST_200600_302600_NS4plusIdEEEE10hipError_tPvRmT2_T3_mT4_P12ihipStream_tbEUlmE_dEESB_NS0_8identityIvEEEESG_SJ_SK_mSL_SN_bEUlT_E_NS1_11comp_targetILNS1_3genE2ELNS1_11target_archE906ELNS1_3gpuE6ELNS1_3repE0EEENS1_30default_config_static_selectorELNS0_4arch9wavefront6targetE1EEEvT1_,@function
_ZN7rocprim17ROCPRIM_400000_NS6detail17trampoline_kernelINS0_14default_configENS1_25transform_config_selectorIdLb0EEEZNS1_14transform_implILb0ES3_S5_NS0_18transform_iteratorINS0_17counting_iteratorImlEEZNS1_24adjacent_difference_implIS3_Lb1ELb0EPdSB_N6thrust23THRUST_200600_302600_NS4plusIdEEEE10hipError_tPvRmT2_T3_mT4_P12ihipStream_tbEUlmE_dEESB_NS0_8identityIvEEEESG_SJ_SK_mSL_SN_bEUlT_E_NS1_11comp_targetILNS1_3genE2ELNS1_11target_archE906ELNS1_3gpuE6ELNS1_3repE0EEENS1_30default_config_static_selectorELNS0_4arch9wavefront6targetE1EEEvT1_: ; @_ZN7rocprim17ROCPRIM_400000_NS6detail17trampoline_kernelINS0_14default_configENS1_25transform_config_selectorIdLb0EEEZNS1_14transform_implILb0ES3_S5_NS0_18transform_iteratorINS0_17counting_iteratorImlEEZNS1_24adjacent_difference_implIS3_Lb1ELb0EPdSB_N6thrust23THRUST_200600_302600_NS4plusIdEEEE10hipError_tPvRmT2_T3_mT4_P12ihipStream_tbEUlmE_dEESB_NS0_8identityIvEEEESG_SJ_SK_mSL_SN_bEUlT_E_NS1_11comp_targetILNS1_3genE2ELNS1_11target_archE906ELNS1_3gpuE6ELNS1_3repE0EEENS1_30default_config_static_selectorELNS0_4arch9wavefront6targetE1EEEvT1_
; %bb.0:
	.section	.rodata,"a",@progbits
	.p2align	6, 0x0
	.amdhsa_kernel _ZN7rocprim17ROCPRIM_400000_NS6detail17trampoline_kernelINS0_14default_configENS1_25transform_config_selectorIdLb0EEEZNS1_14transform_implILb0ES3_S5_NS0_18transform_iteratorINS0_17counting_iteratorImlEEZNS1_24adjacent_difference_implIS3_Lb1ELb0EPdSB_N6thrust23THRUST_200600_302600_NS4plusIdEEEE10hipError_tPvRmT2_T3_mT4_P12ihipStream_tbEUlmE_dEESB_NS0_8identityIvEEEESG_SJ_SK_mSL_SN_bEUlT_E_NS1_11comp_targetILNS1_3genE2ELNS1_11target_archE906ELNS1_3gpuE6ELNS1_3repE0EEENS1_30default_config_static_selectorELNS0_4arch9wavefront6targetE1EEEvT1_
		.amdhsa_group_segment_fixed_size 0
		.amdhsa_private_segment_fixed_size 0
		.amdhsa_kernarg_size 56
		.amdhsa_user_sgpr_count 2
		.amdhsa_user_sgpr_dispatch_ptr 0
		.amdhsa_user_sgpr_queue_ptr 0
		.amdhsa_user_sgpr_kernarg_segment_ptr 1
		.amdhsa_user_sgpr_dispatch_id 0
		.amdhsa_user_sgpr_kernarg_preload_length 0
		.amdhsa_user_sgpr_kernarg_preload_offset 0
		.amdhsa_user_sgpr_private_segment_size 0
		.amdhsa_uses_dynamic_stack 0
		.amdhsa_enable_private_segment 0
		.amdhsa_system_sgpr_workgroup_id_x 1
		.amdhsa_system_sgpr_workgroup_id_y 0
		.amdhsa_system_sgpr_workgroup_id_z 0
		.amdhsa_system_sgpr_workgroup_info 0
		.amdhsa_system_vgpr_workitem_id 0
		.amdhsa_next_free_vgpr 1
		.amdhsa_next_free_sgpr 0
		.amdhsa_accum_offset 4
		.amdhsa_reserve_vcc 0
		.amdhsa_float_round_mode_32 0
		.amdhsa_float_round_mode_16_64 0
		.amdhsa_float_denorm_mode_32 3
		.amdhsa_float_denorm_mode_16_64 3
		.amdhsa_dx10_clamp 1
		.amdhsa_ieee_mode 1
		.amdhsa_fp16_overflow 0
		.amdhsa_tg_split 0
		.amdhsa_exception_fp_ieee_invalid_op 0
		.amdhsa_exception_fp_denorm_src 0
		.amdhsa_exception_fp_ieee_div_zero 0
		.amdhsa_exception_fp_ieee_overflow 0
		.amdhsa_exception_fp_ieee_underflow 0
		.amdhsa_exception_fp_ieee_inexact 0
		.amdhsa_exception_int_div_zero 0
	.end_amdhsa_kernel
	.section	.text._ZN7rocprim17ROCPRIM_400000_NS6detail17trampoline_kernelINS0_14default_configENS1_25transform_config_selectorIdLb0EEEZNS1_14transform_implILb0ES3_S5_NS0_18transform_iteratorINS0_17counting_iteratorImlEEZNS1_24adjacent_difference_implIS3_Lb1ELb0EPdSB_N6thrust23THRUST_200600_302600_NS4plusIdEEEE10hipError_tPvRmT2_T3_mT4_P12ihipStream_tbEUlmE_dEESB_NS0_8identityIvEEEESG_SJ_SK_mSL_SN_bEUlT_E_NS1_11comp_targetILNS1_3genE2ELNS1_11target_archE906ELNS1_3gpuE6ELNS1_3repE0EEENS1_30default_config_static_selectorELNS0_4arch9wavefront6targetE1EEEvT1_,"axG",@progbits,_ZN7rocprim17ROCPRIM_400000_NS6detail17trampoline_kernelINS0_14default_configENS1_25transform_config_selectorIdLb0EEEZNS1_14transform_implILb0ES3_S5_NS0_18transform_iteratorINS0_17counting_iteratorImlEEZNS1_24adjacent_difference_implIS3_Lb1ELb0EPdSB_N6thrust23THRUST_200600_302600_NS4plusIdEEEE10hipError_tPvRmT2_T3_mT4_P12ihipStream_tbEUlmE_dEESB_NS0_8identityIvEEEESG_SJ_SK_mSL_SN_bEUlT_E_NS1_11comp_targetILNS1_3genE2ELNS1_11target_archE906ELNS1_3gpuE6ELNS1_3repE0EEENS1_30default_config_static_selectorELNS0_4arch9wavefront6targetE1EEEvT1_,comdat
.Lfunc_end453:
	.size	_ZN7rocprim17ROCPRIM_400000_NS6detail17trampoline_kernelINS0_14default_configENS1_25transform_config_selectorIdLb0EEEZNS1_14transform_implILb0ES3_S5_NS0_18transform_iteratorINS0_17counting_iteratorImlEEZNS1_24adjacent_difference_implIS3_Lb1ELb0EPdSB_N6thrust23THRUST_200600_302600_NS4plusIdEEEE10hipError_tPvRmT2_T3_mT4_P12ihipStream_tbEUlmE_dEESB_NS0_8identityIvEEEESG_SJ_SK_mSL_SN_bEUlT_E_NS1_11comp_targetILNS1_3genE2ELNS1_11target_archE906ELNS1_3gpuE6ELNS1_3repE0EEENS1_30default_config_static_selectorELNS0_4arch9wavefront6targetE1EEEvT1_, .Lfunc_end453-_ZN7rocprim17ROCPRIM_400000_NS6detail17trampoline_kernelINS0_14default_configENS1_25transform_config_selectorIdLb0EEEZNS1_14transform_implILb0ES3_S5_NS0_18transform_iteratorINS0_17counting_iteratorImlEEZNS1_24adjacent_difference_implIS3_Lb1ELb0EPdSB_N6thrust23THRUST_200600_302600_NS4plusIdEEEE10hipError_tPvRmT2_T3_mT4_P12ihipStream_tbEUlmE_dEESB_NS0_8identityIvEEEESG_SJ_SK_mSL_SN_bEUlT_E_NS1_11comp_targetILNS1_3genE2ELNS1_11target_archE906ELNS1_3gpuE6ELNS1_3repE0EEENS1_30default_config_static_selectorELNS0_4arch9wavefront6targetE1EEEvT1_
                                        ; -- End function
	.section	.AMDGPU.csdata,"",@progbits
; Kernel info:
; codeLenInByte = 0
; NumSgprs: 6
; NumVgprs: 0
; NumAgprs: 0
; TotalNumVgprs: 0
; ScratchSize: 0
; MemoryBound: 0
; FloatMode: 240
; IeeeMode: 1
; LDSByteSize: 0 bytes/workgroup (compile time only)
; SGPRBlocks: 0
; VGPRBlocks: 0
; NumSGPRsForWavesPerEU: 6
; NumVGPRsForWavesPerEU: 1
; AccumOffset: 4
; Occupancy: 8
; WaveLimiterHint : 0
; COMPUTE_PGM_RSRC2:SCRATCH_EN: 0
; COMPUTE_PGM_RSRC2:USER_SGPR: 2
; COMPUTE_PGM_RSRC2:TRAP_HANDLER: 0
; COMPUTE_PGM_RSRC2:TGID_X_EN: 1
; COMPUTE_PGM_RSRC2:TGID_Y_EN: 0
; COMPUTE_PGM_RSRC2:TGID_Z_EN: 0
; COMPUTE_PGM_RSRC2:TIDIG_COMP_CNT: 0
; COMPUTE_PGM_RSRC3_GFX90A:ACCUM_OFFSET: 0
; COMPUTE_PGM_RSRC3_GFX90A:TG_SPLIT: 0
	.section	.text._ZN7rocprim17ROCPRIM_400000_NS6detail17trampoline_kernelINS0_14default_configENS1_25transform_config_selectorIdLb0EEEZNS1_14transform_implILb0ES3_S5_NS0_18transform_iteratorINS0_17counting_iteratorImlEEZNS1_24adjacent_difference_implIS3_Lb1ELb0EPdSB_N6thrust23THRUST_200600_302600_NS4plusIdEEEE10hipError_tPvRmT2_T3_mT4_P12ihipStream_tbEUlmE_dEESB_NS0_8identityIvEEEESG_SJ_SK_mSL_SN_bEUlT_E_NS1_11comp_targetILNS1_3genE10ELNS1_11target_archE1201ELNS1_3gpuE5ELNS1_3repE0EEENS1_30default_config_static_selectorELNS0_4arch9wavefront6targetE1EEEvT1_,"axG",@progbits,_ZN7rocprim17ROCPRIM_400000_NS6detail17trampoline_kernelINS0_14default_configENS1_25transform_config_selectorIdLb0EEEZNS1_14transform_implILb0ES3_S5_NS0_18transform_iteratorINS0_17counting_iteratorImlEEZNS1_24adjacent_difference_implIS3_Lb1ELb0EPdSB_N6thrust23THRUST_200600_302600_NS4plusIdEEEE10hipError_tPvRmT2_T3_mT4_P12ihipStream_tbEUlmE_dEESB_NS0_8identityIvEEEESG_SJ_SK_mSL_SN_bEUlT_E_NS1_11comp_targetILNS1_3genE10ELNS1_11target_archE1201ELNS1_3gpuE5ELNS1_3repE0EEENS1_30default_config_static_selectorELNS0_4arch9wavefront6targetE1EEEvT1_,comdat
	.protected	_ZN7rocprim17ROCPRIM_400000_NS6detail17trampoline_kernelINS0_14default_configENS1_25transform_config_selectorIdLb0EEEZNS1_14transform_implILb0ES3_S5_NS0_18transform_iteratorINS0_17counting_iteratorImlEEZNS1_24adjacent_difference_implIS3_Lb1ELb0EPdSB_N6thrust23THRUST_200600_302600_NS4plusIdEEEE10hipError_tPvRmT2_T3_mT4_P12ihipStream_tbEUlmE_dEESB_NS0_8identityIvEEEESG_SJ_SK_mSL_SN_bEUlT_E_NS1_11comp_targetILNS1_3genE10ELNS1_11target_archE1201ELNS1_3gpuE5ELNS1_3repE0EEENS1_30default_config_static_selectorELNS0_4arch9wavefront6targetE1EEEvT1_ ; -- Begin function _ZN7rocprim17ROCPRIM_400000_NS6detail17trampoline_kernelINS0_14default_configENS1_25transform_config_selectorIdLb0EEEZNS1_14transform_implILb0ES3_S5_NS0_18transform_iteratorINS0_17counting_iteratorImlEEZNS1_24adjacent_difference_implIS3_Lb1ELb0EPdSB_N6thrust23THRUST_200600_302600_NS4plusIdEEEE10hipError_tPvRmT2_T3_mT4_P12ihipStream_tbEUlmE_dEESB_NS0_8identityIvEEEESG_SJ_SK_mSL_SN_bEUlT_E_NS1_11comp_targetILNS1_3genE10ELNS1_11target_archE1201ELNS1_3gpuE5ELNS1_3repE0EEENS1_30default_config_static_selectorELNS0_4arch9wavefront6targetE1EEEvT1_
	.globl	_ZN7rocprim17ROCPRIM_400000_NS6detail17trampoline_kernelINS0_14default_configENS1_25transform_config_selectorIdLb0EEEZNS1_14transform_implILb0ES3_S5_NS0_18transform_iteratorINS0_17counting_iteratorImlEEZNS1_24adjacent_difference_implIS3_Lb1ELb0EPdSB_N6thrust23THRUST_200600_302600_NS4plusIdEEEE10hipError_tPvRmT2_T3_mT4_P12ihipStream_tbEUlmE_dEESB_NS0_8identityIvEEEESG_SJ_SK_mSL_SN_bEUlT_E_NS1_11comp_targetILNS1_3genE10ELNS1_11target_archE1201ELNS1_3gpuE5ELNS1_3repE0EEENS1_30default_config_static_selectorELNS0_4arch9wavefront6targetE1EEEvT1_
	.p2align	8
	.type	_ZN7rocprim17ROCPRIM_400000_NS6detail17trampoline_kernelINS0_14default_configENS1_25transform_config_selectorIdLb0EEEZNS1_14transform_implILb0ES3_S5_NS0_18transform_iteratorINS0_17counting_iteratorImlEEZNS1_24adjacent_difference_implIS3_Lb1ELb0EPdSB_N6thrust23THRUST_200600_302600_NS4plusIdEEEE10hipError_tPvRmT2_T3_mT4_P12ihipStream_tbEUlmE_dEESB_NS0_8identityIvEEEESG_SJ_SK_mSL_SN_bEUlT_E_NS1_11comp_targetILNS1_3genE10ELNS1_11target_archE1201ELNS1_3gpuE5ELNS1_3repE0EEENS1_30default_config_static_selectorELNS0_4arch9wavefront6targetE1EEEvT1_,@function
_ZN7rocprim17ROCPRIM_400000_NS6detail17trampoline_kernelINS0_14default_configENS1_25transform_config_selectorIdLb0EEEZNS1_14transform_implILb0ES3_S5_NS0_18transform_iteratorINS0_17counting_iteratorImlEEZNS1_24adjacent_difference_implIS3_Lb1ELb0EPdSB_N6thrust23THRUST_200600_302600_NS4plusIdEEEE10hipError_tPvRmT2_T3_mT4_P12ihipStream_tbEUlmE_dEESB_NS0_8identityIvEEEESG_SJ_SK_mSL_SN_bEUlT_E_NS1_11comp_targetILNS1_3genE10ELNS1_11target_archE1201ELNS1_3gpuE5ELNS1_3repE0EEENS1_30default_config_static_selectorELNS0_4arch9wavefront6targetE1EEEvT1_: ; @_ZN7rocprim17ROCPRIM_400000_NS6detail17trampoline_kernelINS0_14default_configENS1_25transform_config_selectorIdLb0EEEZNS1_14transform_implILb0ES3_S5_NS0_18transform_iteratorINS0_17counting_iteratorImlEEZNS1_24adjacent_difference_implIS3_Lb1ELb0EPdSB_N6thrust23THRUST_200600_302600_NS4plusIdEEEE10hipError_tPvRmT2_T3_mT4_P12ihipStream_tbEUlmE_dEESB_NS0_8identityIvEEEESG_SJ_SK_mSL_SN_bEUlT_E_NS1_11comp_targetILNS1_3genE10ELNS1_11target_archE1201ELNS1_3gpuE5ELNS1_3repE0EEENS1_30default_config_static_selectorELNS0_4arch9wavefront6targetE1EEEvT1_
; %bb.0:
	.section	.rodata,"a",@progbits
	.p2align	6, 0x0
	.amdhsa_kernel _ZN7rocprim17ROCPRIM_400000_NS6detail17trampoline_kernelINS0_14default_configENS1_25transform_config_selectorIdLb0EEEZNS1_14transform_implILb0ES3_S5_NS0_18transform_iteratorINS0_17counting_iteratorImlEEZNS1_24adjacent_difference_implIS3_Lb1ELb0EPdSB_N6thrust23THRUST_200600_302600_NS4plusIdEEEE10hipError_tPvRmT2_T3_mT4_P12ihipStream_tbEUlmE_dEESB_NS0_8identityIvEEEESG_SJ_SK_mSL_SN_bEUlT_E_NS1_11comp_targetILNS1_3genE10ELNS1_11target_archE1201ELNS1_3gpuE5ELNS1_3repE0EEENS1_30default_config_static_selectorELNS0_4arch9wavefront6targetE1EEEvT1_
		.amdhsa_group_segment_fixed_size 0
		.amdhsa_private_segment_fixed_size 0
		.amdhsa_kernarg_size 56
		.amdhsa_user_sgpr_count 2
		.amdhsa_user_sgpr_dispatch_ptr 0
		.amdhsa_user_sgpr_queue_ptr 0
		.amdhsa_user_sgpr_kernarg_segment_ptr 1
		.amdhsa_user_sgpr_dispatch_id 0
		.amdhsa_user_sgpr_kernarg_preload_length 0
		.amdhsa_user_sgpr_kernarg_preload_offset 0
		.amdhsa_user_sgpr_private_segment_size 0
		.amdhsa_uses_dynamic_stack 0
		.amdhsa_enable_private_segment 0
		.amdhsa_system_sgpr_workgroup_id_x 1
		.amdhsa_system_sgpr_workgroup_id_y 0
		.amdhsa_system_sgpr_workgroup_id_z 0
		.amdhsa_system_sgpr_workgroup_info 0
		.amdhsa_system_vgpr_workitem_id 0
		.amdhsa_next_free_vgpr 1
		.amdhsa_next_free_sgpr 0
		.amdhsa_accum_offset 4
		.amdhsa_reserve_vcc 0
		.amdhsa_float_round_mode_32 0
		.amdhsa_float_round_mode_16_64 0
		.amdhsa_float_denorm_mode_32 3
		.amdhsa_float_denorm_mode_16_64 3
		.amdhsa_dx10_clamp 1
		.amdhsa_ieee_mode 1
		.amdhsa_fp16_overflow 0
		.amdhsa_tg_split 0
		.amdhsa_exception_fp_ieee_invalid_op 0
		.amdhsa_exception_fp_denorm_src 0
		.amdhsa_exception_fp_ieee_div_zero 0
		.amdhsa_exception_fp_ieee_overflow 0
		.amdhsa_exception_fp_ieee_underflow 0
		.amdhsa_exception_fp_ieee_inexact 0
		.amdhsa_exception_int_div_zero 0
	.end_amdhsa_kernel
	.section	.text._ZN7rocprim17ROCPRIM_400000_NS6detail17trampoline_kernelINS0_14default_configENS1_25transform_config_selectorIdLb0EEEZNS1_14transform_implILb0ES3_S5_NS0_18transform_iteratorINS0_17counting_iteratorImlEEZNS1_24adjacent_difference_implIS3_Lb1ELb0EPdSB_N6thrust23THRUST_200600_302600_NS4plusIdEEEE10hipError_tPvRmT2_T3_mT4_P12ihipStream_tbEUlmE_dEESB_NS0_8identityIvEEEESG_SJ_SK_mSL_SN_bEUlT_E_NS1_11comp_targetILNS1_3genE10ELNS1_11target_archE1201ELNS1_3gpuE5ELNS1_3repE0EEENS1_30default_config_static_selectorELNS0_4arch9wavefront6targetE1EEEvT1_,"axG",@progbits,_ZN7rocprim17ROCPRIM_400000_NS6detail17trampoline_kernelINS0_14default_configENS1_25transform_config_selectorIdLb0EEEZNS1_14transform_implILb0ES3_S5_NS0_18transform_iteratorINS0_17counting_iteratorImlEEZNS1_24adjacent_difference_implIS3_Lb1ELb0EPdSB_N6thrust23THRUST_200600_302600_NS4plusIdEEEE10hipError_tPvRmT2_T3_mT4_P12ihipStream_tbEUlmE_dEESB_NS0_8identityIvEEEESG_SJ_SK_mSL_SN_bEUlT_E_NS1_11comp_targetILNS1_3genE10ELNS1_11target_archE1201ELNS1_3gpuE5ELNS1_3repE0EEENS1_30default_config_static_selectorELNS0_4arch9wavefront6targetE1EEEvT1_,comdat
.Lfunc_end454:
	.size	_ZN7rocprim17ROCPRIM_400000_NS6detail17trampoline_kernelINS0_14default_configENS1_25transform_config_selectorIdLb0EEEZNS1_14transform_implILb0ES3_S5_NS0_18transform_iteratorINS0_17counting_iteratorImlEEZNS1_24adjacent_difference_implIS3_Lb1ELb0EPdSB_N6thrust23THRUST_200600_302600_NS4plusIdEEEE10hipError_tPvRmT2_T3_mT4_P12ihipStream_tbEUlmE_dEESB_NS0_8identityIvEEEESG_SJ_SK_mSL_SN_bEUlT_E_NS1_11comp_targetILNS1_3genE10ELNS1_11target_archE1201ELNS1_3gpuE5ELNS1_3repE0EEENS1_30default_config_static_selectorELNS0_4arch9wavefront6targetE1EEEvT1_, .Lfunc_end454-_ZN7rocprim17ROCPRIM_400000_NS6detail17trampoline_kernelINS0_14default_configENS1_25transform_config_selectorIdLb0EEEZNS1_14transform_implILb0ES3_S5_NS0_18transform_iteratorINS0_17counting_iteratorImlEEZNS1_24adjacent_difference_implIS3_Lb1ELb0EPdSB_N6thrust23THRUST_200600_302600_NS4plusIdEEEE10hipError_tPvRmT2_T3_mT4_P12ihipStream_tbEUlmE_dEESB_NS0_8identityIvEEEESG_SJ_SK_mSL_SN_bEUlT_E_NS1_11comp_targetILNS1_3genE10ELNS1_11target_archE1201ELNS1_3gpuE5ELNS1_3repE0EEENS1_30default_config_static_selectorELNS0_4arch9wavefront6targetE1EEEvT1_
                                        ; -- End function
	.section	.AMDGPU.csdata,"",@progbits
; Kernel info:
; codeLenInByte = 0
; NumSgprs: 6
; NumVgprs: 0
; NumAgprs: 0
; TotalNumVgprs: 0
; ScratchSize: 0
; MemoryBound: 0
; FloatMode: 240
; IeeeMode: 1
; LDSByteSize: 0 bytes/workgroup (compile time only)
; SGPRBlocks: 0
; VGPRBlocks: 0
; NumSGPRsForWavesPerEU: 6
; NumVGPRsForWavesPerEU: 1
; AccumOffset: 4
; Occupancy: 8
; WaveLimiterHint : 0
; COMPUTE_PGM_RSRC2:SCRATCH_EN: 0
; COMPUTE_PGM_RSRC2:USER_SGPR: 2
; COMPUTE_PGM_RSRC2:TRAP_HANDLER: 0
; COMPUTE_PGM_RSRC2:TGID_X_EN: 1
; COMPUTE_PGM_RSRC2:TGID_Y_EN: 0
; COMPUTE_PGM_RSRC2:TGID_Z_EN: 0
; COMPUTE_PGM_RSRC2:TIDIG_COMP_CNT: 0
; COMPUTE_PGM_RSRC3_GFX90A:ACCUM_OFFSET: 0
; COMPUTE_PGM_RSRC3_GFX90A:TG_SPLIT: 0
	.section	.text._ZN7rocprim17ROCPRIM_400000_NS6detail17trampoline_kernelINS0_14default_configENS1_25transform_config_selectorIdLb0EEEZNS1_14transform_implILb0ES3_S5_NS0_18transform_iteratorINS0_17counting_iteratorImlEEZNS1_24adjacent_difference_implIS3_Lb1ELb0EPdSB_N6thrust23THRUST_200600_302600_NS4plusIdEEEE10hipError_tPvRmT2_T3_mT4_P12ihipStream_tbEUlmE_dEESB_NS0_8identityIvEEEESG_SJ_SK_mSL_SN_bEUlT_E_NS1_11comp_targetILNS1_3genE10ELNS1_11target_archE1200ELNS1_3gpuE4ELNS1_3repE0EEENS1_30default_config_static_selectorELNS0_4arch9wavefront6targetE1EEEvT1_,"axG",@progbits,_ZN7rocprim17ROCPRIM_400000_NS6detail17trampoline_kernelINS0_14default_configENS1_25transform_config_selectorIdLb0EEEZNS1_14transform_implILb0ES3_S5_NS0_18transform_iteratorINS0_17counting_iteratorImlEEZNS1_24adjacent_difference_implIS3_Lb1ELb0EPdSB_N6thrust23THRUST_200600_302600_NS4plusIdEEEE10hipError_tPvRmT2_T3_mT4_P12ihipStream_tbEUlmE_dEESB_NS0_8identityIvEEEESG_SJ_SK_mSL_SN_bEUlT_E_NS1_11comp_targetILNS1_3genE10ELNS1_11target_archE1200ELNS1_3gpuE4ELNS1_3repE0EEENS1_30default_config_static_selectorELNS0_4arch9wavefront6targetE1EEEvT1_,comdat
	.protected	_ZN7rocprim17ROCPRIM_400000_NS6detail17trampoline_kernelINS0_14default_configENS1_25transform_config_selectorIdLb0EEEZNS1_14transform_implILb0ES3_S5_NS0_18transform_iteratorINS0_17counting_iteratorImlEEZNS1_24adjacent_difference_implIS3_Lb1ELb0EPdSB_N6thrust23THRUST_200600_302600_NS4plusIdEEEE10hipError_tPvRmT2_T3_mT4_P12ihipStream_tbEUlmE_dEESB_NS0_8identityIvEEEESG_SJ_SK_mSL_SN_bEUlT_E_NS1_11comp_targetILNS1_3genE10ELNS1_11target_archE1200ELNS1_3gpuE4ELNS1_3repE0EEENS1_30default_config_static_selectorELNS0_4arch9wavefront6targetE1EEEvT1_ ; -- Begin function _ZN7rocprim17ROCPRIM_400000_NS6detail17trampoline_kernelINS0_14default_configENS1_25transform_config_selectorIdLb0EEEZNS1_14transform_implILb0ES3_S5_NS0_18transform_iteratorINS0_17counting_iteratorImlEEZNS1_24adjacent_difference_implIS3_Lb1ELb0EPdSB_N6thrust23THRUST_200600_302600_NS4plusIdEEEE10hipError_tPvRmT2_T3_mT4_P12ihipStream_tbEUlmE_dEESB_NS0_8identityIvEEEESG_SJ_SK_mSL_SN_bEUlT_E_NS1_11comp_targetILNS1_3genE10ELNS1_11target_archE1200ELNS1_3gpuE4ELNS1_3repE0EEENS1_30default_config_static_selectorELNS0_4arch9wavefront6targetE1EEEvT1_
	.globl	_ZN7rocprim17ROCPRIM_400000_NS6detail17trampoline_kernelINS0_14default_configENS1_25transform_config_selectorIdLb0EEEZNS1_14transform_implILb0ES3_S5_NS0_18transform_iteratorINS0_17counting_iteratorImlEEZNS1_24adjacent_difference_implIS3_Lb1ELb0EPdSB_N6thrust23THRUST_200600_302600_NS4plusIdEEEE10hipError_tPvRmT2_T3_mT4_P12ihipStream_tbEUlmE_dEESB_NS0_8identityIvEEEESG_SJ_SK_mSL_SN_bEUlT_E_NS1_11comp_targetILNS1_3genE10ELNS1_11target_archE1200ELNS1_3gpuE4ELNS1_3repE0EEENS1_30default_config_static_selectorELNS0_4arch9wavefront6targetE1EEEvT1_
	.p2align	8
	.type	_ZN7rocprim17ROCPRIM_400000_NS6detail17trampoline_kernelINS0_14default_configENS1_25transform_config_selectorIdLb0EEEZNS1_14transform_implILb0ES3_S5_NS0_18transform_iteratorINS0_17counting_iteratorImlEEZNS1_24adjacent_difference_implIS3_Lb1ELb0EPdSB_N6thrust23THRUST_200600_302600_NS4plusIdEEEE10hipError_tPvRmT2_T3_mT4_P12ihipStream_tbEUlmE_dEESB_NS0_8identityIvEEEESG_SJ_SK_mSL_SN_bEUlT_E_NS1_11comp_targetILNS1_3genE10ELNS1_11target_archE1200ELNS1_3gpuE4ELNS1_3repE0EEENS1_30default_config_static_selectorELNS0_4arch9wavefront6targetE1EEEvT1_,@function
_ZN7rocprim17ROCPRIM_400000_NS6detail17trampoline_kernelINS0_14default_configENS1_25transform_config_selectorIdLb0EEEZNS1_14transform_implILb0ES3_S5_NS0_18transform_iteratorINS0_17counting_iteratorImlEEZNS1_24adjacent_difference_implIS3_Lb1ELb0EPdSB_N6thrust23THRUST_200600_302600_NS4plusIdEEEE10hipError_tPvRmT2_T3_mT4_P12ihipStream_tbEUlmE_dEESB_NS0_8identityIvEEEESG_SJ_SK_mSL_SN_bEUlT_E_NS1_11comp_targetILNS1_3genE10ELNS1_11target_archE1200ELNS1_3gpuE4ELNS1_3repE0EEENS1_30default_config_static_selectorELNS0_4arch9wavefront6targetE1EEEvT1_: ; @_ZN7rocprim17ROCPRIM_400000_NS6detail17trampoline_kernelINS0_14default_configENS1_25transform_config_selectorIdLb0EEEZNS1_14transform_implILb0ES3_S5_NS0_18transform_iteratorINS0_17counting_iteratorImlEEZNS1_24adjacent_difference_implIS3_Lb1ELb0EPdSB_N6thrust23THRUST_200600_302600_NS4plusIdEEEE10hipError_tPvRmT2_T3_mT4_P12ihipStream_tbEUlmE_dEESB_NS0_8identityIvEEEESG_SJ_SK_mSL_SN_bEUlT_E_NS1_11comp_targetILNS1_3genE10ELNS1_11target_archE1200ELNS1_3gpuE4ELNS1_3repE0EEENS1_30default_config_static_selectorELNS0_4arch9wavefront6targetE1EEEvT1_
; %bb.0:
	.section	.rodata,"a",@progbits
	.p2align	6, 0x0
	.amdhsa_kernel _ZN7rocprim17ROCPRIM_400000_NS6detail17trampoline_kernelINS0_14default_configENS1_25transform_config_selectorIdLb0EEEZNS1_14transform_implILb0ES3_S5_NS0_18transform_iteratorINS0_17counting_iteratorImlEEZNS1_24adjacent_difference_implIS3_Lb1ELb0EPdSB_N6thrust23THRUST_200600_302600_NS4plusIdEEEE10hipError_tPvRmT2_T3_mT4_P12ihipStream_tbEUlmE_dEESB_NS0_8identityIvEEEESG_SJ_SK_mSL_SN_bEUlT_E_NS1_11comp_targetILNS1_3genE10ELNS1_11target_archE1200ELNS1_3gpuE4ELNS1_3repE0EEENS1_30default_config_static_selectorELNS0_4arch9wavefront6targetE1EEEvT1_
		.amdhsa_group_segment_fixed_size 0
		.amdhsa_private_segment_fixed_size 0
		.amdhsa_kernarg_size 56
		.amdhsa_user_sgpr_count 2
		.amdhsa_user_sgpr_dispatch_ptr 0
		.amdhsa_user_sgpr_queue_ptr 0
		.amdhsa_user_sgpr_kernarg_segment_ptr 1
		.amdhsa_user_sgpr_dispatch_id 0
		.amdhsa_user_sgpr_kernarg_preload_length 0
		.amdhsa_user_sgpr_kernarg_preload_offset 0
		.amdhsa_user_sgpr_private_segment_size 0
		.amdhsa_uses_dynamic_stack 0
		.amdhsa_enable_private_segment 0
		.amdhsa_system_sgpr_workgroup_id_x 1
		.amdhsa_system_sgpr_workgroup_id_y 0
		.amdhsa_system_sgpr_workgroup_id_z 0
		.amdhsa_system_sgpr_workgroup_info 0
		.amdhsa_system_vgpr_workitem_id 0
		.amdhsa_next_free_vgpr 1
		.amdhsa_next_free_sgpr 0
		.amdhsa_accum_offset 4
		.amdhsa_reserve_vcc 0
		.amdhsa_float_round_mode_32 0
		.amdhsa_float_round_mode_16_64 0
		.amdhsa_float_denorm_mode_32 3
		.amdhsa_float_denorm_mode_16_64 3
		.amdhsa_dx10_clamp 1
		.amdhsa_ieee_mode 1
		.amdhsa_fp16_overflow 0
		.amdhsa_tg_split 0
		.amdhsa_exception_fp_ieee_invalid_op 0
		.amdhsa_exception_fp_denorm_src 0
		.amdhsa_exception_fp_ieee_div_zero 0
		.amdhsa_exception_fp_ieee_overflow 0
		.amdhsa_exception_fp_ieee_underflow 0
		.amdhsa_exception_fp_ieee_inexact 0
		.amdhsa_exception_int_div_zero 0
	.end_amdhsa_kernel
	.section	.text._ZN7rocprim17ROCPRIM_400000_NS6detail17trampoline_kernelINS0_14default_configENS1_25transform_config_selectorIdLb0EEEZNS1_14transform_implILb0ES3_S5_NS0_18transform_iteratorINS0_17counting_iteratorImlEEZNS1_24adjacent_difference_implIS3_Lb1ELb0EPdSB_N6thrust23THRUST_200600_302600_NS4plusIdEEEE10hipError_tPvRmT2_T3_mT4_P12ihipStream_tbEUlmE_dEESB_NS0_8identityIvEEEESG_SJ_SK_mSL_SN_bEUlT_E_NS1_11comp_targetILNS1_3genE10ELNS1_11target_archE1200ELNS1_3gpuE4ELNS1_3repE0EEENS1_30default_config_static_selectorELNS0_4arch9wavefront6targetE1EEEvT1_,"axG",@progbits,_ZN7rocprim17ROCPRIM_400000_NS6detail17trampoline_kernelINS0_14default_configENS1_25transform_config_selectorIdLb0EEEZNS1_14transform_implILb0ES3_S5_NS0_18transform_iteratorINS0_17counting_iteratorImlEEZNS1_24adjacent_difference_implIS3_Lb1ELb0EPdSB_N6thrust23THRUST_200600_302600_NS4plusIdEEEE10hipError_tPvRmT2_T3_mT4_P12ihipStream_tbEUlmE_dEESB_NS0_8identityIvEEEESG_SJ_SK_mSL_SN_bEUlT_E_NS1_11comp_targetILNS1_3genE10ELNS1_11target_archE1200ELNS1_3gpuE4ELNS1_3repE0EEENS1_30default_config_static_selectorELNS0_4arch9wavefront6targetE1EEEvT1_,comdat
.Lfunc_end455:
	.size	_ZN7rocprim17ROCPRIM_400000_NS6detail17trampoline_kernelINS0_14default_configENS1_25transform_config_selectorIdLb0EEEZNS1_14transform_implILb0ES3_S5_NS0_18transform_iteratorINS0_17counting_iteratorImlEEZNS1_24adjacent_difference_implIS3_Lb1ELb0EPdSB_N6thrust23THRUST_200600_302600_NS4plusIdEEEE10hipError_tPvRmT2_T3_mT4_P12ihipStream_tbEUlmE_dEESB_NS0_8identityIvEEEESG_SJ_SK_mSL_SN_bEUlT_E_NS1_11comp_targetILNS1_3genE10ELNS1_11target_archE1200ELNS1_3gpuE4ELNS1_3repE0EEENS1_30default_config_static_selectorELNS0_4arch9wavefront6targetE1EEEvT1_, .Lfunc_end455-_ZN7rocprim17ROCPRIM_400000_NS6detail17trampoline_kernelINS0_14default_configENS1_25transform_config_selectorIdLb0EEEZNS1_14transform_implILb0ES3_S5_NS0_18transform_iteratorINS0_17counting_iteratorImlEEZNS1_24adjacent_difference_implIS3_Lb1ELb0EPdSB_N6thrust23THRUST_200600_302600_NS4plusIdEEEE10hipError_tPvRmT2_T3_mT4_P12ihipStream_tbEUlmE_dEESB_NS0_8identityIvEEEESG_SJ_SK_mSL_SN_bEUlT_E_NS1_11comp_targetILNS1_3genE10ELNS1_11target_archE1200ELNS1_3gpuE4ELNS1_3repE0EEENS1_30default_config_static_selectorELNS0_4arch9wavefront6targetE1EEEvT1_
                                        ; -- End function
	.section	.AMDGPU.csdata,"",@progbits
; Kernel info:
; codeLenInByte = 0
; NumSgprs: 6
; NumVgprs: 0
; NumAgprs: 0
; TotalNumVgprs: 0
; ScratchSize: 0
; MemoryBound: 0
; FloatMode: 240
; IeeeMode: 1
; LDSByteSize: 0 bytes/workgroup (compile time only)
; SGPRBlocks: 0
; VGPRBlocks: 0
; NumSGPRsForWavesPerEU: 6
; NumVGPRsForWavesPerEU: 1
; AccumOffset: 4
; Occupancy: 8
; WaveLimiterHint : 0
; COMPUTE_PGM_RSRC2:SCRATCH_EN: 0
; COMPUTE_PGM_RSRC2:USER_SGPR: 2
; COMPUTE_PGM_RSRC2:TRAP_HANDLER: 0
; COMPUTE_PGM_RSRC2:TGID_X_EN: 1
; COMPUTE_PGM_RSRC2:TGID_Y_EN: 0
; COMPUTE_PGM_RSRC2:TGID_Z_EN: 0
; COMPUTE_PGM_RSRC2:TIDIG_COMP_CNT: 0
; COMPUTE_PGM_RSRC3_GFX90A:ACCUM_OFFSET: 0
; COMPUTE_PGM_RSRC3_GFX90A:TG_SPLIT: 0
	.section	.text._ZN7rocprim17ROCPRIM_400000_NS6detail17trampoline_kernelINS0_14default_configENS1_25transform_config_selectorIdLb0EEEZNS1_14transform_implILb0ES3_S5_NS0_18transform_iteratorINS0_17counting_iteratorImlEEZNS1_24adjacent_difference_implIS3_Lb1ELb0EPdSB_N6thrust23THRUST_200600_302600_NS4plusIdEEEE10hipError_tPvRmT2_T3_mT4_P12ihipStream_tbEUlmE_dEESB_NS0_8identityIvEEEESG_SJ_SK_mSL_SN_bEUlT_E_NS1_11comp_targetILNS1_3genE9ELNS1_11target_archE1100ELNS1_3gpuE3ELNS1_3repE0EEENS1_30default_config_static_selectorELNS0_4arch9wavefront6targetE1EEEvT1_,"axG",@progbits,_ZN7rocprim17ROCPRIM_400000_NS6detail17trampoline_kernelINS0_14default_configENS1_25transform_config_selectorIdLb0EEEZNS1_14transform_implILb0ES3_S5_NS0_18transform_iteratorINS0_17counting_iteratorImlEEZNS1_24adjacent_difference_implIS3_Lb1ELb0EPdSB_N6thrust23THRUST_200600_302600_NS4plusIdEEEE10hipError_tPvRmT2_T3_mT4_P12ihipStream_tbEUlmE_dEESB_NS0_8identityIvEEEESG_SJ_SK_mSL_SN_bEUlT_E_NS1_11comp_targetILNS1_3genE9ELNS1_11target_archE1100ELNS1_3gpuE3ELNS1_3repE0EEENS1_30default_config_static_selectorELNS0_4arch9wavefront6targetE1EEEvT1_,comdat
	.protected	_ZN7rocprim17ROCPRIM_400000_NS6detail17trampoline_kernelINS0_14default_configENS1_25transform_config_selectorIdLb0EEEZNS1_14transform_implILb0ES3_S5_NS0_18transform_iteratorINS0_17counting_iteratorImlEEZNS1_24adjacent_difference_implIS3_Lb1ELb0EPdSB_N6thrust23THRUST_200600_302600_NS4plusIdEEEE10hipError_tPvRmT2_T3_mT4_P12ihipStream_tbEUlmE_dEESB_NS0_8identityIvEEEESG_SJ_SK_mSL_SN_bEUlT_E_NS1_11comp_targetILNS1_3genE9ELNS1_11target_archE1100ELNS1_3gpuE3ELNS1_3repE0EEENS1_30default_config_static_selectorELNS0_4arch9wavefront6targetE1EEEvT1_ ; -- Begin function _ZN7rocprim17ROCPRIM_400000_NS6detail17trampoline_kernelINS0_14default_configENS1_25transform_config_selectorIdLb0EEEZNS1_14transform_implILb0ES3_S5_NS0_18transform_iteratorINS0_17counting_iteratorImlEEZNS1_24adjacent_difference_implIS3_Lb1ELb0EPdSB_N6thrust23THRUST_200600_302600_NS4plusIdEEEE10hipError_tPvRmT2_T3_mT4_P12ihipStream_tbEUlmE_dEESB_NS0_8identityIvEEEESG_SJ_SK_mSL_SN_bEUlT_E_NS1_11comp_targetILNS1_3genE9ELNS1_11target_archE1100ELNS1_3gpuE3ELNS1_3repE0EEENS1_30default_config_static_selectorELNS0_4arch9wavefront6targetE1EEEvT1_
	.globl	_ZN7rocprim17ROCPRIM_400000_NS6detail17trampoline_kernelINS0_14default_configENS1_25transform_config_selectorIdLb0EEEZNS1_14transform_implILb0ES3_S5_NS0_18transform_iteratorINS0_17counting_iteratorImlEEZNS1_24adjacent_difference_implIS3_Lb1ELb0EPdSB_N6thrust23THRUST_200600_302600_NS4plusIdEEEE10hipError_tPvRmT2_T3_mT4_P12ihipStream_tbEUlmE_dEESB_NS0_8identityIvEEEESG_SJ_SK_mSL_SN_bEUlT_E_NS1_11comp_targetILNS1_3genE9ELNS1_11target_archE1100ELNS1_3gpuE3ELNS1_3repE0EEENS1_30default_config_static_selectorELNS0_4arch9wavefront6targetE1EEEvT1_
	.p2align	8
	.type	_ZN7rocprim17ROCPRIM_400000_NS6detail17trampoline_kernelINS0_14default_configENS1_25transform_config_selectorIdLb0EEEZNS1_14transform_implILb0ES3_S5_NS0_18transform_iteratorINS0_17counting_iteratorImlEEZNS1_24adjacent_difference_implIS3_Lb1ELb0EPdSB_N6thrust23THRUST_200600_302600_NS4plusIdEEEE10hipError_tPvRmT2_T3_mT4_P12ihipStream_tbEUlmE_dEESB_NS0_8identityIvEEEESG_SJ_SK_mSL_SN_bEUlT_E_NS1_11comp_targetILNS1_3genE9ELNS1_11target_archE1100ELNS1_3gpuE3ELNS1_3repE0EEENS1_30default_config_static_selectorELNS0_4arch9wavefront6targetE1EEEvT1_,@function
_ZN7rocprim17ROCPRIM_400000_NS6detail17trampoline_kernelINS0_14default_configENS1_25transform_config_selectorIdLb0EEEZNS1_14transform_implILb0ES3_S5_NS0_18transform_iteratorINS0_17counting_iteratorImlEEZNS1_24adjacent_difference_implIS3_Lb1ELb0EPdSB_N6thrust23THRUST_200600_302600_NS4plusIdEEEE10hipError_tPvRmT2_T3_mT4_P12ihipStream_tbEUlmE_dEESB_NS0_8identityIvEEEESG_SJ_SK_mSL_SN_bEUlT_E_NS1_11comp_targetILNS1_3genE9ELNS1_11target_archE1100ELNS1_3gpuE3ELNS1_3repE0EEENS1_30default_config_static_selectorELNS0_4arch9wavefront6targetE1EEEvT1_: ; @_ZN7rocprim17ROCPRIM_400000_NS6detail17trampoline_kernelINS0_14default_configENS1_25transform_config_selectorIdLb0EEEZNS1_14transform_implILb0ES3_S5_NS0_18transform_iteratorINS0_17counting_iteratorImlEEZNS1_24adjacent_difference_implIS3_Lb1ELb0EPdSB_N6thrust23THRUST_200600_302600_NS4plusIdEEEE10hipError_tPvRmT2_T3_mT4_P12ihipStream_tbEUlmE_dEESB_NS0_8identityIvEEEESG_SJ_SK_mSL_SN_bEUlT_E_NS1_11comp_targetILNS1_3genE9ELNS1_11target_archE1100ELNS1_3gpuE3ELNS1_3repE0EEENS1_30default_config_static_selectorELNS0_4arch9wavefront6targetE1EEEvT1_
; %bb.0:
	.section	.rodata,"a",@progbits
	.p2align	6, 0x0
	.amdhsa_kernel _ZN7rocprim17ROCPRIM_400000_NS6detail17trampoline_kernelINS0_14default_configENS1_25transform_config_selectorIdLb0EEEZNS1_14transform_implILb0ES3_S5_NS0_18transform_iteratorINS0_17counting_iteratorImlEEZNS1_24adjacent_difference_implIS3_Lb1ELb0EPdSB_N6thrust23THRUST_200600_302600_NS4plusIdEEEE10hipError_tPvRmT2_T3_mT4_P12ihipStream_tbEUlmE_dEESB_NS0_8identityIvEEEESG_SJ_SK_mSL_SN_bEUlT_E_NS1_11comp_targetILNS1_3genE9ELNS1_11target_archE1100ELNS1_3gpuE3ELNS1_3repE0EEENS1_30default_config_static_selectorELNS0_4arch9wavefront6targetE1EEEvT1_
		.amdhsa_group_segment_fixed_size 0
		.amdhsa_private_segment_fixed_size 0
		.amdhsa_kernarg_size 56
		.amdhsa_user_sgpr_count 2
		.amdhsa_user_sgpr_dispatch_ptr 0
		.amdhsa_user_sgpr_queue_ptr 0
		.amdhsa_user_sgpr_kernarg_segment_ptr 1
		.amdhsa_user_sgpr_dispatch_id 0
		.amdhsa_user_sgpr_kernarg_preload_length 0
		.amdhsa_user_sgpr_kernarg_preload_offset 0
		.amdhsa_user_sgpr_private_segment_size 0
		.amdhsa_uses_dynamic_stack 0
		.amdhsa_enable_private_segment 0
		.amdhsa_system_sgpr_workgroup_id_x 1
		.amdhsa_system_sgpr_workgroup_id_y 0
		.amdhsa_system_sgpr_workgroup_id_z 0
		.amdhsa_system_sgpr_workgroup_info 0
		.amdhsa_system_vgpr_workitem_id 0
		.amdhsa_next_free_vgpr 1
		.amdhsa_next_free_sgpr 0
		.amdhsa_accum_offset 4
		.amdhsa_reserve_vcc 0
		.amdhsa_float_round_mode_32 0
		.amdhsa_float_round_mode_16_64 0
		.amdhsa_float_denorm_mode_32 3
		.amdhsa_float_denorm_mode_16_64 3
		.amdhsa_dx10_clamp 1
		.amdhsa_ieee_mode 1
		.amdhsa_fp16_overflow 0
		.amdhsa_tg_split 0
		.amdhsa_exception_fp_ieee_invalid_op 0
		.amdhsa_exception_fp_denorm_src 0
		.amdhsa_exception_fp_ieee_div_zero 0
		.amdhsa_exception_fp_ieee_overflow 0
		.amdhsa_exception_fp_ieee_underflow 0
		.amdhsa_exception_fp_ieee_inexact 0
		.amdhsa_exception_int_div_zero 0
	.end_amdhsa_kernel
	.section	.text._ZN7rocprim17ROCPRIM_400000_NS6detail17trampoline_kernelINS0_14default_configENS1_25transform_config_selectorIdLb0EEEZNS1_14transform_implILb0ES3_S5_NS0_18transform_iteratorINS0_17counting_iteratorImlEEZNS1_24adjacent_difference_implIS3_Lb1ELb0EPdSB_N6thrust23THRUST_200600_302600_NS4plusIdEEEE10hipError_tPvRmT2_T3_mT4_P12ihipStream_tbEUlmE_dEESB_NS0_8identityIvEEEESG_SJ_SK_mSL_SN_bEUlT_E_NS1_11comp_targetILNS1_3genE9ELNS1_11target_archE1100ELNS1_3gpuE3ELNS1_3repE0EEENS1_30default_config_static_selectorELNS0_4arch9wavefront6targetE1EEEvT1_,"axG",@progbits,_ZN7rocprim17ROCPRIM_400000_NS6detail17trampoline_kernelINS0_14default_configENS1_25transform_config_selectorIdLb0EEEZNS1_14transform_implILb0ES3_S5_NS0_18transform_iteratorINS0_17counting_iteratorImlEEZNS1_24adjacent_difference_implIS3_Lb1ELb0EPdSB_N6thrust23THRUST_200600_302600_NS4plusIdEEEE10hipError_tPvRmT2_T3_mT4_P12ihipStream_tbEUlmE_dEESB_NS0_8identityIvEEEESG_SJ_SK_mSL_SN_bEUlT_E_NS1_11comp_targetILNS1_3genE9ELNS1_11target_archE1100ELNS1_3gpuE3ELNS1_3repE0EEENS1_30default_config_static_selectorELNS0_4arch9wavefront6targetE1EEEvT1_,comdat
.Lfunc_end456:
	.size	_ZN7rocprim17ROCPRIM_400000_NS6detail17trampoline_kernelINS0_14default_configENS1_25transform_config_selectorIdLb0EEEZNS1_14transform_implILb0ES3_S5_NS0_18transform_iteratorINS0_17counting_iteratorImlEEZNS1_24adjacent_difference_implIS3_Lb1ELb0EPdSB_N6thrust23THRUST_200600_302600_NS4plusIdEEEE10hipError_tPvRmT2_T3_mT4_P12ihipStream_tbEUlmE_dEESB_NS0_8identityIvEEEESG_SJ_SK_mSL_SN_bEUlT_E_NS1_11comp_targetILNS1_3genE9ELNS1_11target_archE1100ELNS1_3gpuE3ELNS1_3repE0EEENS1_30default_config_static_selectorELNS0_4arch9wavefront6targetE1EEEvT1_, .Lfunc_end456-_ZN7rocprim17ROCPRIM_400000_NS6detail17trampoline_kernelINS0_14default_configENS1_25transform_config_selectorIdLb0EEEZNS1_14transform_implILb0ES3_S5_NS0_18transform_iteratorINS0_17counting_iteratorImlEEZNS1_24adjacent_difference_implIS3_Lb1ELb0EPdSB_N6thrust23THRUST_200600_302600_NS4plusIdEEEE10hipError_tPvRmT2_T3_mT4_P12ihipStream_tbEUlmE_dEESB_NS0_8identityIvEEEESG_SJ_SK_mSL_SN_bEUlT_E_NS1_11comp_targetILNS1_3genE9ELNS1_11target_archE1100ELNS1_3gpuE3ELNS1_3repE0EEENS1_30default_config_static_selectorELNS0_4arch9wavefront6targetE1EEEvT1_
                                        ; -- End function
	.section	.AMDGPU.csdata,"",@progbits
; Kernel info:
; codeLenInByte = 0
; NumSgprs: 6
; NumVgprs: 0
; NumAgprs: 0
; TotalNumVgprs: 0
; ScratchSize: 0
; MemoryBound: 0
; FloatMode: 240
; IeeeMode: 1
; LDSByteSize: 0 bytes/workgroup (compile time only)
; SGPRBlocks: 0
; VGPRBlocks: 0
; NumSGPRsForWavesPerEU: 6
; NumVGPRsForWavesPerEU: 1
; AccumOffset: 4
; Occupancy: 8
; WaveLimiterHint : 0
; COMPUTE_PGM_RSRC2:SCRATCH_EN: 0
; COMPUTE_PGM_RSRC2:USER_SGPR: 2
; COMPUTE_PGM_RSRC2:TRAP_HANDLER: 0
; COMPUTE_PGM_RSRC2:TGID_X_EN: 1
; COMPUTE_PGM_RSRC2:TGID_Y_EN: 0
; COMPUTE_PGM_RSRC2:TGID_Z_EN: 0
; COMPUTE_PGM_RSRC2:TIDIG_COMP_CNT: 0
; COMPUTE_PGM_RSRC3_GFX90A:ACCUM_OFFSET: 0
; COMPUTE_PGM_RSRC3_GFX90A:TG_SPLIT: 0
	.section	.text._ZN7rocprim17ROCPRIM_400000_NS6detail17trampoline_kernelINS0_14default_configENS1_25transform_config_selectorIdLb0EEEZNS1_14transform_implILb0ES3_S5_NS0_18transform_iteratorINS0_17counting_iteratorImlEEZNS1_24adjacent_difference_implIS3_Lb1ELb0EPdSB_N6thrust23THRUST_200600_302600_NS4plusIdEEEE10hipError_tPvRmT2_T3_mT4_P12ihipStream_tbEUlmE_dEESB_NS0_8identityIvEEEESG_SJ_SK_mSL_SN_bEUlT_E_NS1_11comp_targetILNS1_3genE8ELNS1_11target_archE1030ELNS1_3gpuE2ELNS1_3repE0EEENS1_30default_config_static_selectorELNS0_4arch9wavefront6targetE1EEEvT1_,"axG",@progbits,_ZN7rocprim17ROCPRIM_400000_NS6detail17trampoline_kernelINS0_14default_configENS1_25transform_config_selectorIdLb0EEEZNS1_14transform_implILb0ES3_S5_NS0_18transform_iteratorINS0_17counting_iteratorImlEEZNS1_24adjacent_difference_implIS3_Lb1ELb0EPdSB_N6thrust23THRUST_200600_302600_NS4plusIdEEEE10hipError_tPvRmT2_T3_mT4_P12ihipStream_tbEUlmE_dEESB_NS0_8identityIvEEEESG_SJ_SK_mSL_SN_bEUlT_E_NS1_11comp_targetILNS1_3genE8ELNS1_11target_archE1030ELNS1_3gpuE2ELNS1_3repE0EEENS1_30default_config_static_selectorELNS0_4arch9wavefront6targetE1EEEvT1_,comdat
	.protected	_ZN7rocprim17ROCPRIM_400000_NS6detail17trampoline_kernelINS0_14default_configENS1_25transform_config_selectorIdLb0EEEZNS1_14transform_implILb0ES3_S5_NS0_18transform_iteratorINS0_17counting_iteratorImlEEZNS1_24adjacent_difference_implIS3_Lb1ELb0EPdSB_N6thrust23THRUST_200600_302600_NS4plusIdEEEE10hipError_tPvRmT2_T3_mT4_P12ihipStream_tbEUlmE_dEESB_NS0_8identityIvEEEESG_SJ_SK_mSL_SN_bEUlT_E_NS1_11comp_targetILNS1_3genE8ELNS1_11target_archE1030ELNS1_3gpuE2ELNS1_3repE0EEENS1_30default_config_static_selectorELNS0_4arch9wavefront6targetE1EEEvT1_ ; -- Begin function _ZN7rocprim17ROCPRIM_400000_NS6detail17trampoline_kernelINS0_14default_configENS1_25transform_config_selectorIdLb0EEEZNS1_14transform_implILb0ES3_S5_NS0_18transform_iteratorINS0_17counting_iteratorImlEEZNS1_24adjacent_difference_implIS3_Lb1ELb0EPdSB_N6thrust23THRUST_200600_302600_NS4plusIdEEEE10hipError_tPvRmT2_T3_mT4_P12ihipStream_tbEUlmE_dEESB_NS0_8identityIvEEEESG_SJ_SK_mSL_SN_bEUlT_E_NS1_11comp_targetILNS1_3genE8ELNS1_11target_archE1030ELNS1_3gpuE2ELNS1_3repE0EEENS1_30default_config_static_selectorELNS0_4arch9wavefront6targetE1EEEvT1_
	.globl	_ZN7rocprim17ROCPRIM_400000_NS6detail17trampoline_kernelINS0_14default_configENS1_25transform_config_selectorIdLb0EEEZNS1_14transform_implILb0ES3_S5_NS0_18transform_iteratorINS0_17counting_iteratorImlEEZNS1_24adjacent_difference_implIS3_Lb1ELb0EPdSB_N6thrust23THRUST_200600_302600_NS4plusIdEEEE10hipError_tPvRmT2_T3_mT4_P12ihipStream_tbEUlmE_dEESB_NS0_8identityIvEEEESG_SJ_SK_mSL_SN_bEUlT_E_NS1_11comp_targetILNS1_3genE8ELNS1_11target_archE1030ELNS1_3gpuE2ELNS1_3repE0EEENS1_30default_config_static_selectorELNS0_4arch9wavefront6targetE1EEEvT1_
	.p2align	8
	.type	_ZN7rocprim17ROCPRIM_400000_NS6detail17trampoline_kernelINS0_14default_configENS1_25transform_config_selectorIdLb0EEEZNS1_14transform_implILb0ES3_S5_NS0_18transform_iteratorINS0_17counting_iteratorImlEEZNS1_24adjacent_difference_implIS3_Lb1ELb0EPdSB_N6thrust23THRUST_200600_302600_NS4plusIdEEEE10hipError_tPvRmT2_T3_mT4_P12ihipStream_tbEUlmE_dEESB_NS0_8identityIvEEEESG_SJ_SK_mSL_SN_bEUlT_E_NS1_11comp_targetILNS1_3genE8ELNS1_11target_archE1030ELNS1_3gpuE2ELNS1_3repE0EEENS1_30default_config_static_selectorELNS0_4arch9wavefront6targetE1EEEvT1_,@function
_ZN7rocprim17ROCPRIM_400000_NS6detail17trampoline_kernelINS0_14default_configENS1_25transform_config_selectorIdLb0EEEZNS1_14transform_implILb0ES3_S5_NS0_18transform_iteratorINS0_17counting_iteratorImlEEZNS1_24adjacent_difference_implIS3_Lb1ELb0EPdSB_N6thrust23THRUST_200600_302600_NS4plusIdEEEE10hipError_tPvRmT2_T3_mT4_P12ihipStream_tbEUlmE_dEESB_NS0_8identityIvEEEESG_SJ_SK_mSL_SN_bEUlT_E_NS1_11comp_targetILNS1_3genE8ELNS1_11target_archE1030ELNS1_3gpuE2ELNS1_3repE0EEENS1_30default_config_static_selectorELNS0_4arch9wavefront6targetE1EEEvT1_: ; @_ZN7rocprim17ROCPRIM_400000_NS6detail17trampoline_kernelINS0_14default_configENS1_25transform_config_selectorIdLb0EEEZNS1_14transform_implILb0ES3_S5_NS0_18transform_iteratorINS0_17counting_iteratorImlEEZNS1_24adjacent_difference_implIS3_Lb1ELb0EPdSB_N6thrust23THRUST_200600_302600_NS4plusIdEEEE10hipError_tPvRmT2_T3_mT4_P12ihipStream_tbEUlmE_dEESB_NS0_8identityIvEEEESG_SJ_SK_mSL_SN_bEUlT_E_NS1_11comp_targetILNS1_3genE8ELNS1_11target_archE1030ELNS1_3gpuE2ELNS1_3repE0EEENS1_30default_config_static_selectorELNS0_4arch9wavefront6targetE1EEEvT1_
; %bb.0:
	.section	.rodata,"a",@progbits
	.p2align	6, 0x0
	.amdhsa_kernel _ZN7rocprim17ROCPRIM_400000_NS6detail17trampoline_kernelINS0_14default_configENS1_25transform_config_selectorIdLb0EEEZNS1_14transform_implILb0ES3_S5_NS0_18transform_iteratorINS0_17counting_iteratorImlEEZNS1_24adjacent_difference_implIS3_Lb1ELb0EPdSB_N6thrust23THRUST_200600_302600_NS4plusIdEEEE10hipError_tPvRmT2_T3_mT4_P12ihipStream_tbEUlmE_dEESB_NS0_8identityIvEEEESG_SJ_SK_mSL_SN_bEUlT_E_NS1_11comp_targetILNS1_3genE8ELNS1_11target_archE1030ELNS1_3gpuE2ELNS1_3repE0EEENS1_30default_config_static_selectorELNS0_4arch9wavefront6targetE1EEEvT1_
		.amdhsa_group_segment_fixed_size 0
		.amdhsa_private_segment_fixed_size 0
		.amdhsa_kernarg_size 56
		.amdhsa_user_sgpr_count 2
		.amdhsa_user_sgpr_dispatch_ptr 0
		.amdhsa_user_sgpr_queue_ptr 0
		.amdhsa_user_sgpr_kernarg_segment_ptr 1
		.amdhsa_user_sgpr_dispatch_id 0
		.amdhsa_user_sgpr_kernarg_preload_length 0
		.amdhsa_user_sgpr_kernarg_preload_offset 0
		.amdhsa_user_sgpr_private_segment_size 0
		.amdhsa_uses_dynamic_stack 0
		.amdhsa_enable_private_segment 0
		.amdhsa_system_sgpr_workgroup_id_x 1
		.amdhsa_system_sgpr_workgroup_id_y 0
		.amdhsa_system_sgpr_workgroup_id_z 0
		.amdhsa_system_sgpr_workgroup_info 0
		.amdhsa_system_vgpr_workitem_id 0
		.amdhsa_next_free_vgpr 1
		.amdhsa_next_free_sgpr 0
		.amdhsa_accum_offset 4
		.amdhsa_reserve_vcc 0
		.amdhsa_float_round_mode_32 0
		.amdhsa_float_round_mode_16_64 0
		.amdhsa_float_denorm_mode_32 3
		.amdhsa_float_denorm_mode_16_64 3
		.amdhsa_dx10_clamp 1
		.amdhsa_ieee_mode 1
		.amdhsa_fp16_overflow 0
		.amdhsa_tg_split 0
		.amdhsa_exception_fp_ieee_invalid_op 0
		.amdhsa_exception_fp_denorm_src 0
		.amdhsa_exception_fp_ieee_div_zero 0
		.amdhsa_exception_fp_ieee_overflow 0
		.amdhsa_exception_fp_ieee_underflow 0
		.amdhsa_exception_fp_ieee_inexact 0
		.amdhsa_exception_int_div_zero 0
	.end_amdhsa_kernel
	.section	.text._ZN7rocprim17ROCPRIM_400000_NS6detail17trampoline_kernelINS0_14default_configENS1_25transform_config_selectorIdLb0EEEZNS1_14transform_implILb0ES3_S5_NS0_18transform_iteratorINS0_17counting_iteratorImlEEZNS1_24adjacent_difference_implIS3_Lb1ELb0EPdSB_N6thrust23THRUST_200600_302600_NS4plusIdEEEE10hipError_tPvRmT2_T3_mT4_P12ihipStream_tbEUlmE_dEESB_NS0_8identityIvEEEESG_SJ_SK_mSL_SN_bEUlT_E_NS1_11comp_targetILNS1_3genE8ELNS1_11target_archE1030ELNS1_3gpuE2ELNS1_3repE0EEENS1_30default_config_static_selectorELNS0_4arch9wavefront6targetE1EEEvT1_,"axG",@progbits,_ZN7rocprim17ROCPRIM_400000_NS6detail17trampoline_kernelINS0_14default_configENS1_25transform_config_selectorIdLb0EEEZNS1_14transform_implILb0ES3_S5_NS0_18transform_iteratorINS0_17counting_iteratorImlEEZNS1_24adjacent_difference_implIS3_Lb1ELb0EPdSB_N6thrust23THRUST_200600_302600_NS4plusIdEEEE10hipError_tPvRmT2_T3_mT4_P12ihipStream_tbEUlmE_dEESB_NS0_8identityIvEEEESG_SJ_SK_mSL_SN_bEUlT_E_NS1_11comp_targetILNS1_3genE8ELNS1_11target_archE1030ELNS1_3gpuE2ELNS1_3repE0EEENS1_30default_config_static_selectorELNS0_4arch9wavefront6targetE1EEEvT1_,comdat
.Lfunc_end457:
	.size	_ZN7rocprim17ROCPRIM_400000_NS6detail17trampoline_kernelINS0_14default_configENS1_25transform_config_selectorIdLb0EEEZNS1_14transform_implILb0ES3_S5_NS0_18transform_iteratorINS0_17counting_iteratorImlEEZNS1_24adjacent_difference_implIS3_Lb1ELb0EPdSB_N6thrust23THRUST_200600_302600_NS4plusIdEEEE10hipError_tPvRmT2_T3_mT4_P12ihipStream_tbEUlmE_dEESB_NS0_8identityIvEEEESG_SJ_SK_mSL_SN_bEUlT_E_NS1_11comp_targetILNS1_3genE8ELNS1_11target_archE1030ELNS1_3gpuE2ELNS1_3repE0EEENS1_30default_config_static_selectorELNS0_4arch9wavefront6targetE1EEEvT1_, .Lfunc_end457-_ZN7rocprim17ROCPRIM_400000_NS6detail17trampoline_kernelINS0_14default_configENS1_25transform_config_selectorIdLb0EEEZNS1_14transform_implILb0ES3_S5_NS0_18transform_iteratorINS0_17counting_iteratorImlEEZNS1_24adjacent_difference_implIS3_Lb1ELb0EPdSB_N6thrust23THRUST_200600_302600_NS4plusIdEEEE10hipError_tPvRmT2_T3_mT4_P12ihipStream_tbEUlmE_dEESB_NS0_8identityIvEEEESG_SJ_SK_mSL_SN_bEUlT_E_NS1_11comp_targetILNS1_3genE8ELNS1_11target_archE1030ELNS1_3gpuE2ELNS1_3repE0EEENS1_30default_config_static_selectorELNS0_4arch9wavefront6targetE1EEEvT1_
                                        ; -- End function
	.section	.AMDGPU.csdata,"",@progbits
; Kernel info:
; codeLenInByte = 0
; NumSgprs: 6
; NumVgprs: 0
; NumAgprs: 0
; TotalNumVgprs: 0
; ScratchSize: 0
; MemoryBound: 0
; FloatMode: 240
; IeeeMode: 1
; LDSByteSize: 0 bytes/workgroup (compile time only)
; SGPRBlocks: 0
; VGPRBlocks: 0
; NumSGPRsForWavesPerEU: 6
; NumVGPRsForWavesPerEU: 1
; AccumOffset: 4
; Occupancy: 8
; WaveLimiterHint : 0
; COMPUTE_PGM_RSRC2:SCRATCH_EN: 0
; COMPUTE_PGM_RSRC2:USER_SGPR: 2
; COMPUTE_PGM_RSRC2:TRAP_HANDLER: 0
; COMPUTE_PGM_RSRC2:TGID_X_EN: 1
; COMPUTE_PGM_RSRC2:TGID_Y_EN: 0
; COMPUTE_PGM_RSRC2:TGID_Z_EN: 0
; COMPUTE_PGM_RSRC2:TIDIG_COMP_CNT: 0
; COMPUTE_PGM_RSRC3_GFX90A:ACCUM_OFFSET: 0
; COMPUTE_PGM_RSRC3_GFX90A:TG_SPLIT: 0
	.section	.text._ZN7rocprim17ROCPRIM_400000_NS6detail17trampoline_kernelINS0_14default_configENS1_35adjacent_difference_config_selectorILb1EdEEZNS1_24adjacent_difference_implIS3_Lb1ELb0EPdS7_N6thrust23THRUST_200600_302600_NS4plusIdEEEE10hipError_tPvRmT2_T3_mT4_P12ihipStream_tbEUlT_E_NS1_11comp_targetILNS1_3genE0ELNS1_11target_archE4294967295ELNS1_3gpuE0ELNS1_3repE0EEENS1_30default_config_static_selectorELNS0_4arch9wavefront6targetE1EEEvT1_,"axG",@progbits,_ZN7rocprim17ROCPRIM_400000_NS6detail17trampoline_kernelINS0_14default_configENS1_35adjacent_difference_config_selectorILb1EdEEZNS1_24adjacent_difference_implIS3_Lb1ELb0EPdS7_N6thrust23THRUST_200600_302600_NS4plusIdEEEE10hipError_tPvRmT2_T3_mT4_P12ihipStream_tbEUlT_E_NS1_11comp_targetILNS1_3genE0ELNS1_11target_archE4294967295ELNS1_3gpuE0ELNS1_3repE0EEENS1_30default_config_static_selectorELNS0_4arch9wavefront6targetE1EEEvT1_,comdat
	.protected	_ZN7rocprim17ROCPRIM_400000_NS6detail17trampoline_kernelINS0_14default_configENS1_35adjacent_difference_config_selectorILb1EdEEZNS1_24adjacent_difference_implIS3_Lb1ELb0EPdS7_N6thrust23THRUST_200600_302600_NS4plusIdEEEE10hipError_tPvRmT2_T3_mT4_P12ihipStream_tbEUlT_E_NS1_11comp_targetILNS1_3genE0ELNS1_11target_archE4294967295ELNS1_3gpuE0ELNS1_3repE0EEENS1_30default_config_static_selectorELNS0_4arch9wavefront6targetE1EEEvT1_ ; -- Begin function _ZN7rocprim17ROCPRIM_400000_NS6detail17trampoline_kernelINS0_14default_configENS1_35adjacent_difference_config_selectorILb1EdEEZNS1_24adjacent_difference_implIS3_Lb1ELb0EPdS7_N6thrust23THRUST_200600_302600_NS4plusIdEEEE10hipError_tPvRmT2_T3_mT4_P12ihipStream_tbEUlT_E_NS1_11comp_targetILNS1_3genE0ELNS1_11target_archE4294967295ELNS1_3gpuE0ELNS1_3repE0EEENS1_30default_config_static_selectorELNS0_4arch9wavefront6targetE1EEEvT1_
	.globl	_ZN7rocprim17ROCPRIM_400000_NS6detail17trampoline_kernelINS0_14default_configENS1_35adjacent_difference_config_selectorILb1EdEEZNS1_24adjacent_difference_implIS3_Lb1ELb0EPdS7_N6thrust23THRUST_200600_302600_NS4plusIdEEEE10hipError_tPvRmT2_T3_mT4_P12ihipStream_tbEUlT_E_NS1_11comp_targetILNS1_3genE0ELNS1_11target_archE4294967295ELNS1_3gpuE0ELNS1_3repE0EEENS1_30default_config_static_selectorELNS0_4arch9wavefront6targetE1EEEvT1_
	.p2align	8
	.type	_ZN7rocprim17ROCPRIM_400000_NS6detail17trampoline_kernelINS0_14default_configENS1_35adjacent_difference_config_selectorILb1EdEEZNS1_24adjacent_difference_implIS3_Lb1ELb0EPdS7_N6thrust23THRUST_200600_302600_NS4plusIdEEEE10hipError_tPvRmT2_T3_mT4_P12ihipStream_tbEUlT_E_NS1_11comp_targetILNS1_3genE0ELNS1_11target_archE4294967295ELNS1_3gpuE0ELNS1_3repE0EEENS1_30default_config_static_selectorELNS0_4arch9wavefront6targetE1EEEvT1_,@function
_ZN7rocprim17ROCPRIM_400000_NS6detail17trampoline_kernelINS0_14default_configENS1_35adjacent_difference_config_selectorILb1EdEEZNS1_24adjacent_difference_implIS3_Lb1ELb0EPdS7_N6thrust23THRUST_200600_302600_NS4plusIdEEEE10hipError_tPvRmT2_T3_mT4_P12ihipStream_tbEUlT_E_NS1_11comp_targetILNS1_3genE0ELNS1_11target_archE4294967295ELNS1_3gpuE0ELNS1_3repE0EEENS1_30default_config_static_selectorELNS0_4arch9wavefront6targetE1EEEvT1_: ; @_ZN7rocprim17ROCPRIM_400000_NS6detail17trampoline_kernelINS0_14default_configENS1_35adjacent_difference_config_selectorILb1EdEEZNS1_24adjacent_difference_implIS3_Lb1ELb0EPdS7_N6thrust23THRUST_200600_302600_NS4plusIdEEEE10hipError_tPvRmT2_T3_mT4_P12ihipStream_tbEUlT_E_NS1_11comp_targetILNS1_3genE0ELNS1_11target_archE4294967295ELNS1_3gpuE0ELNS1_3repE0EEENS1_30default_config_static_selectorELNS0_4arch9wavefront6targetE1EEEvT1_
; %bb.0:
	.section	.rodata,"a",@progbits
	.p2align	6, 0x0
	.amdhsa_kernel _ZN7rocprim17ROCPRIM_400000_NS6detail17trampoline_kernelINS0_14default_configENS1_35adjacent_difference_config_selectorILb1EdEEZNS1_24adjacent_difference_implIS3_Lb1ELb0EPdS7_N6thrust23THRUST_200600_302600_NS4plusIdEEEE10hipError_tPvRmT2_T3_mT4_P12ihipStream_tbEUlT_E_NS1_11comp_targetILNS1_3genE0ELNS1_11target_archE4294967295ELNS1_3gpuE0ELNS1_3repE0EEENS1_30default_config_static_selectorELNS0_4arch9wavefront6targetE1EEEvT1_
		.amdhsa_group_segment_fixed_size 0
		.amdhsa_private_segment_fixed_size 0
		.amdhsa_kernarg_size 56
		.amdhsa_user_sgpr_count 2
		.amdhsa_user_sgpr_dispatch_ptr 0
		.amdhsa_user_sgpr_queue_ptr 0
		.amdhsa_user_sgpr_kernarg_segment_ptr 1
		.amdhsa_user_sgpr_dispatch_id 0
		.amdhsa_user_sgpr_kernarg_preload_length 0
		.amdhsa_user_sgpr_kernarg_preload_offset 0
		.amdhsa_user_sgpr_private_segment_size 0
		.amdhsa_uses_dynamic_stack 0
		.amdhsa_enable_private_segment 0
		.amdhsa_system_sgpr_workgroup_id_x 1
		.amdhsa_system_sgpr_workgroup_id_y 0
		.amdhsa_system_sgpr_workgroup_id_z 0
		.amdhsa_system_sgpr_workgroup_info 0
		.amdhsa_system_vgpr_workitem_id 0
		.amdhsa_next_free_vgpr 1
		.amdhsa_next_free_sgpr 0
		.amdhsa_accum_offset 4
		.amdhsa_reserve_vcc 0
		.amdhsa_float_round_mode_32 0
		.amdhsa_float_round_mode_16_64 0
		.amdhsa_float_denorm_mode_32 3
		.amdhsa_float_denorm_mode_16_64 3
		.amdhsa_dx10_clamp 1
		.amdhsa_ieee_mode 1
		.amdhsa_fp16_overflow 0
		.amdhsa_tg_split 0
		.amdhsa_exception_fp_ieee_invalid_op 0
		.amdhsa_exception_fp_denorm_src 0
		.amdhsa_exception_fp_ieee_div_zero 0
		.amdhsa_exception_fp_ieee_overflow 0
		.amdhsa_exception_fp_ieee_underflow 0
		.amdhsa_exception_fp_ieee_inexact 0
		.amdhsa_exception_int_div_zero 0
	.end_amdhsa_kernel
	.section	.text._ZN7rocprim17ROCPRIM_400000_NS6detail17trampoline_kernelINS0_14default_configENS1_35adjacent_difference_config_selectorILb1EdEEZNS1_24adjacent_difference_implIS3_Lb1ELb0EPdS7_N6thrust23THRUST_200600_302600_NS4plusIdEEEE10hipError_tPvRmT2_T3_mT4_P12ihipStream_tbEUlT_E_NS1_11comp_targetILNS1_3genE0ELNS1_11target_archE4294967295ELNS1_3gpuE0ELNS1_3repE0EEENS1_30default_config_static_selectorELNS0_4arch9wavefront6targetE1EEEvT1_,"axG",@progbits,_ZN7rocprim17ROCPRIM_400000_NS6detail17trampoline_kernelINS0_14default_configENS1_35adjacent_difference_config_selectorILb1EdEEZNS1_24adjacent_difference_implIS3_Lb1ELb0EPdS7_N6thrust23THRUST_200600_302600_NS4plusIdEEEE10hipError_tPvRmT2_T3_mT4_P12ihipStream_tbEUlT_E_NS1_11comp_targetILNS1_3genE0ELNS1_11target_archE4294967295ELNS1_3gpuE0ELNS1_3repE0EEENS1_30default_config_static_selectorELNS0_4arch9wavefront6targetE1EEEvT1_,comdat
.Lfunc_end458:
	.size	_ZN7rocprim17ROCPRIM_400000_NS6detail17trampoline_kernelINS0_14default_configENS1_35adjacent_difference_config_selectorILb1EdEEZNS1_24adjacent_difference_implIS3_Lb1ELb0EPdS7_N6thrust23THRUST_200600_302600_NS4plusIdEEEE10hipError_tPvRmT2_T3_mT4_P12ihipStream_tbEUlT_E_NS1_11comp_targetILNS1_3genE0ELNS1_11target_archE4294967295ELNS1_3gpuE0ELNS1_3repE0EEENS1_30default_config_static_selectorELNS0_4arch9wavefront6targetE1EEEvT1_, .Lfunc_end458-_ZN7rocprim17ROCPRIM_400000_NS6detail17trampoline_kernelINS0_14default_configENS1_35adjacent_difference_config_selectorILb1EdEEZNS1_24adjacent_difference_implIS3_Lb1ELb0EPdS7_N6thrust23THRUST_200600_302600_NS4plusIdEEEE10hipError_tPvRmT2_T3_mT4_P12ihipStream_tbEUlT_E_NS1_11comp_targetILNS1_3genE0ELNS1_11target_archE4294967295ELNS1_3gpuE0ELNS1_3repE0EEENS1_30default_config_static_selectorELNS0_4arch9wavefront6targetE1EEEvT1_
                                        ; -- End function
	.section	.AMDGPU.csdata,"",@progbits
; Kernel info:
; codeLenInByte = 0
; NumSgprs: 6
; NumVgprs: 0
; NumAgprs: 0
; TotalNumVgprs: 0
; ScratchSize: 0
; MemoryBound: 0
; FloatMode: 240
; IeeeMode: 1
; LDSByteSize: 0 bytes/workgroup (compile time only)
; SGPRBlocks: 0
; VGPRBlocks: 0
; NumSGPRsForWavesPerEU: 6
; NumVGPRsForWavesPerEU: 1
; AccumOffset: 4
; Occupancy: 8
; WaveLimiterHint : 0
; COMPUTE_PGM_RSRC2:SCRATCH_EN: 0
; COMPUTE_PGM_RSRC2:USER_SGPR: 2
; COMPUTE_PGM_RSRC2:TRAP_HANDLER: 0
; COMPUTE_PGM_RSRC2:TGID_X_EN: 1
; COMPUTE_PGM_RSRC2:TGID_Y_EN: 0
; COMPUTE_PGM_RSRC2:TGID_Z_EN: 0
; COMPUTE_PGM_RSRC2:TIDIG_COMP_CNT: 0
; COMPUTE_PGM_RSRC3_GFX90A:ACCUM_OFFSET: 0
; COMPUTE_PGM_RSRC3_GFX90A:TG_SPLIT: 0
	.section	.text._ZN7rocprim17ROCPRIM_400000_NS6detail17trampoline_kernelINS0_14default_configENS1_35adjacent_difference_config_selectorILb1EdEEZNS1_24adjacent_difference_implIS3_Lb1ELb0EPdS7_N6thrust23THRUST_200600_302600_NS4plusIdEEEE10hipError_tPvRmT2_T3_mT4_P12ihipStream_tbEUlT_E_NS1_11comp_targetILNS1_3genE10ELNS1_11target_archE1201ELNS1_3gpuE5ELNS1_3repE0EEENS1_30default_config_static_selectorELNS0_4arch9wavefront6targetE1EEEvT1_,"axG",@progbits,_ZN7rocprim17ROCPRIM_400000_NS6detail17trampoline_kernelINS0_14default_configENS1_35adjacent_difference_config_selectorILb1EdEEZNS1_24adjacent_difference_implIS3_Lb1ELb0EPdS7_N6thrust23THRUST_200600_302600_NS4plusIdEEEE10hipError_tPvRmT2_T3_mT4_P12ihipStream_tbEUlT_E_NS1_11comp_targetILNS1_3genE10ELNS1_11target_archE1201ELNS1_3gpuE5ELNS1_3repE0EEENS1_30default_config_static_selectorELNS0_4arch9wavefront6targetE1EEEvT1_,comdat
	.protected	_ZN7rocprim17ROCPRIM_400000_NS6detail17trampoline_kernelINS0_14default_configENS1_35adjacent_difference_config_selectorILb1EdEEZNS1_24adjacent_difference_implIS3_Lb1ELb0EPdS7_N6thrust23THRUST_200600_302600_NS4plusIdEEEE10hipError_tPvRmT2_T3_mT4_P12ihipStream_tbEUlT_E_NS1_11comp_targetILNS1_3genE10ELNS1_11target_archE1201ELNS1_3gpuE5ELNS1_3repE0EEENS1_30default_config_static_selectorELNS0_4arch9wavefront6targetE1EEEvT1_ ; -- Begin function _ZN7rocprim17ROCPRIM_400000_NS6detail17trampoline_kernelINS0_14default_configENS1_35adjacent_difference_config_selectorILb1EdEEZNS1_24adjacent_difference_implIS3_Lb1ELb0EPdS7_N6thrust23THRUST_200600_302600_NS4plusIdEEEE10hipError_tPvRmT2_T3_mT4_P12ihipStream_tbEUlT_E_NS1_11comp_targetILNS1_3genE10ELNS1_11target_archE1201ELNS1_3gpuE5ELNS1_3repE0EEENS1_30default_config_static_selectorELNS0_4arch9wavefront6targetE1EEEvT1_
	.globl	_ZN7rocprim17ROCPRIM_400000_NS6detail17trampoline_kernelINS0_14default_configENS1_35adjacent_difference_config_selectorILb1EdEEZNS1_24adjacent_difference_implIS3_Lb1ELb0EPdS7_N6thrust23THRUST_200600_302600_NS4plusIdEEEE10hipError_tPvRmT2_T3_mT4_P12ihipStream_tbEUlT_E_NS1_11comp_targetILNS1_3genE10ELNS1_11target_archE1201ELNS1_3gpuE5ELNS1_3repE0EEENS1_30default_config_static_selectorELNS0_4arch9wavefront6targetE1EEEvT1_
	.p2align	8
	.type	_ZN7rocprim17ROCPRIM_400000_NS6detail17trampoline_kernelINS0_14default_configENS1_35adjacent_difference_config_selectorILb1EdEEZNS1_24adjacent_difference_implIS3_Lb1ELb0EPdS7_N6thrust23THRUST_200600_302600_NS4plusIdEEEE10hipError_tPvRmT2_T3_mT4_P12ihipStream_tbEUlT_E_NS1_11comp_targetILNS1_3genE10ELNS1_11target_archE1201ELNS1_3gpuE5ELNS1_3repE0EEENS1_30default_config_static_selectorELNS0_4arch9wavefront6targetE1EEEvT1_,@function
_ZN7rocprim17ROCPRIM_400000_NS6detail17trampoline_kernelINS0_14default_configENS1_35adjacent_difference_config_selectorILb1EdEEZNS1_24adjacent_difference_implIS3_Lb1ELb0EPdS7_N6thrust23THRUST_200600_302600_NS4plusIdEEEE10hipError_tPvRmT2_T3_mT4_P12ihipStream_tbEUlT_E_NS1_11comp_targetILNS1_3genE10ELNS1_11target_archE1201ELNS1_3gpuE5ELNS1_3repE0EEENS1_30default_config_static_selectorELNS0_4arch9wavefront6targetE1EEEvT1_: ; @_ZN7rocprim17ROCPRIM_400000_NS6detail17trampoline_kernelINS0_14default_configENS1_35adjacent_difference_config_selectorILb1EdEEZNS1_24adjacent_difference_implIS3_Lb1ELb0EPdS7_N6thrust23THRUST_200600_302600_NS4plusIdEEEE10hipError_tPvRmT2_T3_mT4_P12ihipStream_tbEUlT_E_NS1_11comp_targetILNS1_3genE10ELNS1_11target_archE1201ELNS1_3gpuE5ELNS1_3repE0EEENS1_30default_config_static_selectorELNS0_4arch9wavefront6targetE1EEEvT1_
; %bb.0:
	.section	.rodata,"a",@progbits
	.p2align	6, 0x0
	.amdhsa_kernel _ZN7rocprim17ROCPRIM_400000_NS6detail17trampoline_kernelINS0_14default_configENS1_35adjacent_difference_config_selectorILb1EdEEZNS1_24adjacent_difference_implIS3_Lb1ELb0EPdS7_N6thrust23THRUST_200600_302600_NS4plusIdEEEE10hipError_tPvRmT2_T3_mT4_P12ihipStream_tbEUlT_E_NS1_11comp_targetILNS1_3genE10ELNS1_11target_archE1201ELNS1_3gpuE5ELNS1_3repE0EEENS1_30default_config_static_selectorELNS0_4arch9wavefront6targetE1EEEvT1_
		.amdhsa_group_segment_fixed_size 0
		.amdhsa_private_segment_fixed_size 0
		.amdhsa_kernarg_size 56
		.amdhsa_user_sgpr_count 2
		.amdhsa_user_sgpr_dispatch_ptr 0
		.amdhsa_user_sgpr_queue_ptr 0
		.amdhsa_user_sgpr_kernarg_segment_ptr 1
		.amdhsa_user_sgpr_dispatch_id 0
		.amdhsa_user_sgpr_kernarg_preload_length 0
		.amdhsa_user_sgpr_kernarg_preload_offset 0
		.amdhsa_user_sgpr_private_segment_size 0
		.amdhsa_uses_dynamic_stack 0
		.amdhsa_enable_private_segment 0
		.amdhsa_system_sgpr_workgroup_id_x 1
		.amdhsa_system_sgpr_workgroup_id_y 0
		.amdhsa_system_sgpr_workgroup_id_z 0
		.amdhsa_system_sgpr_workgroup_info 0
		.amdhsa_system_vgpr_workitem_id 0
		.amdhsa_next_free_vgpr 1
		.amdhsa_next_free_sgpr 0
		.amdhsa_accum_offset 4
		.amdhsa_reserve_vcc 0
		.amdhsa_float_round_mode_32 0
		.amdhsa_float_round_mode_16_64 0
		.amdhsa_float_denorm_mode_32 3
		.amdhsa_float_denorm_mode_16_64 3
		.amdhsa_dx10_clamp 1
		.amdhsa_ieee_mode 1
		.amdhsa_fp16_overflow 0
		.amdhsa_tg_split 0
		.amdhsa_exception_fp_ieee_invalid_op 0
		.amdhsa_exception_fp_denorm_src 0
		.amdhsa_exception_fp_ieee_div_zero 0
		.amdhsa_exception_fp_ieee_overflow 0
		.amdhsa_exception_fp_ieee_underflow 0
		.amdhsa_exception_fp_ieee_inexact 0
		.amdhsa_exception_int_div_zero 0
	.end_amdhsa_kernel
	.section	.text._ZN7rocprim17ROCPRIM_400000_NS6detail17trampoline_kernelINS0_14default_configENS1_35adjacent_difference_config_selectorILb1EdEEZNS1_24adjacent_difference_implIS3_Lb1ELb0EPdS7_N6thrust23THRUST_200600_302600_NS4plusIdEEEE10hipError_tPvRmT2_T3_mT4_P12ihipStream_tbEUlT_E_NS1_11comp_targetILNS1_3genE10ELNS1_11target_archE1201ELNS1_3gpuE5ELNS1_3repE0EEENS1_30default_config_static_selectorELNS0_4arch9wavefront6targetE1EEEvT1_,"axG",@progbits,_ZN7rocprim17ROCPRIM_400000_NS6detail17trampoline_kernelINS0_14default_configENS1_35adjacent_difference_config_selectorILb1EdEEZNS1_24adjacent_difference_implIS3_Lb1ELb0EPdS7_N6thrust23THRUST_200600_302600_NS4plusIdEEEE10hipError_tPvRmT2_T3_mT4_P12ihipStream_tbEUlT_E_NS1_11comp_targetILNS1_3genE10ELNS1_11target_archE1201ELNS1_3gpuE5ELNS1_3repE0EEENS1_30default_config_static_selectorELNS0_4arch9wavefront6targetE1EEEvT1_,comdat
.Lfunc_end459:
	.size	_ZN7rocprim17ROCPRIM_400000_NS6detail17trampoline_kernelINS0_14default_configENS1_35adjacent_difference_config_selectorILb1EdEEZNS1_24adjacent_difference_implIS3_Lb1ELb0EPdS7_N6thrust23THRUST_200600_302600_NS4plusIdEEEE10hipError_tPvRmT2_T3_mT4_P12ihipStream_tbEUlT_E_NS1_11comp_targetILNS1_3genE10ELNS1_11target_archE1201ELNS1_3gpuE5ELNS1_3repE0EEENS1_30default_config_static_selectorELNS0_4arch9wavefront6targetE1EEEvT1_, .Lfunc_end459-_ZN7rocprim17ROCPRIM_400000_NS6detail17trampoline_kernelINS0_14default_configENS1_35adjacent_difference_config_selectorILb1EdEEZNS1_24adjacent_difference_implIS3_Lb1ELb0EPdS7_N6thrust23THRUST_200600_302600_NS4plusIdEEEE10hipError_tPvRmT2_T3_mT4_P12ihipStream_tbEUlT_E_NS1_11comp_targetILNS1_3genE10ELNS1_11target_archE1201ELNS1_3gpuE5ELNS1_3repE0EEENS1_30default_config_static_selectorELNS0_4arch9wavefront6targetE1EEEvT1_
                                        ; -- End function
	.section	.AMDGPU.csdata,"",@progbits
; Kernel info:
; codeLenInByte = 0
; NumSgprs: 6
; NumVgprs: 0
; NumAgprs: 0
; TotalNumVgprs: 0
; ScratchSize: 0
; MemoryBound: 0
; FloatMode: 240
; IeeeMode: 1
; LDSByteSize: 0 bytes/workgroup (compile time only)
; SGPRBlocks: 0
; VGPRBlocks: 0
; NumSGPRsForWavesPerEU: 6
; NumVGPRsForWavesPerEU: 1
; AccumOffset: 4
; Occupancy: 8
; WaveLimiterHint : 0
; COMPUTE_PGM_RSRC2:SCRATCH_EN: 0
; COMPUTE_PGM_RSRC2:USER_SGPR: 2
; COMPUTE_PGM_RSRC2:TRAP_HANDLER: 0
; COMPUTE_PGM_RSRC2:TGID_X_EN: 1
; COMPUTE_PGM_RSRC2:TGID_Y_EN: 0
; COMPUTE_PGM_RSRC2:TGID_Z_EN: 0
; COMPUTE_PGM_RSRC2:TIDIG_COMP_CNT: 0
; COMPUTE_PGM_RSRC3_GFX90A:ACCUM_OFFSET: 0
; COMPUTE_PGM_RSRC3_GFX90A:TG_SPLIT: 0
	.section	.text._ZN7rocprim17ROCPRIM_400000_NS6detail17trampoline_kernelINS0_14default_configENS1_35adjacent_difference_config_selectorILb1EdEEZNS1_24adjacent_difference_implIS3_Lb1ELb0EPdS7_N6thrust23THRUST_200600_302600_NS4plusIdEEEE10hipError_tPvRmT2_T3_mT4_P12ihipStream_tbEUlT_E_NS1_11comp_targetILNS1_3genE5ELNS1_11target_archE942ELNS1_3gpuE9ELNS1_3repE0EEENS1_30default_config_static_selectorELNS0_4arch9wavefront6targetE1EEEvT1_,"axG",@progbits,_ZN7rocprim17ROCPRIM_400000_NS6detail17trampoline_kernelINS0_14default_configENS1_35adjacent_difference_config_selectorILb1EdEEZNS1_24adjacent_difference_implIS3_Lb1ELb0EPdS7_N6thrust23THRUST_200600_302600_NS4plusIdEEEE10hipError_tPvRmT2_T3_mT4_P12ihipStream_tbEUlT_E_NS1_11comp_targetILNS1_3genE5ELNS1_11target_archE942ELNS1_3gpuE9ELNS1_3repE0EEENS1_30default_config_static_selectorELNS0_4arch9wavefront6targetE1EEEvT1_,comdat
	.protected	_ZN7rocprim17ROCPRIM_400000_NS6detail17trampoline_kernelINS0_14default_configENS1_35adjacent_difference_config_selectorILb1EdEEZNS1_24adjacent_difference_implIS3_Lb1ELb0EPdS7_N6thrust23THRUST_200600_302600_NS4plusIdEEEE10hipError_tPvRmT2_T3_mT4_P12ihipStream_tbEUlT_E_NS1_11comp_targetILNS1_3genE5ELNS1_11target_archE942ELNS1_3gpuE9ELNS1_3repE0EEENS1_30default_config_static_selectorELNS0_4arch9wavefront6targetE1EEEvT1_ ; -- Begin function _ZN7rocprim17ROCPRIM_400000_NS6detail17trampoline_kernelINS0_14default_configENS1_35adjacent_difference_config_selectorILb1EdEEZNS1_24adjacent_difference_implIS3_Lb1ELb0EPdS7_N6thrust23THRUST_200600_302600_NS4plusIdEEEE10hipError_tPvRmT2_T3_mT4_P12ihipStream_tbEUlT_E_NS1_11comp_targetILNS1_3genE5ELNS1_11target_archE942ELNS1_3gpuE9ELNS1_3repE0EEENS1_30default_config_static_selectorELNS0_4arch9wavefront6targetE1EEEvT1_
	.globl	_ZN7rocprim17ROCPRIM_400000_NS6detail17trampoline_kernelINS0_14default_configENS1_35adjacent_difference_config_selectorILb1EdEEZNS1_24adjacent_difference_implIS3_Lb1ELb0EPdS7_N6thrust23THRUST_200600_302600_NS4plusIdEEEE10hipError_tPvRmT2_T3_mT4_P12ihipStream_tbEUlT_E_NS1_11comp_targetILNS1_3genE5ELNS1_11target_archE942ELNS1_3gpuE9ELNS1_3repE0EEENS1_30default_config_static_selectorELNS0_4arch9wavefront6targetE1EEEvT1_
	.p2align	8
	.type	_ZN7rocprim17ROCPRIM_400000_NS6detail17trampoline_kernelINS0_14default_configENS1_35adjacent_difference_config_selectorILb1EdEEZNS1_24adjacent_difference_implIS3_Lb1ELb0EPdS7_N6thrust23THRUST_200600_302600_NS4plusIdEEEE10hipError_tPvRmT2_T3_mT4_P12ihipStream_tbEUlT_E_NS1_11comp_targetILNS1_3genE5ELNS1_11target_archE942ELNS1_3gpuE9ELNS1_3repE0EEENS1_30default_config_static_selectorELNS0_4arch9wavefront6targetE1EEEvT1_,@function
_ZN7rocprim17ROCPRIM_400000_NS6detail17trampoline_kernelINS0_14default_configENS1_35adjacent_difference_config_selectorILb1EdEEZNS1_24adjacent_difference_implIS3_Lb1ELb0EPdS7_N6thrust23THRUST_200600_302600_NS4plusIdEEEE10hipError_tPvRmT2_T3_mT4_P12ihipStream_tbEUlT_E_NS1_11comp_targetILNS1_3genE5ELNS1_11target_archE942ELNS1_3gpuE9ELNS1_3repE0EEENS1_30default_config_static_selectorELNS0_4arch9wavefront6targetE1EEEvT1_: ; @_ZN7rocprim17ROCPRIM_400000_NS6detail17trampoline_kernelINS0_14default_configENS1_35adjacent_difference_config_selectorILb1EdEEZNS1_24adjacent_difference_implIS3_Lb1ELb0EPdS7_N6thrust23THRUST_200600_302600_NS4plusIdEEEE10hipError_tPvRmT2_T3_mT4_P12ihipStream_tbEUlT_E_NS1_11comp_targetILNS1_3genE5ELNS1_11target_archE942ELNS1_3gpuE9ELNS1_3repE0EEENS1_30default_config_static_selectorELNS0_4arch9wavefront6targetE1EEEvT1_
; %bb.0:
	s_load_dwordx8 s[4:11], s[0:1], 0x0
	s_load_dwordx4 s[12:15], s[0:1], 0x28
	s_mov_b32 s21, 0
	s_mov_b64 s[22:23], -1
	s_waitcnt lgkmcnt(0)
	s_lshl_b64 s[6:7], s[6:7], 3
	s_add_u32 s26, s4, s6
	s_addc_u32 s27, s5, s7
	s_lshl_b32 s4, s2, 8
	s_lshr_b64 s[0:1], s[10:11], 8
	s_and_b32 s20, s10, 0xff
	s_cmp_lg_u64 s[20:21], 0
	s_cselect_b64 s[16:17], -1, 0
	v_cndmask_b32_e64 v1, 0, 1, s[16:17]
	s_mov_b32 s20, s2
	v_readfirstlane_b32 s3, v1
	s_add_u32 s18, s0, s3
	s_addc_u32 s19, s1, 0
	s_add_u32 s2, s14, s2
	s_addc_u32 s3, s15, 0
	s_add_u32 s16, s18, -1
	s_addc_u32 s17, s19, -1
	v_mov_b64_e32 v[2:3], s[16:17]
	v_cmp_ge_u64_e64 s[0:1], s[2:3], v[2:3]
	s_and_b64 vcc, exec, s[0:1]
	s_cbranch_vccz .LBB460_6
; %bb.1:
	s_lshl_b32 s5, s16, 8
	s_sub_i32 s11, s10, s5
	s_mov_b32 s5, s21
	s_lshl_b64 s[22:23], s[4:5], 3
	s_add_u32 s22, s26, s22
	s_addc_u32 s23, s27, s23
	v_cmp_gt_u32_e32 vcc, s11, v0
                                        ; implicit-def: $vgpr2_vgpr3_vgpr4_vgpr5
	s_and_saveexec_b64 s[24:25], vcc
	s_cbranch_execz .LBB460_3
; %bb.2:
	v_lshlrev_b32_e32 v1, 3, v0
	global_load_dwordx2 v[2:3], v1, s[22:23]
.LBB460_3:
	s_or_b64 exec, exec, s[24:25]
	v_or_b32_e32 v1, 0x80, v0
	v_cmp_gt_u32_e32 vcc, s11, v1
	s_and_saveexec_b64 s[24:25], vcc
	s_cbranch_execz .LBB460_5
; %bb.4:
	v_lshlrev_b32_e32 v4, 3, v0
	global_load_dwordx2 v[4:5], v4, s[22:23] offset:1024
.LBB460_5:
	s_or_b64 exec, exec, s[24:25]
	v_lshrrev_b32_e32 v6, 2, v0
	v_lshrrev_b32_e32 v1, 2, v1
	v_and_b32_e32 v6, 24, v6
	v_lshlrev_b32_e32 v7, 3, v0
	v_and_b32_e32 v1, 56, v1
	v_add_u32_e32 v6, v6, v7
	v_add_u32_e32 v1, v1, v7
	s_mov_b64 s[22:23], 0
	s_waitcnt vmcnt(0)
	ds_write_b64 v6, v[2:3]
	ds_write_b64 v1, v[4:5] offset:1024
	s_waitcnt lgkmcnt(0)
	s_barrier
.LBB460_6:
	s_and_b64 vcc, exec, s[22:23]
	v_lshlrev_b32_e32 v10, 3, v0
	s_cbranch_vccz .LBB460_8
; %bb.7:
	s_mov_b32 s5, 0
	s_lshl_b64 s[22:23], s[4:5], 3
	s_add_u32 s22, s26, s22
	s_addc_u32 s23, s27, s23
	global_load_dwordx2 v[2:3], v10, s[22:23]
	global_load_dwordx2 v[4:5], v10, s[22:23] offset:1024
	v_lshrrev_b32_e32 v1, 2, v0
	v_or_b32_e32 v6, 0x80, v0
	v_and_b32_e32 v1, 24, v1
	v_lshrrev_b32_e32 v6, 2, v6
	v_add_u32_e32 v1, v1, v10
	v_and_b32_e32 v6, 56, v6
	v_add_u32_e32 v6, v6, v10
	s_waitcnt vmcnt(1)
	ds_write_b64 v1, v[2:3]
	s_waitcnt vmcnt(0)
	ds_write_b64 v6, v[4:5] offset:1024
	s_waitcnt lgkmcnt(0)
	s_barrier
.LBB460_8:
	v_lshlrev_b32_e32 v1, 1, v0
	v_lshrrev_b32_e32 v2, 4, v0
	v_add_lshl_u32 v1, v2, v1, 3
	ds_read2_b64 v[2:5], v1 offset1:1
	s_cmp_eq_u64 s[2:3], 0
	s_waitcnt lgkmcnt(0)
	s_barrier
	s_cbranch_scc1 .LBB460_13
; %bb.9:
	s_lshl_b64 s[14:15], s[14:15], 3
	s_add_u32 s5, s12, s14
	s_addc_u32 s11, s13, s15
	s_lshl_b64 s[12:13], s[20:21], 3
	s_add_u32 s5, s5, s12
	s_addc_u32 s11, s11, s13
	s_add_u32 s12, s5, -8
	s_addc_u32 s13, s11, -1
	s_load_dwordx2 s[12:13], s[12:13], 0x0
	s_cmp_eq_u64 s[2:3], s[16:17]
	s_cbranch_scc1 .LBB460_14
; %bb.10:
	v_cmp_ne_u32_e32 vcc, 0, v0
	s_waitcnt lgkmcnt(0)
	v_mov_b64_e32 v[6:7], s[12:13]
	ds_write_b64 v10, v[4:5]
	s_waitcnt lgkmcnt(0)
	s_barrier
	s_and_saveexec_b64 s[14:15], vcc
	s_cbranch_execz .LBB460_12
; %bb.11:
	v_add_u32_e32 v1, -8, v10
	ds_read_b64 v[6:7], v1
.LBB460_12:
	s_or_b64 exec, exec, s[14:15]
	v_add_f64 v[12:13], v[2:3], v[4:5]
	s_waitcnt lgkmcnt(0)
	v_add_f64 v[6:7], v[2:3], v[6:7]
	s_branch .LBB460_18
.LBB460_13:
                                        ; implicit-def: $vgpr12_vgpr13
                                        ; implicit-def: $vgpr6_vgpr7_vgpr8_vgpr9
	s_branch .LBB460_19
.LBB460_14:
                                        ; implicit-def: $vgpr12_vgpr13
                                        ; implicit-def: $vgpr6_vgpr7_vgpr8_vgpr9
	s_cbranch_execz .LBB460_18
; %bb.15:
	v_cmp_ne_u32_e32 vcc, 0, v0
	s_waitcnt lgkmcnt(0)
	v_mov_b64_e32 v[6:7], s[12:13]
	ds_write_b64 v10, v[4:5]
	s_waitcnt lgkmcnt(0)
	s_barrier
	s_and_saveexec_b64 s[12:13], vcc
	s_cbranch_execz .LBB460_17
; %bb.16:
	v_add_u32_e32 v1, -8, v10
	ds_read_b64 v[6:7], v1
.LBB460_17:
	s_or_b64 exec, exec, s[12:13]
	s_lshl_b32 s2, s2, 8
	v_lshlrev_b32_e32 v1, 1, v0
	s_sub_i32 s2, s10, s2
	v_or_b32_e32 v11, 1, v1
	v_add_f64 v[8:9], v[2:3], v[4:5]
	v_cmp_gt_u32_e32 vcc, s2, v11
	s_waitcnt lgkmcnt(0)
	v_add_f64 v[6:7], v[2:3], v[6:7]
	v_cndmask_b32_e32 v13, v5, v9, vcc
	v_cndmask_b32_e32 v12, v4, v8, vcc
	v_cmp_gt_u32_e32 vcc, s2, v1
	s_nop 1
	v_cndmask_b32_e32 v7, v3, v7, vcc
	v_cndmask_b32_e32 v6, v2, v6, vcc
.LBB460_18:
	s_cbranch_execnz .LBB460_27
.LBB460_19:
	s_cmp_eq_u64 s[18:19], 1
	v_add_f64 v[12:13], v[2:3], v[4:5]
	v_cmp_ne_u32_e32 vcc, 0, v0
	s_cbranch_scc1 .LBB460_23
; %bb.20:
	v_mov_b64_e32 v[6:7], v[2:3]
	ds_write_b64 v10, v[4:5]
	s_waitcnt lgkmcnt(0)
	s_barrier
	s_and_saveexec_b64 s[2:3], vcc
	s_cbranch_execz .LBB460_22
; %bb.21:
	v_add_u32_e32 v1, -8, v10
	ds_read_b64 v[6:7], v1
	s_waitcnt lgkmcnt(0)
	v_add_f64 v[6:7], v[2:3], v[6:7]
.LBB460_22:
	s_or_b64 exec, exec, s[2:3]
	s_cbranch_execz .LBB460_24
	s_branch .LBB460_27
.LBB460_23:
                                        ; implicit-def: $vgpr6_vgpr7_vgpr8_vgpr9
.LBB460_24:
	v_lshlrev_b32_e32 v1, 1, v0
	v_or_b32_e32 v6, 1, v1
	v_cmp_gt_u32_e32 vcc, s10, v6
	v_cmp_gt_u32_e64 s[2:3], s10, v1
	ds_write_b64 v10, v[4:5]
	v_cndmask_b32_e32 v13, v5, v13, vcc
	v_cndmask_b32_e32 v12, v4, v12, vcc
	v_cmp_ne_u32_e32 vcc, 0, v0
	s_waitcnt lgkmcnt(0)
	s_and_b64 s[12:13], vcc, s[2:3]
	s_barrier
	s_and_saveexec_b64 s[2:3], s[12:13]
	s_cbranch_execz .LBB460_26
; %bb.25:
	v_add_u32_e32 v1, -8, v10
	ds_read_b64 v[4:5], v1
	s_waitcnt lgkmcnt(0)
	v_add_f64 v[2:3], v[2:3], v[4:5]
.LBB460_26:
	s_or_b64 exec, exec, s[2:3]
	v_mov_b64_e32 v[6:7], v[2:3]
.LBB460_27:
	s_add_u32 s6, s8, s6
	s_addc_u32 s7, s9, s7
	s_and_b64 vcc, exec, s[0:1]
	v_lshrrev_b32_e32 v1, 1, v0
	s_waitcnt lgkmcnt(0)
	s_barrier
	s_cbranch_vccz .LBB460_31
; %bb.28:
	v_and_b32_e32 v2, 56, v1
	v_lshl_add_u32 v2, v0, 4, v2
	v_or_b32_e32 v8, 0x80, v0
	ds_write2_b64 v2, v[6:7], v[12:13] offset1:1
	v_lshrrev_b32_e32 v2, 5, v8
	v_add_lshl_u32 v2, v2, v0, 3
	s_lshl_b32 s0, s16, 8
	s_mov_b32 s5, 0
	s_waitcnt lgkmcnt(0)
	s_barrier
	ds_read_b64 v[2:3], v2 offset:1024
	s_sub_i32 s2, s10, s0
	s_lshl_b64 s[0:1], s[4:5], 3
	s_add_u32 s0, s6, s0
	s_addc_u32 s1, s7, s1
	v_mov_b32_e32 v11, 0
	v_lshl_add_u64 v[4:5], s[0:1], 0, v[10:11]
	v_cmp_gt_u32_e32 vcc, s2, v0
	s_and_saveexec_b64 s[0:1], vcc
	s_cbranch_execz .LBB460_30
; %bb.29:
	v_lshrrev_b32_e32 v9, 5, v0
	v_add_lshl_u32 v9, v9, v0, 3
	ds_read_b64 v[14:15], v9
	s_waitcnt lgkmcnt(0)
	global_store_dwordx2 v[4:5], v[14:15], off
.LBB460_30:
	s_or_b64 exec, exec, s[0:1]
	v_cmp_gt_u32_e64 s[0:1], s2, v8
	s_branch .LBB460_33
.LBB460_31:
	s_mov_b64 s[0:1], 0
                                        ; implicit-def: $vgpr2_vgpr3
                                        ; implicit-def: $vgpr4_vgpr5
	s_cbranch_execz .LBB460_33
; %bb.32:
	v_and_b32_e32 v1, 56, v1
	v_lshl_add_u32 v1, v0, 4, v1
	s_waitcnt lgkmcnt(0)
	v_or_b32_e32 v2, 0x80, v0
	ds_write2_b64 v1, v[6:7], v[12:13] offset1:1
	v_lshrrev_b32_e32 v1, 5, v0
	v_lshrrev_b32_e32 v2, 5, v2
	v_add_lshl_u32 v1, v1, v0, 3
	v_add_lshl_u32 v0, v2, v0, 3
	s_mov_b32 s5, 0
	s_waitcnt lgkmcnt(0)
	s_barrier
	ds_read_b64 v[6:7], v1
	ds_read_b64 v[2:3], v0 offset:1024
	s_lshl_b64 s[2:3], s[4:5], 3
	s_add_u32 s2, s6, s2
	s_addc_u32 s3, s7, s3
	v_mov_b32_e32 v11, 0
	v_lshl_add_u64 v[4:5], s[2:3], 0, v[10:11]
	s_or_b64 s[0:1], s[0:1], exec
	s_waitcnt lgkmcnt(1)
	global_store_dwordx2 v10, v[6:7], s[2:3]
.LBB460_33:
	s_and_saveexec_b64 s[2:3], s[0:1]
	s_cbranch_execnz .LBB460_35
; %bb.34:
	s_endpgm
.LBB460_35:
	s_waitcnt lgkmcnt(0)
	global_store_dwordx2 v[4:5], v[2:3], off offset:1024
	s_endpgm
	.section	.rodata,"a",@progbits
	.p2align	6, 0x0
	.amdhsa_kernel _ZN7rocprim17ROCPRIM_400000_NS6detail17trampoline_kernelINS0_14default_configENS1_35adjacent_difference_config_selectorILb1EdEEZNS1_24adjacent_difference_implIS3_Lb1ELb0EPdS7_N6thrust23THRUST_200600_302600_NS4plusIdEEEE10hipError_tPvRmT2_T3_mT4_P12ihipStream_tbEUlT_E_NS1_11comp_targetILNS1_3genE5ELNS1_11target_archE942ELNS1_3gpuE9ELNS1_3repE0EEENS1_30default_config_static_selectorELNS0_4arch9wavefront6targetE1EEEvT1_
		.amdhsa_group_segment_fixed_size 2112
		.amdhsa_private_segment_fixed_size 0
		.amdhsa_kernarg_size 56
		.amdhsa_user_sgpr_count 2
		.amdhsa_user_sgpr_dispatch_ptr 0
		.amdhsa_user_sgpr_queue_ptr 0
		.amdhsa_user_sgpr_kernarg_segment_ptr 1
		.amdhsa_user_sgpr_dispatch_id 0
		.amdhsa_user_sgpr_kernarg_preload_length 0
		.amdhsa_user_sgpr_kernarg_preload_offset 0
		.amdhsa_user_sgpr_private_segment_size 0
		.amdhsa_uses_dynamic_stack 0
		.amdhsa_enable_private_segment 0
		.amdhsa_system_sgpr_workgroup_id_x 1
		.amdhsa_system_sgpr_workgroup_id_y 0
		.amdhsa_system_sgpr_workgroup_id_z 0
		.amdhsa_system_sgpr_workgroup_info 0
		.amdhsa_system_vgpr_workitem_id 0
		.amdhsa_next_free_vgpr 16
		.amdhsa_next_free_sgpr 28
		.amdhsa_accum_offset 16
		.amdhsa_reserve_vcc 1
		.amdhsa_float_round_mode_32 0
		.amdhsa_float_round_mode_16_64 0
		.amdhsa_float_denorm_mode_32 3
		.amdhsa_float_denorm_mode_16_64 3
		.amdhsa_dx10_clamp 1
		.amdhsa_ieee_mode 1
		.amdhsa_fp16_overflow 0
		.amdhsa_tg_split 0
		.amdhsa_exception_fp_ieee_invalid_op 0
		.amdhsa_exception_fp_denorm_src 0
		.amdhsa_exception_fp_ieee_div_zero 0
		.amdhsa_exception_fp_ieee_overflow 0
		.amdhsa_exception_fp_ieee_underflow 0
		.amdhsa_exception_fp_ieee_inexact 0
		.amdhsa_exception_int_div_zero 0
	.end_amdhsa_kernel
	.section	.text._ZN7rocprim17ROCPRIM_400000_NS6detail17trampoline_kernelINS0_14default_configENS1_35adjacent_difference_config_selectorILb1EdEEZNS1_24adjacent_difference_implIS3_Lb1ELb0EPdS7_N6thrust23THRUST_200600_302600_NS4plusIdEEEE10hipError_tPvRmT2_T3_mT4_P12ihipStream_tbEUlT_E_NS1_11comp_targetILNS1_3genE5ELNS1_11target_archE942ELNS1_3gpuE9ELNS1_3repE0EEENS1_30default_config_static_selectorELNS0_4arch9wavefront6targetE1EEEvT1_,"axG",@progbits,_ZN7rocprim17ROCPRIM_400000_NS6detail17trampoline_kernelINS0_14default_configENS1_35adjacent_difference_config_selectorILb1EdEEZNS1_24adjacent_difference_implIS3_Lb1ELb0EPdS7_N6thrust23THRUST_200600_302600_NS4plusIdEEEE10hipError_tPvRmT2_T3_mT4_P12ihipStream_tbEUlT_E_NS1_11comp_targetILNS1_3genE5ELNS1_11target_archE942ELNS1_3gpuE9ELNS1_3repE0EEENS1_30default_config_static_selectorELNS0_4arch9wavefront6targetE1EEEvT1_,comdat
.Lfunc_end460:
	.size	_ZN7rocprim17ROCPRIM_400000_NS6detail17trampoline_kernelINS0_14default_configENS1_35adjacent_difference_config_selectorILb1EdEEZNS1_24adjacent_difference_implIS3_Lb1ELb0EPdS7_N6thrust23THRUST_200600_302600_NS4plusIdEEEE10hipError_tPvRmT2_T3_mT4_P12ihipStream_tbEUlT_E_NS1_11comp_targetILNS1_3genE5ELNS1_11target_archE942ELNS1_3gpuE9ELNS1_3repE0EEENS1_30default_config_static_selectorELNS0_4arch9wavefront6targetE1EEEvT1_, .Lfunc_end460-_ZN7rocprim17ROCPRIM_400000_NS6detail17trampoline_kernelINS0_14default_configENS1_35adjacent_difference_config_selectorILb1EdEEZNS1_24adjacent_difference_implIS3_Lb1ELb0EPdS7_N6thrust23THRUST_200600_302600_NS4plusIdEEEE10hipError_tPvRmT2_T3_mT4_P12ihipStream_tbEUlT_E_NS1_11comp_targetILNS1_3genE5ELNS1_11target_archE942ELNS1_3gpuE9ELNS1_3repE0EEENS1_30default_config_static_selectorELNS0_4arch9wavefront6targetE1EEEvT1_
                                        ; -- End function
	.section	.AMDGPU.csdata,"",@progbits
; Kernel info:
; codeLenInByte = 1188
; NumSgprs: 34
; NumVgprs: 16
; NumAgprs: 0
; TotalNumVgprs: 16
; ScratchSize: 0
; MemoryBound: 0
; FloatMode: 240
; IeeeMode: 1
; LDSByteSize: 2112 bytes/workgroup (compile time only)
; SGPRBlocks: 4
; VGPRBlocks: 1
; NumSGPRsForWavesPerEU: 34
; NumVGPRsForWavesPerEU: 16
; AccumOffset: 16
; Occupancy: 8
; WaveLimiterHint : 1
; COMPUTE_PGM_RSRC2:SCRATCH_EN: 0
; COMPUTE_PGM_RSRC2:USER_SGPR: 2
; COMPUTE_PGM_RSRC2:TRAP_HANDLER: 0
; COMPUTE_PGM_RSRC2:TGID_X_EN: 1
; COMPUTE_PGM_RSRC2:TGID_Y_EN: 0
; COMPUTE_PGM_RSRC2:TGID_Z_EN: 0
; COMPUTE_PGM_RSRC2:TIDIG_COMP_CNT: 0
; COMPUTE_PGM_RSRC3_GFX90A:ACCUM_OFFSET: 3
; COMPUTE_PGM_RSRC3_GFX90A:TG_SPLIT: 0
	.section	.text._ZN7rocprim17ROCPRIM_400000_NS6detail17trampoline_kernelINS0_14default_configENS1_35adjacent_difference_config_selectorILb1EdEEZNS1_24adjacent_difference_implIS3_Lb1ELb0EPdS7_N6thrust23THRUST_200600_302600_NS4plusIdEEEE10hipError_tPvRmT2_T3_mT4_P12ihipStream_tbEUlT_E_NS1_11comp_targetILNS1_3genE4ELNS1_11target_archE910ELNS1_3gpuE8ELNS1_3repE0EEENS1_30default_config_static_selectorELNS0_4arch9wavefront6targetE1EEEvT1_,"axG",@progbits,_ZN7rocprim17ROCPRIM_400000_NS6detail17trampoline_kernelINS0_14default_configENS1_35adjacent_difference_config_selectorILb1EdEEZNS1_24adjacent_difference_implIS3_Lb1ELb0EPdS7_N6thrust23THRUST_200600_302600_NS4plusIdEEEE10hipError_tPvRmT2_T3_mT4_P12ihipStream_tbEUlT_E_NS1_11comp_targetILNS1_3genE4ELNS1_11target_archE910ELNS1_3gpuE8ELNS1_3repE0EEENS1_30default_config_static_selectorELNS0_4arch9wavefront6targetE1EEEvT1_,comdat
	.protected	_ZN7rocprim17ROCPRIM_400000_NS6detail17trampoline_kernelINS0_14default_configENS1_35adjacent_difference_config_selectorILb1EdEEZNS1_24adjacent_difference_implIS3_Lb1ELb0EPdS7_N6thrust23THRUST_200600_302600_NS4plusIdEEEE10hipError_tPvRmT2_T3_mT4_P12ihipStream_tbEUlT_E_NS1_11comp_targetILNS1_3genE4ELNS1_11target_archE910ELNS1_3gpuE8ELNS1_3repE0EEENS1_30default_config_static_selectorELNS0_4arch9wavefront6targetE1EEEvT1_ ; -- Begin function _ZN7rocprim17ROCPRIM_400000_NS6detail17trampoline_kernelINS0_14default_configENS1_35adjacent_difference_config_selectorILb1EdEEZNS1_24adjacent_difference_implIS3_Lb1ELb0EPdS7_N6thrust23THRUST_200600_302600_NS4plusIdEEEE10hipError_tPvRmT2_T3_mT4_P12ihipStream_tbEUlT_E_NS1_11comp_targetILNS1_3genE4ELNS1_11target_archE910ELNS1_3gpuE8ELNS1_3repE0EEENS1_30default_config_static_selectorELNS0_4arch9wavefront6targetE1EEEvT1_
	.globl	_ZN7rocprim17ROCPRIM_400000_NS6detail17trampoline_kernelINS0_14default_configENS1_35adjacent_difference_config_selectorILb1EdEEZNS1_24adjacent_difference_implIS3_Lb1ELb0EPdS7_N6thrust23THRUST_200600_302600_NS4plusIdEEEE10hipError_tPvRmT2_T3_mT4_P12ihipStream_tbEUlT_E_NS1_11comp_targetILNS1_3genE4ELNS1_11target_archE910ELNS1_3gpuE8ELNS1_3repE0EEENS1_30default_config_static_selectorELNS0_4arch9wavefront6targetE1EEEvT1_
	.p2align	8
	.type	_ZN7rocprim17ROCPRIM_400000_NS6detail17trampoline_kernelINS0_14default_configENS1_35adjacent_difference_config_selectorILb1EdEEZNS1_24adjacent_difference_implIS3_Lb1ELb0EPdS7_N6thrust23THRUST_200600_302600_NS4plusIdEEEE10hipError_tPvRmT2_T3_mT4_P12ihipStream_tbEUlT_E_NS1_11comp_targetILNS1_3genE4ELNS1_11target_archE910ELNS1_3gpuE8ELNS1_3repE0EEENS1_30default_config_static_selectorELNS0_4arch9wavefront6targetE1EEEvT1_,@function
_ZN7rocprim17ROCPRIM_400000_NS6detail17trampoline_kernelINS0_14default_configENS1_35adjacent_difference_config_selectorILb1EdEEZNS1_24adjacent_difference_implIS3_Lb1ELb0EPdS7_N6thrust23THRUST_200600_302600_NS4plusIdEEEE10hipError_tPvRmT2_T3_mT4_P12ihipStream_tbEUlT_E_NS1_11comp_targetILNS1_3genE4ELNS1_11target_archE910ELNS1_3gpuE8ELNS1_3repE0EEENS1_30default_config_static_selectorELNS0_4arch9wavefront6targetE1EEEvT1_: ; @_ZN7rocprim17ROCPRIM_400000_NS6detail17trampoline_kernelINS0_14default_configENS1_35adjacent_difference_config_selectorILb1EdEEZNS1_24adjacent_difference_implIS3_Lb1ELb0EPdS7_N6thrust23THRUST_200600_302600_NS4plusIdEEEE10hipError_tPvRmT2_T3_mT4_P12ihipStream_tbEUlT_E_NS1_11comp_targetILNS1_3genE4ELNS1_11target_archE910ELNS1_3gpuE8ELNS1_3repE0EEENS1_30default_config_static_selectorELNS0_4arch9wavefront6targetE1EEEvT1_
; %bb.0:
	.section	.rodata,"a",@progbits
	.p2align	6, 0x0
	.amdhsa_kernel _ZN7rocprim17ROCPRIM_400000_NS6detail17trampoline_kernelINS0_14default_configENS1_35adjacent_difference_config_selectorILb1EdEEZNS1_24adjacent_difference_implIS3_Lb1ELb0EPdS7_N6thrust23THRUST_200600_302600_NS4plusIdEEEE10hipError_tPvRmT2_T3_mT4_P12ihipStream_tbEUlT_E_NS1_11comp_targetILNS1_3genE4ELNS1_11target_archE910ELNS1_3gpuE8ELNS1_3repE0EEENS1_30default_config_static_selectorELNS0_4arch9wavefront6targetE1EEEvT1_
		.amdhsa_group_segment_fixed_size 0
		.amdhsa_private_segment_fixed_size 0
		.amdhsa_kernarg_size 56
		.amdhsa_user_sgpr_count 2
		.amdhsa_user_sgpr_dispatch_ptr 0
		.amdhsa_user_sgpr_queue_ptr 0
		.amdhsa_user_sgpr_kernarg_segment_ptr 1
		.amdhsa_user_sgpr_dispatch_id 0
		.amdhsa_user_sgpr_kernarg_preload_length 0
		.amdhsa_user_sgpr_kernarg_preload_offset 0
		.amdhsa_user_sgpr_private_segment_size 0
		.amdhsa_uses_dynamic_stack 0
		.amdhsa_enable_private_segment 0
		.amdhsa_system_sgpr_workgroup_id_x 1
		.amdhsa_system_sgpr_workgroup_id_y 0
		.amdhsa_system_sgpr_workgroup_id_z 0
		.amdhsa_system_sgpr_workgroup_info 0
		.amdhsa_system_vgpr_workitem_id 0
		.amdhsa_next_free_vgpr 1
		.amdhsa_next_free_sgpr 0
		.amdhsa_accum_offset 4
		.amdhsa_reserve_vcc 0
		.amdhsa_float_round_mode_32 0
		.amdhsa_float_round_mode_16_64 0
		.amdhsa_float_denorm_mode_32 3
		.amdhsa_float_denorm_mode_16_64 3
		.amdhsa_dx10_clamp 1
		.amdhsa_ieee_mode 1
		.amdhsa_fp16_overflow 0
		.amdhsa_tg_split 0
		.amdhsa_exception_fp_ieee_invalid_op 0
		.amdhsa_exception_fp_denorm_src 0
		.amdhsa_exception_fp_ieee_div_zero 0
		.amdhsa_exception_fp_ieee_overflow 0
		.amdhsa_exception_fp_ieee_underflow 0
		.amdhsa_exception_fp_ieee_inexact 0
		.amdhsa_exception_int_div_zero 0
	.end_amdhsa_kernel
	.section	.text._ZN7rocprim17ROCPRIM_400000_NS6detail17trampoline_kernelINS0_14default_configENS1_35adjacent_difference_config_selectorILb1EdEEZNS1_24adjacent_difference_implIS3_Lb1ELb0EPdS7_N6thrust23THRUST_200600_302600_NS4plusIdEEEE10hipError_tPvRmT2_T3_mT4_P12ihipStream_tbEUlT_E_NS1_11comp_targetILNS1_3genE4ELNS1_11target_archE910ELNS1_3gpuE8ELNS1_3repE0EEENS1_30default_config_static_selectorELNS0_4arch9wavefront6targetE1EEEvT1_,"axG",@progbits,_ZN7rocprim17ROCPRIM_400000_NS6detail17trampoline_kernelINS0_14default_configENS1_35adjacent_difference_config_selectorILb1EdEEZNS1_24adjacent_difference_implIS3_Lb1ELb0EPdS7_N6thrust23THRUST_200600_302600_NS4plusIdEEEE10hipError_tPvRmT2_T3_mT4_P12ihipStream_tbEUlT_E_NS1_11comp_targetILNS1_3genE4ELNS1_11target_archE910ELNS1_3gpuE8ELNS1_3repE0EEENS1_30default_config_static_selectorELNS0_4arch9wavefront6targetE1EEEvT1_,comdat
.Lfunc_end461:
	.size	_ZN7rocprim17ROCPRIM_400000_NS6detail17trampoline_kernelINS0_14default_configENS1_35adjacent_difference_config_selectorILb1EdEEZNS1_24adjacent_difference_implIS3_Lb1ELb0EPdS7_N6thrust23THRUST_200600_302600_NS4plusIdEEEE10hipError_tPvRmT2_T3_mT4_P12ihipStream_tbEUlT_E_NS1_11comp_targetILNS1_3genE4ELNS1_11target_archE910ELNS1_3gpuE8ELNS1_3repE0EEENS1_30default_config_static_selectorELNS0_4arch9wavefront6targetE1EEEvT1_, .Lfunc_end461-_ZN7rocprim17ROCPRIM_400000_NS6detail17trampoline_kernelINS0_14default_configENS1_35adjacent_difference_config_selectorILb1EdEEZNS1_24adjacent_difference_implIS3_Lb1ELb0EPdS7_N6thrust23THRUST_200600_302600_NS4plusIdEEEE10hipError_tPvRmT2_T3_mT4_P12ihipStream_tbEUlT_E_NS1_11comp_targetILNS1_3genE4ELNS1_11target_archE910ELNS1_3gpuE8ELNS1_3repE0EEENS1_30default_config_static_selectorELNS0_4arch9wavefront6targetE1EEEvT1_
                                        ; -- End function
	.section	.AMDGPU.csdata,"",@progbits
; Kernel info:
; codeLenInByte = 0
; NumSgprs: 6
; NumVgprs: 0
; NumAgprs: 0
; TotalNumVgprs: 0
; ScratchSize: 0
; MemoryBound: 0
; FloatMode: 240
; IeeeMode: 1
; LDSByteSize: 0 bytes/workgroup (compile time only)
; SGPRBlocks: 0
; VGPRBlocks: 0
; NumSGPRsForWavesPerEU: 6
; NumVGPRsForWavesPerEU: 1
; AccumOffset: 4
; Occupancy: 8
; WaveLimiterHint : 0
; COMPUTE_PGM_RSRC2:SCRATCH_EN: 0
; COMPUTE_PGM_RSRC2:USER_SGPR: 2
; COMPUTE_PGM_RSRC2:TRAP_HANDLER: 0
; COMPUTE_PGM_RSRC2:TGID_X_EN: 1
; COMPUTE_PGM_RSRC2:TGID_Y_EN: 0
; COMPUTE_PGM_RSRC2:TGID_Z_EN: 0
; COMPUTE_PGM_RSRC2:TIDIG_COMP_CNT: 0
; COMPUTE_PGM_RSRC3_GFX90A:ACCUM_OFFSET: 0
; COMPUTE_PGM_RSRC3_GFX90A:TG_SPLIT: 0
	.section	.text._ZN7rocprim17ROCPRIM_400000_NS6detail17trampoline_kernelINS0_14default_configENS1_35adjacent_difference_config_selectorILb1EdEEZNS1_24adjacent_difference_implIS3_Lb1ELb0EPdS7_N6thrust23THRUST_200600_302600_NS4plusIdEEEE10hipError_tPvRmT2_T3_mT4_P12ihipStream_tbEUlT_E_NS1_11comp_targetILNS1_3genE3ELNS1_11target_archE908ELNS1_3gpuE7ELNS1_3repE0EEENS1_30default_config_static_selectorELNS0_4arch9wavefront6targetE1EEEvT1_,"axG",@progbits,_ZN7rocprim17ROCPRIM_400000_NS6detail17trampoline_kernelINS0_14default_configENS1_35adjacent_difference_config_selectorILb1EdEEZNS1_24adjacent_difference_implIS3_Lb1ELb0EPdS7_N6thrust23THRUST_200600_302600_NS4plusIdEEEE10hipError_tPvRmT2_T3_mT4_P12ihipStream_tbEUlT_E_NS1_11comp_targetILNS1_3genE3ELNS1_11target_archE908ELNS1_3gpuE7ELNS1_3repE0EEENS1_30default_config_static_selectorELNS0_4arch9wavefront6targetE1EEEvT1_,comdat
	.protected	_ZN7rocprim17ROCPRIM_400000_NS6detail17trampoline_kernelINS0_14default_configENS1_35adjacent_difference_config_selectorILb1EdEEZNS1_24adjacent_difference_implIS3_Lb1ELb0EPdS7_N6thrust23THRUST_200600_302600_NS4plusIdEEEE10hipError_tPvRmT2_T3_mT4_P12ihipStream_tbEUlT_E_NS1_11comp_targetILNS1_3genE3ELNS1_11target_archE908ELNS1_3gpuE7ELNS1_3repE0EEENS1_30default_config_static_selectorELNS0_4arch9wavefront6targetE1EEEvT1_ ; -- Begin function _ZN7rocprim17ROCPRIM_400000_NS6detail17trampoline_kernelINS0_14default_configENS1_35adjacent_difference_config_selectorILb1EdEEZNS1_24adjacent_difference_implIS3_Lb1ELb0EPdS7_N6thrust23THRUST_200600_302600_NS4plusIdEEEE10hipError_tPvRmT2_T3_mT4_P12ihipStream_tbEUlT_E_NS1_11comp_targetILNS1_3genE3ELNS1_11target_archE908ELNS1_3gpuE7ELNS1_3repE0EEENS1_30default_config_static_selectorELNS0_4arch9wavefront6targetE1EEEvT1_
	.globl	_ZN7rocprim17ROCPRIM_400000_NS6detail17trampoline_kernelINS0_14default_configENS1_35adjacent_difference_config_selectorILb1EdEEZNS1_24adjacent_difference_implIS3_Lb1ELb0EPdS7_N6thrust23THRUST_200600_302600_NS4plusIdEEEE10hipError_tPvRmT2_T3_mT4_P12ihipStream_tbEUlT_E_NS1_11comp_targetILNS1_3genE3ELNS1_11target_archE908ELNS1_3gpuE7ELNS1_3repE0EEENS1_30default_config_static_selectorELNS0_4arch9wavefront6targetE1EEEvT1_
	.p2align	8
	.type	_ZN7rocprim17ROCPRIM_400000_NS6detail17trampoline_kernelINS0_14default_configENS1_35adjacent_difference_config_selectorILb1EdEEZNS1_24adjacent_difference_implIS3_Lb1ELb0EPdS7_N6thrust23THRUST_200600_302600_NS4plusIdEEEE10hipError_tPvRmT2_T3_mT4_P12ihipStream_tbEUlT_E_NS1_11comp_targetILNS1_3genE3ELNS1_11target_archE908ELNS1_3gpuE7ELNS1_3repE0EEENS1_30default_config_static_selectorELNS0_4arch9wavefront6targetE1EEEvT1_,@function
_ZN7rocprim17ROCPRIM_400000_NS6detail17trampoline_kernelINS0_14default_configENS1_35adjacent_difference_config_selectorILb1EdEEZNS1_24adjacent_difference_implIS3_Lb1ELb0EPdS7_N6thrust23THRUST_200600_302600_NS4plusIdEEEE10hipError_tPvRmT2_T3_mT4_P12ihipStream_tbEUlT_E_NS1_11comp_targetILNS1_3genE3ELNS1_11target_archE908ELNS1_3gpuE7ELNS1_3repE0EEENS1_30default_config_static_selectorELNS0_4arch9wavefront6targetE1EEEvT1_: ; @_ZN7rocprim17ROCPRIM_400000_NS6detail17trampoline_kernelINS0_14default_configENS1_35adjacent_difference_config_selectorILb1EdEEZNS1_24adjacent_difference_implIS3_Lb1ELb0EPdS7_N6thrust23THRUST_200600_302600_NS4plusIdEEEE10hipError_tPvRmT2_T3_mT4_P12ihipStream_tbEUlT_E_NS1_11comp_targetILNS1_3genE3ELNS1_11target_archE908ELNS1_3gpuE7ELNS1_3repE0EEENS1_30default_config_static_selectorELNS0_4arch9wavefront6targetE1EEEvT1_
; %bb.0:
	.section	.rodata,"a",@progbits
	.p2align	6, 0x0
	.amdhsa_kernel _ZN7rocprim17ROCPRIM_400000_NS6detail17trampoline_kernelINS0_14default_configENS1_35adjacent_difference_config_selectorILb1EdEEZNS1_24adjacent_difference_implIS3_Lb1ELb0EPdS7_N6thrust23THRUST_200600_302600_NS4plusIdEEEE10hipError_tPvRmT2_T3_mT4_P12ihipStream_tbEUlT_E_NS1_11comp_targetILNS1_3genE3ELNS1_11target_archE908ELNS1_3gpuE7ELNS1_3repE0EEENS1_30default_config_static_selectorELNS0_4arch9wavefront6targetE1EEEvT1_
		.amdhsa_group_segment_fixed_size 0
		.amdhsa_private_segment_fixed_size 0
		.amdhsa_kernarg_size 56
		.amdhsa_user_sgpr_count 2
		.amdhsa_user_sgpr_dispatch_ptr 0
		.amdhsa_user_sgpr_queue_ptr 0
		.amdhsa_user_sgpr_kernarg_segment_ptr 1
		.amdhsa_user_sgpr_dispatch_id 0
		.amdhsa_user_sgpr_kernarg_preload_length 0
		.amdhsa_user_sgpr_kernarg_preload_offset 0
		.amdhsa_user_sgpr_private_segment_size 0
		.amdhsa_uses_dynamic_stack 0
		.amdhsa_enable_private_segment 0
		.amdhsa_system_sgpr_workgroup_id_x 1
		.amdhsa_system_sgpr_workgroup_id_y 0
		.amdhsa_system_sgpr_workgroup_id_z 0
		.amdhsa_system_sgpr_workgroup_info 0
		.amdhsa_system_vgpr_workitem_id 0
		.amdhsa_next_free_vgpr 1
		.amdhsa_next_free_sgpr 0
		.amdhsa_accum_offset 4
		.amdhsa_reserve_vcc 0
		.amdhsa_float_round_mode_32 0
		.amdhsa_float_round_mode_16_64 0
		.amdhsa_float_denorm_mode_32 3
		.amdhsa_float_denorm_mode_16_64 3
		.amdhsa_dx10_clamp 1
		.amdhsa_ieee_mode 1
		.amdhsa_fp16_overflow 0
		.amdhsa_tg_split 0
		.amdhsa_exception_fp_ieee_invalid_op 0
		.amdhsa_exception_fp_denorm_src 0
		.amdhsa_exception_fp_ieee_div_zero 0
		.amdhsa_exception_fp_ieee_overflow 0
		.amdhsa_exception_fp_ieee_underflow 0
		.amdhsa_exception_fp_ieee_inexact 0
		.amdhsa_exception_int_div_zero 0
	.end_amdhsa_kernel
	.section	.text._ZN7rocprim17ROCPRIM_400000_NS6detail17trampoline_kernelINS0_14default_configENS1_35adjacent_difference_config_selectorILb1EdEEZNS1_24adjacent_difference_implIS3_Lb1ELb0EPdS7_N6thrust23THRUST_200600_302600_NS4plusIdEEEE10hipError_tPvRmT2_T3_mT4_P12ihipStream_tbEUlT_E_NS1_11comp_targetILNS1_3genE3ELNS1_11target_archE908ELNS1_3gpuE7ELNS1_3repE0EEENS1_30default_config_static_selectorELNS0_4arch9wavefront6targetE1EEEvT1_,"axG",@progbits,_ZN7rocprim17ROCPRIM_400000_NS6detail17trampoline_kernelINS0_14default_configENS1_35adjacent_difference_config_selectorILb1EdEEZNS1_24adjacent_difference_implIS3_Lb1ELb0EPdS7_N6thrust23THRUST_200600_302600_NS4plusIdEEEE10hipError_tPvRmT2_T3_mT4_P12ihipStream_tbEUlT_E_NS1_11comp_targetILNS1_3genE3ELNS1_11target_archE908ELNS1_3gpuE7ELNS1_3repE0EEENS1_30default_config_static_selectorELNS0_4arch9wavefront6targetE1EEEvT1_,comdat
.Lfunc_end462:
	.size	_ZN7rocprim17ROCPRIM_400000_NS6detail17trampoline_kernelINS0_14default_configENS1_35adjacent_difference_config_selectorILb1EdEEZNS1_24adjacent_difference_implIS3_Lb1ELb0EPdS7_N6thrust23THRUST_200600_302600_NS4plusIdEEEE10hipError_tPvRmT2_T3_mT4_P12ihipStream_tbEUlT_E_NS1_11comp_targetILNS1_3genE3ELNS1_11target_archE908ELNS1_3gpuE7ELNS1_3repE0EEENS1_30default_config_static_selectorELNS0_4arch9wavefront6targetE1EEEvT1_, .Lfunc_end462-_ZN7rocprim17ROCPRIM_400000_NS6detail17trampoline_kernelINS0_14default_configENS1_35adjacent_difference_config_selectorILb1EdEEZNS1_24adjacent_difference_implIS3_Lb1ELb0EPdS7_N6thrust23THRUST_200600_302600_NS4plusIdEEEE10hipError_tPvRmT2_T3_mT4_P12ihipStream_tbEUlT_E_NS1_11comp_targetILNS1_3genE3ELNS1_11target_archE908ELNS1_3gpuE7ELNS1_3repE0EEENS1_30default_config_static_selectorELNS0_4arch9wavefront6targetE1EEEvT1_
                                        ; -- End function
	.section	.AMDGPU.csdata,"",@progbits
; Kernel info:
; codeLenInByte = 0
; NumSgprs: 6
; NumVgprs: 0
; NumAgprs: 0
; TotalNumVgprs: 0
; ScratchSize: 0
; MemoryBound: 0
; FloatMode: 240
; IeeeMode: 1
; LDSByteSize: 0 bytes/workgroup (compile time only)
; SGPRBlocks: 0
; VGPRBlocks: 0
; NumSGPRsForWavesPerEU: 6
; NumVGPRsForWavesPerEU: 1
; AccumOffset: 4
; Occupancy: 8
; WaveLimiterHint : 0
; COMPUTE_PGM_RSRC2:SCRATCH_EN: 0
; COMPUTE_PGM_RSRC2:USER_SGPR: 2
; COMPUTE_PGM_RSRC2:TRAP_HANDLER: 0
; COMPUTE_PGM_RSRC2:TGID_X_EN: 1
; COMPUTE_PGM_RSRC2:TGID_Y_EN: 0
; COMPUTE_PGM_RSRC2:TGID_Z_EN: 0
; COMPUTE_PGM_RSRC2:TIDIG_COMP_CNT: 0
; COMPUTE_PGM_RSRC3_GFX90A:ACCUM_OFFSET: 0
; COMPUTE_PGM_RSRC3_GFX90A:TG_SPLIT: 0
	.section	.text._ZN7rocprim17ROCPRIM_400000_NS6detail17trampoline_kernelINS0_14default_configENS1_35adjacent_difference_config_selectorILb1EdEEZNS1_24adjacent_difference_implIS3_Lb1ELb0EPdS7_N6thrust23THRUST_200600_302600_NS4plusIdEEEE10hipError_tPvRmT2_T3_mT4_P12ihipStream_tbEUlT_E_NS1_11comp_targetILNS1_3genE2ELNS1_11target_archE906ELNS1_3gpuE6ELNS1_3repE0EEENS1_30default_config_static_selectorELNS0_4arch9wavefront6targetE1EEEvT1_,"axG",@progbits,_ZN7rocprim17ROCPRIM_400000_NS6detail17trampoline_kernelINS0_14default_configENS1_35adjacent_difference_config_selectorILb1EdEEZNS1_24adjacent_difference_implIS3_Lb1ELb0EPdS7_N6thrust23THRUST_200600_302600_NS4plusIdEEEE10hipError_tPvRmT2_T3_mT4_P12ihipStream_tbEUlT_E_NS1_11comp_targetILNS1_3genE2ELNS1_11target_archE906ELNS1_3gpuE6ELNS1_3repE0EEENS1_30default_config_static_selectorELNS0_4arch9wavefront6targetE1EEEvT1_,comdat
	.protected	_ZN7rocprim17ROCPRIM_400000_NS6detail17trampoline_kernelINS0_14default_configENS1_35adjacent_difference_config_selectorILb1EdEEZNS1_24adjacent_difference_implIS3_Lb1ELb0EPdS7_N6thrust23THRUST_200600_302600_NS4plusIdEEEE10hipError_tPvRmT2_T3_mT4_P12ihipStream_tbEUlT_E_NS1_11comp_targetILNS1_3genE2ELNS1_11target_archE906ELNS1_3gpuE6ELNS1_3repE0EEENS1_30default_config_static_selectorELNS0_4arch9wavefront6targetE1EEEvT1_ ; -- Begin function _ZN7rocprim17ROCPRIM_400000_NS6detail17trampoline_kernelINS0_14default_configENS1_35adjacent_difference_config_selectorILb1EdEEZNS1_24adjacent_difference_implIS3_Lb1ELb0EPdS7_N6thrust23THRUST_200600_302600_NS4plusIdEEEE10hipError_tPvRmT2_T3_mT4_P12ihipStream_tbEUlT_E_NS1_11comp_targetILNS1_3genE2ELNS1_11target_archE906ELNS1_3gpuE6ELNS1_3repE0EEENS1_30default_config_static_selectorELNS0_4arch9wavefront6targetE1EEEvT1_
	.globl	_ZN7rocprim17ROCPRIM_400000_NS6detail17trampoline_kernelINS0_14default_configENS1_35adjacent_difference_config_selectorILb1EdEEZNS1_24adjacent_difference_implIS3_Lb1ELb0EPdS7_N6thrust23THRUST_200600_302600_NS4plusIdEEEE10hipError_tPvRmT2_T3_mT4_P12ihipStream_tbEUlT_E_NS1_11comp_targetILNS1_3genE2ELNS1_11target_archE906ELNS1_3gpuE6ELNS1_3repE0EEENS1_30default_config_static_selectorELNS0_4arch9wavefront6targetE1EEEvT1_
	.p2align	8
	.type	_ZN7rocprim17ROCPRIM_400000_NS6detail17trampoline_kernelINS0_14default_configENS1_35adjacent_difference_config_selectorILb1EdEEZNS1_24adjacent_difference_implIS3_Lb1ELb0EPdS7_N6thrust23THRUST_200600_302600_NS4plusIdEEEE10hipError_tPvRmT2_T3_mT4_P12ihipStream_tbEUlT_E_NS1_11comp_targetILNS1_3genE2ELNS1_11target_archE906ELNS1_3gpuE6ELNS1_3repE0EEENS1_30default_config_static_selectorELNS0_4arch9wavefront6targetE1EEEvT1_,@function
_ZN7rocprim17ROCPRIM_400000_NS6detail17trampoline_kernelINS0_14default_configENS1_35adjacent_difference_config_selectorILb1EdEEZNS1_24adjacent_difference_implIS3_Lb1ELb0EPdS7_N6thrust23THRUST_200600_302600_NS4plusIdEEEE10hipError_tPvRmT2_T3_mT4_P12ihipStream_tbEUlT_E_NS1_11comp_targetILNS1_3genE2ELNS1_11target_archE906ELNS1_3gpuE6ELNS1_3repE0EEENS1_30default_config_static_selectorELNS0_4arch9wavefront6targetE1EEEvT1_: ; @_ZN7rocprim17ROCPRIM_400000_NS6detail17trampoline_kernelINS0_14default_configENS1_35adjacent_difference_config_selectorILb1EdEEZNS1_24adjacent_difference_implIS3_Lb1ELb0EPdS7_N6thrust23THRUST_200600_302600_NS4plusIdEEEE10hipError_tPvRmT2_T3_mT4_P12ihipStream_tbEUlT_E_NS1_11comp_targetILNS1_3genE2ELNS1_11target_archE906ELNS1_3gpuE6ELNS1_3repE0EEENS1_30default_config_static_selectorELNS0_4arch9wavefront6targetE1EEEvT1_
; %bb.0:
	.section	.rodata,"a",@progbits
	.p2align	6, 0x0
	.amdhsa_kernel _ZN7rocprim17ROCPRIM_400000_NS6detail17trampoline_kernelINS0_14default_configENS1_35adjacent_difference_config_selectorILb1EdEEZNS1_24adjacent_difference_implIS3_Lb1ELb0EPdS7_N6thrust23THRUST_200600_302600_NS4plusIdEEEE10hipError_tPvRmT2_T3_mT4_P12ihipStream_tbEUlT_E_NS1_11comp_targetILNS1_3genE2ELNS1_11target_archE906ELNS1_3gpuE6ELNS1_3repE0EEENS1_30default_config_static_selectorELNS0_4arch9wavefront6targetE1EEEvT1_
		.amdhsa_group_segment_fixed_size 0
		.amdhsa_private_segment_fixed_size 0
		.amdhsa_kernarg_size 56
		.amdhsa_user_sgpr_count 2
		.amdhsa_user_sgpr_dispatch_ptr 0
		.amdhsa_user_sgpr_queue_ptr 0
		.amdhsa_user_sgpr_kernarg_segment_ptr 1
		.amdhsa_user_sgpr_dispatch_id 0
		.amdhsa_user_sgpr_kernarg_preload_length 0
		.amdhsa_user_sgpr_kernarg_preload_offset 0
		.amdhsa_user_sgpr_private_segment_size 0
		.amdhsa_uses_dynamic_stack 0
		.amdhsa_enable_private_segment 0
		.amdhsa_system_sgpr_workgroup_id_x 1
		.amdhsa_system_sgpr_workgroup_id_y 0
		.amdhsa_system_sgpr_workgroup_id_z 0
		.amdhsa_system_sgpr_workgroup_info 0
		.amdhsa_system_vgpr_workitem_id 0
		.amdhsa_next_free_vgpr 1
		.amdhsa_next_free_sgpr 0
		.amdhsa_accum_offset 4
		.amdhsa_reserve_vcc 0
		.amdhsa_float_round_mode_32 0
		.amdhsa_float_round_mode_16_64 0
		.amdhsa_float_denorm_mode_32 3
		.amdhsa_float_denorm_mode_16_64 3
		.amdhsa_dx10_clamp 1
		.amdhsa_ieee_mode 1
		.amdhsa_fp16_overflow 0
		.amdhsa_tg_split 0
		.amdhsa_exception_fp_ieee_invalid_op 0
		.amdhsa_exception_fp_denorm_src 0
		.amdhsa_exception_fp_ieee_div_zero 0
		.amdhsa_exception_fp_ieee_overflow 0
		.amdhsa_exception_fp_ieee_underflow 0
		.amdhsa_exception_fp_ieee_inexact 0
		.amdhsa_exception_int_div_zero 0
	.end_amdhsa_kernel
	.section	.text._ZN7rocprim17ROCPRIM_400000_NS6detail17trampoline_kernelINS0_14default_configENS1_35adjacent_difference_config_selectorILb1EdEEZNS1_24adjacent_difference_implIS3_Lb1ELb0EPdS7_N6thrust23THRUST_200600_302600_NS4plusIdEEEE10hipError_tPvRmT2_T3_mT4_P12ihipStream_tbEUlT_E_NS1_11comp_targetILNS1_3genE2ELNS1_11target_archE906ELNS1_3gpuE6ELNS1_3repE0EEENS1_30default_config_static_selectorELNS0_4arch9wavefront6targetE1EEEvT1_,"axG",@progbits,_ZN7rocprim17ROCPRIM_400000_NS6detail17trampoline_kernelINS0_14default_configENS1_35adjacent_difference_config_selectorILb1EdEEZNS1_24adjacent_difference_implIS3_Lb1ELb0EPdS7_N6thrust23THRUST_200600_302600_NS4plusIdEEEE10hipError_tPvRmT2_T3_mT4_P12ihipStream_tbEUlT_E_NS1_11comp_targetILNS1_3genE2ELNS1_11target_archE906ELNS1_3gpuE6ELNS1_3repE0EEENS1_30default_config_static_selectorELNS0_4arch9wavefront6targetE1EEEvT1_,comdat
.Lfunc_end463:
	.size	_ZN7rocprim17ROCPRIM_400000_NS6detail17trampoline_kernelINS0_14default_configENS1_35adjacent_difference_config_selectorILb1EdEEZNS1_24adjacent_difference_implIS3_Lb1ELb0EPdS7_N6thrust23THRUST_200600_302600_NS4plusIdEEEE10hipError_tPvRmT2_T3_mT4_P12ihipStream_tbEUlT_E_NS1_11comp_targetILNS1_3genE2ELNS1_11target_archE906ELNS1_3gpuE6ELNS1_3repE0EEENS1_30default_config_static_selectorELNS0_4arch9wavefront6targetE1EEEvT1_, .Lfunc_end463-_ZN7rocprim17ROCPRIM_400000_NS6detail17trampoline_kernelINS0_14default_configENS1_35adjacent_difference_config_selectorILb1EdEEZNS1_24adjacent_difference_implIS3_Lb1ELb0EPdS7_N6thrust23THRUST_200600_302600_NS4plusIdEEEE10hipError_tPvRmT2_T3_mT4_P12ihipStream_tbEUlT_E_NS1_11comp_targetILNS1_3genE2ELNS1_11target_archE906ELNS1_3gpuE6ELNS1_3repE0EEENS1_30default_config_static_selectorELNS0_4arch9wavefront6targetE1EEEvT1_
                                        ; -- End function
	.section	.AMDGPU.csdata,"",@progbits
; Kernel info:
; codeLenInByte = 0
; NumSgprs: 6
; NumVgprs: 0
; NumAgprs: 0
; TotalNumVgprs: 0
; ScratchSize: 0
; MemoryBound: 0
; FloatMode: 240
; IeeeMode: 1
; LDSByteSize: 0 bytes/workgroup (compile time only)
; SGPRBlocks: 0
; VGPRBlocks: 0
; NumSGPRsForWavesPerEU: 6
; NumVGPRsForWavesPerEU: 1
; AccumOffset: 4
; Occupancy: 8
; WaveLimiterHint : 0
; COMPUTE_PGM_RSRC2:SCRATCH_EN: 0
; COMPUTE_PGM_RSRC2:USER_SGPR: 2
; COMPUTE_PGM_RSRC2:TRAP_HANDLER: 0
; COMPUTE_PGM_RSRC2:TGID_X_EN: 1
; COMPUTE_PGM_RSRC2:TGID_Y_EN: 0
; COMPUTE_PGM_RSRC2:TGID_Z_EN: 0
; COMPUTE_PGM_RSRC2:TIDIG_COMP_CNT: 0
; COMPUTE_PGM_RSRC3_GFX90A:ACCUM_OFFSET: 0
; COMPUTE_PGM_RSRC3_GFX90A:TG_SPLIT: 0
	.section	.text._ZN7rocprim17ROCPRIM_400000_NS6detail17trampoline_kernelINS0_14default_configENS1_35adjacent_difference_config_selectorILb1EdEEZNS1_24adjacent_difference_implIS3_Lb1ELb0EPdS7_N6thrust23THRUST_200600_302600_NS4plusIdEEEE10hipError_tPvRmT2_T3_mT4_P12ihipStream_tbEUlT_E_NS1_11comp_targetILNS1_3genE9ELNS1_11target_archE1100ELNS1_3gpuE3ELNS1_3repE0EEENS1_30default_config_static_selectorELNS0_4arch9wavefront6targetE1EEEvT1_,"axG",@progbits,_ZN7rocprim17ROCPRIM_400000_NS6detail17trampoline_kernelINS0_14default_configENS1_35adjacent_difference_config_selectorILb1EdEEZNS1_24adjacent_difference_implIS3_Lb1ELb0EPdS7_N6thrust23THRUST_200600_302600_NS4plusIdEEEE10hipError_tPvRmT2_T3_mT4_P12ihipStream_tbEUlT_E_NS1_11comp_targetILNS1_3genE9ELNS1_11target_archE1100ELNS1_3gpuE3ELNS1_3repE0EEENS1_30default_config_static_selectorELNS0_4arch9wavefront6targetE1EEEvT1_,comdat
	.protected	_ZN7rocprim17ROCPRIM_400000_NS6detail17trampoline_kernelINS0_14default_configENS1_35adjacent_difference_config_selectorILb1EdEEZNS1_24adjacent_difference_implIS3_Lb1ELb0EPdS7_N6thrust23THRUST_200600_302600_NS4plusIdEEEE10hipError_tPvRmT2_T3_mT4_P12ihipStream_tbEUlT_E_NS1_11comp_targetILNS1_3genE9ELNS1_11target_archE1100ELNS1_3gpuE3ELNS1_3repE0EEENS1_30default_config_static_selectorELNS0_4arch9wavefront6targetE1EEEvT1_ ; -- Begin function _ZN7rocprim17ROCPRIM_400000_NS6detail17trampoline_kernelINS0_14default_configENS1_35adjacent_difference_config_selectorILb1EdEEZNS1_24adjacent_difference_implIS3_Lb1ELb0EPdS7_N6thrust23THRUST_200600_302600_NS4plusIdEEEE10hipError_tPvRmT2_T3_mT4_P12ihipStream_tbEUlT_E_NS1_11comp_targetILNS1_3genE9ELNS1_11target_archE1100ELNS1_3gpuE3ELNS1_3repE0EEENS1_30default_config_static_selectorELNS0_4arch9wavefront6targetE1EEEvT1_
	.globl	_ZN7rocprim17ROCPRIM_400000_NS6detail17trampoline_kernelINS0_14default_configENS1_35adjacent_difference_config_selectorILb1EdEEZNS1_24adjacent_difference_implIS3_Lb1ELb0EPdS7_N6thrust23THRUST_200600_302600_NS4plusIdEEEE10hipError_tPvRmT2_T3_mT4_P12ihipStream_tbEUlT_E_NS1_11comp_targetILNS1_3genE9ELNS1_11target_archE1100ELNS1_3gpuE3ELNS1_3repE0EEENS1_30default_config_static_selectorELNS0_4arch9wavefront6targetE1EEEvT1_
	.p2align	8
	.type	_ZN7rocprim17ROCPRIM_400000_NS6detail17trampoline_kernelINS0_14default_configENS1_35adjacent_difference_config_selectorILb1EdEEZNS1_24adjacent_difference_implIS3_Lb1ELb0EPdS7_N6thrust23THRUST_200600_302600_NS4plusIdEEEE10hipError_tPvRmT2_T3_mT4_P12ihipStream_tbEUlT_E_NS1_11comp_targetILNS1_3genE9ELNS1_11target_archE1100ELNS1_3gpuE3ELNS1_3repE0EEENS1_30default_config_static_selectorELNS0_4arch9wavefront6targetE1EEEvT1_,@function
_ZN7rocprim17ROCPRIM_400000_NS6detail17trampoline_kernelINS0_14default_configENS1_35adjacent_difference_config_selectorILb1EdEEZNS1_24adjacent_difference_implIS3_Lb1ELb0EPdS7_N6thrust23THRUST_200600_302600_NS4plusIdEEEE10hipError_tPvRmT2_T3_mT4_P12ihipStream_tbEUlT_E_NS1_11comp_targetILNS1_3genE9ELNS1_11target_archE1100ELNS1_3gpuE3ELNS1_3repE0EEENS1_30default_config_static_selectorELNS0_4arch9wavefront6targetE1EEEvT1_: ; @_ZN7rocprim17ROCPRIM_400000_NS6detail17trampoline_kernelINS0_14default_configENS1_35adjacent_difference_config_selectorILb1EdEEZNS1_24adjacent_difference_implIS3_Lb1ELb0EPdS7_N6thrust23THRUST_200600_302600_NS4plusIdEEEE10hipError_tPvRmT2_T3_mT4_P12ihipStream_tbEUlT_E_NS1_11comp_targetILNS1_3genE9ELNS1_11target_archE1100ELNS1_3gpuE3ELNS1_3repE0EEENS1_30default_config_static_selectorELNS0_4arch9wavefront6targetE1EEEvT1_
; %bb.0:
	.section	.rodata,"a",@progbits
	.p2align	6, 0x0
	.amdhsa_kernel _ZN7rocprim17ROCPRIM_400000_NS6detail17trampoline_kernelINS0_14default_configENS1_35adjacent_difference_config_selectorILb1EdEEZNS1_24adjacent_difference_implIS3_Lb1ELb0EPdS7_N6thrust23THRUST_200600_302600_NS4plusIdEEEE10hipError_tPvRmT2_T3_mT4_P12ihipStream_tbEUlT_E_NS1_11comp_targetILNS1_3genE9ELNS1_11target_archE1100ELNS1_3gpuE3ELNS1_3repE0EEENS1_30default_config_static_selectorELNS0_4arch9wavefront6targetE1EEEvT1_
		.amdhsa_group_segment_fixed_size 0
		.amdhsa_private_segment_fixed_size 0
		.amdhsa_kernarg_size 56
		.amdhsa_user_sgpr_count 2
		.amdhsa_user_sgpr_dispatch_ptr 0
		.amdhsa_user_sgpr_queue_ptr 0
		.amdhsa_user_sgpr_kernarg_segment_ptr 1
		.amdhsa_user_sgpr_dispatch_id 0
		.amdhsa_user_sgpr_kernarg_preload_length 0
		.amdhsa_user_sgpr_kernarg_preload_offset 0
		.amdhsa_user_sgpr_private_segment_size 0
		.amdhsa_uses_dynamic_stack 0
		.amdhsa_enable_private_segment 0
		.amdhsa_system_sgpr_workgroup_id_x 1
		.amdhsa_system_sgpr_workgroup_id_y 0
		.amdhsa_system_sgpr_workgroup_id_z 0
		.amdhsa_system_sgpr_workgroup_info 0
		.amdhsa_system_vgpr_workitem_id 0
		.amdhsa_next_free_vgpr 1
		.amdhsa_next_free_sgpr 0
		.amdhsa_accum_offset 4
		.amdhsa_reserve_vcc 0
		.amdhsa_float_round_mode_32 0
		.amdhsa_float_round_mode_16_64 0
		.amdhsa_float_denorm_mode_32 3
		.amdhsa_float_denorm_mode_16_64 3
		.amdhsa_dx10_clamp 1
		.amdhsa_ieee_mode 1
		.amdhsa_fp16_overflow 0
		.amdhsa_tg_split 0
		.amdhsa_exception_fp_ieee_invalid_op 0
		.amdhsa_exception_fp_denorm_src 0
		.amdhsa_exception_fp_ieee_div_zero 0
		.amdhsa_exception_fp_ieee_overflow 0
		.amdhsa_exception_fp_ieee_underflow 0
		.amdhsa_exception_fp_ieee_inexact 0
		.amdhsa_exception_int_div_zero 0
	.end_amdhsa_kernel
	.section	.text._ZN7rocprim17ROCPRIM_400000_NS6detail17trampoline_kernelINS0_14default_configENS1_35adjacent_difference_config_selectorILb1EdEEZNS1_24adjacent_difference_implIS3_Lb1ELb0EPdS7_N6thrust23THRUST_200600_302600_NS4plusIdEEEE10hipError_tPvRmT2_T3_mT4_P12ihipStream_tbEUlT_E_NS1_11comp_targetILNS1_3genE9ELNS1_11target_archE1100ELNS1_3gpuE3ELNS1_3repE0EEENS1_30default_config_static_selectorELNS0_4arch9wavefront6targetE1EEEvT1_,"axG",@progbits,_ZN7rocprim17ROCPRIM_400000_NS6detail17trampoline_kernelINS0_14default_configENS1_35adjacent_difference_config_selectorILb1EdEEZNS1_24adjacent_difference_implIS3_Lb1ELb0EPdS7_N6thrust23THRUST_200600_302600_NS4plusIdEEEE10hipError_tPvRmT2_T3_mT4_P12ihipStream_tbEUlT_E_NS1_11comp_targetILNS1_3genE9ELNS1_11target_archE1100ELNS1_3gpuE3ELNS1_3repE0EEENS1_30default_config_static_selectorELNS0_4arch9wavefront6targetE1EEEvT1_,comdat
.Lfunc_end464:
	.size	_ZN7rocprim17ROCPRIM_400000_NS6detail17trampoline_kernelINS0_14default_configENS1_35adjacent_difference_config_selectorILb1EdEEZNS1_24adjacent_difference_implIS3_Lb1ELb0EPdS7_N6thrust23THRUST_200600_302600_NS4plusIdEEEE10hipError_tPvRmT2_T3_mT4_P12ihipStream_tbEUlT_E_NS1_11comp_targetILNS1_3genE9ELNS1_11target_archE1100ELNS1_3gpuE3ELNS1_3repE0EEENS1_30default_config_static_selectorELNS0_4arch9wavefront6targetE1EEEvT1_, .Lfunc_end464-_ZN7rocprim17ROCPRIM_400000_NS6detail17trampoline_kernelINS0_14default_configENS1_35adjacent_difference_config_selectorILb1EdEEZNS1_24adjacent_difference_implIS3_Lb1ELb0EPdS7_N6thrust23THRUST_200600_302600_NS4plusIdEEEE10hipError_tPvRmT2_T3_mT4_P12ihipStream_tbEUlT_E_NS1_11comp_targetILNS1_3genE9ELNS1_11target_archE1100ELNS1_3gpuE3ELNS1_3repE0EEENS1_30default_config_static_selectorELNS0_4arch9wavefront6targetE1EEEvT1_
                                        ; -- End function
	.section	.AMDGPU.csdata,"",@progbits
; Kernel info:
; codeLenInByte = 0
; NumSgprs: 6
; NumVgprs: 0
; NumAgprs: 0
; TotalNumVgprs: 0
; ScratchSize: 0
; MemoryBound: 0
; FloatMode: 240
; IeeeMode: 1
; LDSByteSize: 0 bytes/workgroup (compile time only)
; SGPRBlocks: 0
; VGPRBlocks: 0
; NumSGPRsForWavesPerEU: 6
; NumVGPRsForWavesPerEU: 1
; AccumOffset: 4
; Occupancy: 8
; WaveLimiterHint : 0
; COMPUTE_PGM_RSRC2:SCRATCH_EN: 0
; COMPUTE_PGM_RSRC2:USER_SGPR: 2
; COMPUTE_PGM_RSRC2:TRAP_HANDLER: 0
; COMPUTE_PGM_RSRC2:TGID_X_EN: 1
; COMPUTE_PGM_RSRC2:TGID_Y_EN: 0
; COMPUTE_PGM_RSRC2:TGID_Z_EN: 0
; COMPUTE_PGM_RSRC2:TIDIG_COMP_CNT: 0
; COMPUTE_PGM_RSRC3_GFX90A:ACCUM_OFFSET: 0
; COMPUTE_PGM_RSRC3_GFX90A:TG_SPLIT: 0
	.section	.text._ZN7rocprim17ROCPRIM_400000_NS6detail17trampoline_kernelINS0_14default_configENS1_35adjacent_difference_config_selectorILb1EdEEZNS1_24adjacent_difference_implIS3_Lb1ELb0EPdS7_N6thrust23THRUST_200600_302600_NS4plusIdEEEE10hipError_tPvRmT2_T3_mT4_P12ihipStream_tbEUlT_E_NS1_11comp_targetILNS1_3genE8ELNS1_11target_archE1030ELNS1_3gpuE2ELNS1_3repE0EEENS1_30default_config_static_selectorELNS0_4arch9wavefront6targetE1EEEvT1_,"axG",@progbits,_ZN7rocprim17ROCPRIM_400000_NS6detail17trampoline_kernelINS0_14default_configENS1_35adjacent_difference_config_selectorILb1EdEEZNS1_24adjacent_difference_implIS3_Lb1ELb0EPdS7_N6thrust23THRUST_200600_302600_NS4plusIdEEEE10hipError_tPvRmT2_T3_mT4_P12ihipStream_tbEUlT_E_NS1_11comp_targetILNS1_3genE8ELNS1_11target_archE1030ELNS1_3gpuE2ELNS1_3repE0EEENS1_30default_config_static_selectorELNS0_4arch9wavefront6targetE1EEEvT1_,comdat
	.protected	_ZN7rocprim17ROCPRIM_400000_NS6detail17trampoline_kernelINS0_14default_configENS1_35adjacent_difference_config_selectorILb1EdEEZNS1_24adjacent_difference_implIS3_Lb1ELb0EPdS7_N6thrust23THRUST_200600_302600_NS4plusIdEEEE10hipError_tPvRmT2_T3_mT4_P12ihipStream_tbEUlT_E_NS1_11comp_targetILNS1_3genE8ELNS1_11target_archE1030ELNS1_3gpuE2ELNS1_3repE0EEENS1_30default_config_static_selectorELNS0_4arch9wavefront6targetE1EEEvT1_ ; -- Begin function _ZN7rocprim17ROCPRIM_400000_NS6detail17trampoline_kernelINS0_14default_configENS1_35adjacent_difference_config_selectorILb1EdEEZNS1_24adjacent_difference_implIS3_Lb1ELb0EPdS7_N6thrust23THRUST_200600_302600_NS4plusIdEEEE10hipError_tPvRmT2_T3_mT4_P12ihipStream_tbEUlT_E_NS1_11comp_targetILNS1_3genE8ELNS1_11target_archE1030ELNS1_3gpuE2ELNS1_3repE0EEENS1_30default_config_static_selectorELNS0_4arch9wavefront6targetE1EEEvT1_
	.globl	_ZN7rocprim17ROCPRIM_400000_NS6detail17trampoline_kernelINS0_14default_configENS1_35adjacent_difference_config_selectorILb1EdEEZNS1_24adjacent_difference_implIS3_Lb1ELb0EPdS7_N6thrust23THRUST_200600_302600_NS4plusIdEEEE10hipError_tPvRmT2_T3_mT4_P12ihipStream_tbEUlT_E_NS1_11comp_targetILNS1_3genE8ELNS1_11target_archE1030ELNS1_3gpuE2ELNS1_3repE0EEENS1_30default_config_static_selectorELNS0_4arch9wavefront6targetE1EEEvT1_
	.p2align	8
	.type	_ZN7rocprim17ROCPRIM_400000_NS6detail17trampoline_kernelINS0_14default_configENS1_35adjacent_difference_config_selectorILb1EdEEZNS1_24adjacent_difference_implIS3_Lb1ELb0EPdS7_N6thrust23THRUST_200600_302600_NS4plusIdEEEE10hipError_tPvRmT2_T3_mT4_P12ihipStream_tbEUlT_E_NS1_11comp_targetILNS1_3genE8ELNS1_11target_archE1030ELNS1_3gpuE2ELNS1_3repE0EEENS1_30default_config_static_selectorELNS0_4arch9wavefront6targetE1EEEvT1_,@function
_ZN7rocprim17ROCPRIM_400000_NS6detail17trampoline_kernelINS0_14default_configENS1_35adjacent_difference_config_selectorILb1EdEEZNS1_24adjacent_difference_implIS3_Lb1ELb0EPdS7_N6thrust23THRUST_200600_302600_NS4plusIdEEEE10hipError_tPvRmT2_T3_mT4_P12ihipStream_tbEUlT_E_NS1_11comp_targetILNS1_3genE8ELNS1_11target_archE1030ELNS1_3gpuE2ELNS1_3repE0EEENS1_30default_config_static_selectorELNS0_4arch9wavefront6targetE1EEEvT1_: ; @_ZN7rocprim17ROCPRIM_400000_NS6detail17trampoline_kernelINS0_14default_configENS1_35adjacent_difference_config_selectorILb1EdEEZNS1_24adjacent_difference_implIS3_Lb1ELb0EPdS7_N6thrust23THRUST_200600_302600_NS4plusIdEEEE10hipError_tPvRmT2_T3_mT4_P12ihipStream_tbEUlT_E_NS1_11comp_targetILNS1_3genE8ELNS1_11target_archE1030ELNS1_3gpuE2ELNS1_3repE0EEENS1_30default_config_static_selectorELNS0_4arch9wavefront6targetE1EEEvT1_
; %bb.0:
	.section	.rodata,"a",@progbits
	.p2align	6, 0x0
	.amdhsa_kernel _ZN7rocprim17ROCPRIM_400000_NS6detail17trampoline_kernelINS0_14default_configENS1_35adjacent_difference_config_selectorILb1EdEEZNS1_24adjacent_difference_implIS3_Lb1ELb0EPdS7_N6thrust23THRUST_200600_302600_NS4plusIdEEEE10hipError_tPvRmT2_T3_mT4_P12ihipStream_tbEUlT_E_NS1_11comp_targetILNS1_3genE8ELNS1_11target_archE1030ELNS1_3gpuE2ELNS1_3repE0EEENS1_30default_config_static_selectorELNS0_4arch9wavefront6targetE1EEEvT1_
		.amdhsa_group_segment_fixed_size 0
		.amdhsa_private_segment_fixed_size 0
		.amdhsa_kernarg_size 56
		.amdhsa_user_sgpr_count 2
		.amdhsa_user_sgpr_dispatch_ptr 0
		.amdhsa_user_sgpr_queue_ptr 0
		.amdhsa_user_sgpr_kernarg_segment_ptr 1
		.amdhsa_user_sgpr_dispatch_id 0
		.amdhsa_user_sgpr_kernarg_preload_length 0
		.amdhsa_user_sgpr_kernarg_preload_offset 0
		.amdhsa_user_sgpr_private_segment_size 0
		.amdhsa_uses_dynamic_stack 0
		.amdhsa_enable_private_segment 0
		.amdhsa_system_sgpr_workgroup_id_x 1
		.amdhsa_system_sgpr_workgroup_id_y 0
		.amdhsa_system_sgpr_workgroup_id_z 0
		.amdhsa_system_sgpr_workgroup_info 0
		.amdhsa_system_vgpr_workitem_id 0
		.amdhsa_next_free_vgpr 1
		.amdhsa_next_free_sgpr 0
		.amdhsa_accum_offset 4
		.amdhsa_reserve_vcc 0
		.amdhsa_float_round_mode_32 0
		.amdhsa_float_round_mode_16_64 0
		.amdhsa_float_denorm_mode_32 3
		.amdhsa_float_denorm_mode_16_64 3
		.amdhsa_dx10_clamp 1
		.amdhsa_ieee_mode 1
		.amdhsa_fp16_overflow 0
		.amdhsa_tg_split 0
		.amdhsa_exception_fp_ieee_invalid_op 0
		.amdhsa_exception_fp_denorm_src 0
		.amdhsa_exception_fp_ieee_div_zero 0
		.amdhsa_exception_fp_ieee_overflow 0
		.amdhsa_exception_fp_ieee_underflow 0
		.amdhsa_exception_fp_ieee_inexact 0
		.amdhsa_exception_int_div_zero 0
	.end_amdhsa_kernel
	.section	.text._ZN7rocprim17ROCPRIM_400000_NS6detail17trampoline_kernelINS0_14default_configENS1_35adjacent_difference_config_selectorILb1EdEEZNS1_24adjacent_difference_implIS3_Lb1ELb0EPdS7_N6thrust23THRUST_200600_302600_NS4plusIdEEEE10hipError_tPvRmT2_T3_mT4_P12ihipStream_tbEUlT_E_NS1_11comp_targetILNS1_3genE8ELNS1_11target_archE1030ELNS1_3gpuE2ELNS1_3repE0EEENS1_30default_config_static_selectorELNS0_4arch9wavefront6targetE1EEEvT1_,"axG",@progbits,_ZN7rocprim17ROCPRIM_400000_NS6detail17trampoline_kernelINS0_14default_configENS1_35adjacent_difference_config_selectorILb1EdEEZNS1_24adjacent_difference_implIS3_Lb1ELb0EPdS7_N6thrust23THRUST_200600_302600_NS4plusIdEEEE10hipError_tPvRmT2_T3_mT4_P12ihipStream_tbEUlT_E_NS1_11comp_targetILNS1_3genE8ELNS1_11target_archE1030ELNS1_3gpuE2ELNS1_3repE0EEENS1_30default_config_static_selectorELNS0_4arch9wavefront6targetE1EEEvT1_,comdat
.Lfunc_end465:
	.size	_ZN7rocprim17ROCPRIM_400000_NS6detail17trampoline_kernelINS0_14default_configENS1_35adjacent_difference_config_selectorILb1EdEEZNS1_24adjacent_difference_implIS3_Lb1ELb0EPdS7_N6thrust23THRUST_200600_302600_NS4plusIdEEEE10hipError_tPvRmT2_T3_mT4_P12ihipStream_tbEUlT_E_NS1_11comp_targetILNS1_3genE8ELNS1_11target_archE1030ELNS1_3gpuE2ELNS1_3repE0EEENS1_30default_config_static_selectorELNS0_4arch9wavefront6targetE1EEEvT1_, .Lfunc_end465-_ZN7rocprim17ROCPRIM_400000_NS6detail17trampoline_kernelINS0_14default_configENS1_35adjacent_difference_config_selectorILb1EdEEZNS1_24adjacent_difference_implIS3_Lb1ELb0EPdS7_N6thrust23THRUST_200600_302600_NS4plusIdEEEE10hipError_tPvRmT2_T3_mT4_P12ihipStream_tbEUlT_E_NS1_11comp_targetILNS1_3genE8ELNS1_11target_archE1030ELNS1_3gpuE2ELNS1_3repE0EEENS1_30default_config_static_selectorELNS0_4arch9wavefront6targetE1EEEvT1_
                                        ; -- End function
	.section	.AMDGPU.csdata,"",@progbits
; Kernel info:
; codeLenInByte = 0
; NumSgprs: 6
; NumVgprs: 0
; NumAgprs: 0
; TotalNumVgprs: 0
; ScratchSize: 0
; MemoryBound: 0
; FloatMode: 240
; IeeeMode: 1
; LDSByteSize: 0 bytes/workgroup (compile time only)
; SGPRBlocks: 0
; VGPRBlocks: 0
; NumSGPRsForWavesPerEU: 6
; NumVGPRsForWavesPerEU: 1
; AccumOffset: 4
; Occupancy: 8
; WaveLimiterHint : 0
; COMPUTE_PGM_RSRC2:SCRATCH_EN: 0
; COMPUTE_PGM_RSRC2:USER_SGPR: 2
; COMPUTE_PGM_RSRC2:TRAP_HANDLER: 0
; COMPUTE_PGM_RSRC2:TGID_X_EN: 1
; COMPUTE_PGM_RSRC2:TGID_Y_EN: 0
; COMPUTE_PGM_RSRC2:TGID_Z_EN: 0
; COMPUTE_PGM_RSRC2:TIDIG_COMP_CNT: 0
; COMPUTE_PGM_RSRC3_GFX90A:ACCUM_OFFSET: 0
; COMPUTE_PGM_RSRC3_GFX90A:TG_SPLIT: 0
	.section	.text._ZN7rocprim17ROCPRIM_400000_NS6detail17trampoline_kernelINS0_14default_configENS1_35adjacent_difference_config_selectorILb0EaEEZNS1_24adjacent_difference_implIS3_Lb0ELb0EPKaPaN6thrust23THRUST_200600_302600_NS4plusIaEEEE10hipError_tPvRmT2_T3_mT4_P12ihipStream_tbEUlT_E_NS1_11comp_targetILNS1_3genE0ELNS1_11target_archE4294967295ELNS1_3gpuE0ELNS1_3repE0EEENS1_30default_config_static_selectorELNS0_4arch9wavefront6targetE1EEEvT1_,"axG",@progbits,_ZN7rocprim17ROCPRIM_400000_NS6detail17trampoline_kernelINS0_14default_configENS1_35adjacent_difference_config_selectorILb0EaEEZNS1_24adjacent_difference_implIS3_Lb0ELb0EPKaPaN6thrust23THRUST_200600_302600_NS4plusIaEEEE10hipError_tPvRmT2_T3_mT4_P12ihipStream_tbEUlT_E_NS1_11comp_targetILNS1_3genE0ELNS1_11target_archE4294967295ELNS1_3gpuE0ELNS1_3repE0EEENS1_30default_config_static_selectorELNS0_4arch9wavefront6targetE1EEEvT1_,comdat
	.protected	_ZN7rocprim17ROCPRIM_400000_NS6detail17trampoline_kernelINS0_14default_configENS1_35adjacent_difference_config_selectorILb0EaEEZNS1_24adjacent_difference_implIS3_Lb0ELb0EPKaPaN6thrust23THRUST_200600_302600_NS4plusIaEEEE10hipError_tPvRmT2_T3_mT4_P12ihipStream_tbEUlT_E_NS1_11comp_targetILNS1_3genE0ELNS1_11target_archE4294967295ELNS1_3gpuE0ELNS1_3repE0EEENS1_30default_config_static_selectorELNS0_4arch9wavefront6targetE1EEEvT1_ ; -- Begin function _ZN7rocprim17ROCPRIM_400000_NS6detail17trampoline_kernelINS0_14default_configENS1_35adjacent_difference_config_selectorILb0EaEEZNS1_24adjacent_difference_implIS3_Lb0ELb0EPKaPaN6thrust23THRUST_200600_302600_NS4plusIaEEEE10hipError_tPvRmT2_T3_mT4_P12ihipStream_tbEUlT_E_NS1_11comp_targetILNS1_3genE0ELNS1_11target_archE4294967295ELNS1_3gpuE0ELNS1_3repE0EEENS1_30default_config_static_selectorELNS0_4arch9wavefront6targetE1EEEvT1_
	.globl	_ZN7rocprim17ROCPRIM_400000_NS6detail17trampoline_kernelINS0_14default_configENS1_35adjacent_difference_config_selectorILb0EaEEZNS1_24adjacent_difference_implIS3_Lb0ELb0EPKaPaN6thrust23THRUST_200600_302600_NS4plusIaEEEE10hipError_tPvRmT2_T3_mT4_P12ihipStream_tbEUlT_E_NS1_11comp_targetILNS1_3genE0ELNS1_11target_archE4294967295ELNS1_3gpuE0ELNS1_3repE0EEENS1_30default_config_static_selectorELNS0_4arch9wavefront6targetE1EEEvT1_
	.p2align	8
	.type	_ZN7rocprim17ROCPRIM_400000_NS6detail17trampoline_kernelINS0_14default_configENS1_35adjacent_difference_config_selectorILb0EaEEZNS1_24adjacent_difference_implIS3_Lb0ELb0EPKaPaN6thrust23THRUST_200600_302600_NS4plusIaEEEE10hipError_tPvRmT2_T3_mT4_P12ihipStream_tbEUlT_E_NS1_11comp_targetILNS1_3genE0ELNS1_11target_archE4294967295ELNS1_3gpuE0ELNS1_3repE0EEENS1_30default_config_static_selectorELNS0_4arch9wavefront6targetE1EEEvT1_,@function
_ZN7rocprim17ROCPRIM_400000_NS6detail17trampoline_kernelINS0_14default_configENS1_35adjacent_difference_config_selectorILb0EaEEZNS1_24adjacent_difference_implIS3_Lb0ELb0EPKaPaN6thrust23THRUST_200600_302600_NS4plusIaEEEE10hipError_tPvRmT2_T3_mT4_P12ihipStream_tbEUlT_E_NS1_11comp_targetILNS1_3genE0ELNS1_11target_archE4294967295ELNS1_3gpuE0ELNS1_3repE0EEENS1_30default_config_static_selectorELNS0_4arch9wavefront6targetE1EEEvT1_: ; @_ZN7rocprim17ROCPRIM_400000_NS6detail17trampoline_kernelINS0_14default_configENS1_35adjacent_difference_config_selectorILb0EaEEZNS1_24adjacent_difference_implIS3_Lb0ELb0EPKaPaN6thrust23THRUST_200600_302600_NS4plusIaEEEE10hipError_tPvRmT2_T3_mT4_P12ihipStream_tbEUlT_E_NS1_11comp_targetILNS1_3genE0ELNS1_11target_archE4294967295ELNS1_3gpuE0ELNS1_3repE0EEENS1_30default_config_static_selectorELNS0_4arch9wavefront6targetE1EEEvT1_
; %bb.0:
	.section	.rodata,"a",@progbits
	.p2align	6, 0x0
	.amdhsa_kernel _ZN7rocprim17ROCPRIM_400000_NS6detail17trampoline_kernelINS0_14default_configENS1_35adjacent_difference_config_selectorILb0EaEEZNS1_24adjacent_difference_implIS3_Lb0ELb0EPKaPaN6thrust23THRUST_200600_302600_NS4plusIaEEEE10hipError_tPvRmT2_T3_mT4_P12ihipStream_tbEUlT_E_NS1_11comp_targetILNS1_3genE0ELNS1_11target_archE4294967295ELNS1_3gpuE0ELNS1_3repE0EEENS1_30default_config_static_selectorELNS0_4arch9wavefront6targetE1EEEvT1_
		.amdhsa_group_segment_fixed_size 0
		.amdhsa_private_segment_fixed_size 0
		.amdhsa_kernarg_size 56
		.amdhsa_user_sgpr_count 2
		.amdhsa_user_sgpr_dispatch_ptr 0
		.amdhsa_user_sgpr_queue_ptr 0
		.amdhsa_user_sgpr_kernarg_segment_ptr 1
		.amdhsa_user_sgpr_dispatch_id 0
		.amdhsa_user_sgpr_kernarg_preload_length 0
		.amdhsa_user_sgpr_kernarg_preload_offset 0
		.amdhsa_user_sgpr_private_segment_size 0
		.amdhsa_uses_dynamic_stack 0
		.amdhsa_enable_private_segment 0
		.amdhsa_system_sgpr_workgroup_id_x 1
		.amdhsa_system_sgpr_workgroup_id_y 0
		.amdhsa_system_sgpr_workgroup_id_z 0
		.amdhsa_system_sgpr_workgroup_info 0
		.amdhsa_system_vgpr_workitem_id 0
		.amdhsa_next_free_vgpr 1
		.amdhsa_next_free_sgpr 0
		.amdhsa_accum_offset 4
		.amdhsa_reserve_vcc 0
		.amdhsa_float_round_mode_32 0
		.amdhsa_float_round_mode_16_64 0
		.amdhsa_float_denorm_mode_32 3
		.amdhsa_float_denorm_mode_16_64 3
		.amdhsa_dx10_clamp 1
		.amdhsa_ieee_mode 1
		.amdhsa_fp16_overflow 0
		.amdhsa_tg_split 0
		.amdhsa_exception_fp_ieee_invalid_op 0
		.amdhsa_exception_fp_denorm_src 0
		.amdhsa_exception_fp_ieee_div_zero 0
		.amdhsa_exception_fp_ieee_overflow 0
		.amdhsa_exception_fp_ieee_underflow 0
		.amdhsa_exception_fp_ieee_inexact 0
		.amdhsa_exception_int_div_zero 0
	.end_amdhsa_kernel
	.section	.text._ZN7rocprim17ROCPRIM_400000_NS6detail17trampoline_kernelINS0_14default_configENS1_35adjacent_difference_config_selectorILb0EaEEZNS1_24adjacent_difference_implIS3_Lb0ELb0EPKaPaN6thrust23THRUST_200600_302600_NS4plusIaEEEE10hipError_tPvRmT2_T3_mT4_P12ihipStream_tbEUlT_E_NS1_11comp_targetILNS1_3genE0ELNS1_11target_archE4294967295ELNS1_3gpuE0ELNS1_3repE0EEENS1_30default_config_static_selectorELNS0_4arch9wavefront6targetE1EEEvT1_,"axG",@progbits,_ZN7rocprim17ROCPRIM_400000_NS6detail17trampoline_kernelINS0_14default_configENS1_35adjacent_difference_config_selectorILb0EaEEZNS1_24adjacent_difference_implIS3_Lb0ELb0EPKaPaN6thrust23THRUST_200600_302600_NS4plusIaEEEE10hipError_tPvRmT2_T3_mT4_P12ihipStream_tbEUlT_E_NS1_11comp_targetILNS1_3genE0ELNS1_11target_archE4294967295ELNS1_3gpuE0ELNS1_3repE0EEENS1_30default_config_static_selectorELNS0_4arch9wavefront6targetE1EEEvT1_,comdat
.Lfunc_end466:
	.size	_ZN7rocprim17ROCPRIM_400000_NS6detail17trampoline_kernelINS0_14default_configENS1_35adjacent_difference_config_selectorILb0EaEEZNS1_24adjacent_difference_implIS3_Lb0ELb0EPKaPaN6thrust23THRUST_200600_302600_NS4plusIaEEEE10hipError_tPvRmT2_T3_mT4_P12ihipStream_tbEUlT_E_NS1_11comp_targetILNS1_3genE0ELNS1_11target_archE4294967295ELNS1_3gpuE0ELNS1_3repE0EEENS1_30default_config_static_selectorELNS0_4arch9wavefront6targetE1EEEvT1_, .Lfunc_end466-_ZN7rocprim17ROCPRIM_400000_NS6detail17trampoline_kernelINS0_14default_configENS1_35adjacent_difference_config_selectorILb0EaEEZNS1_24adjacent_difference_implIS3_Lb0ELb0EPKaPaN6thrust23THRUST_200600_302600_NS4plusIaEEEE10hipError_tPvRmT2_T3_mT4_P12ihipStream_tbEUlT_E_NS1_11comp_targetILNS1_3genE0ELNS1_11target_archE4294967295ELNS1_3gpuE0ELNS1_3repE0EEENS1_30default_config_static_selectorELNS0_4arch9wavefront6targetE1EEEvT1_
                                        ; -- End function
	.section	.AMDGPU.csdata,"",@progbits
; Kernel info:
; codeLenInByte = 0
; NumSgprs: 6
; NumVgprs: 0
; NumAgprs: 0
; TotalNumVgprs: 0
; ScratchSize: 0
; MemoryBound: 0
; FloatMode: 240
; IeeeMode: 1
; LDSByteSize: 0 bytes/workgroup (compile time only)
; SGPRBlocks: 0
; VGPRBlocks: 0
; NumSGPRsForWavesPerEU: 6
; NumVGPRsForWavesPerEU: 1
; AccumOffset: 4
; Occupancy: 8
; WaveLimiterHint : 0
; COMPUTE_PGM_RSRC2:SCRATCH_EN: 0
; COMPUTE_PGM_RSRC2:USER_SGPR: 2
; COMPUTE_PGM_RSRC2:TRAP_HANDLER: 0
; COMPUTE_PGM_RSRC2:TGID_X_EN: 1
; COMPUTE_PGM_RSRC2:TGID_Y_EN: 0
; COMPUTE_PGM_RSRC2:TGID_Z_EN: 0
; COMPUTE_PGM_RSRC2:TIDIG_COMP_CNT: 0
; COMPUTE_PGM_RSRC3_GFX90A:ACCUM_OFFSET: 0
; COMPUTE_PGM_RSRC3_GFX90A:TG_SPLIT: 0
	.section	.text._ZN7rocprim17ROCPRIM_400000_NS6detail17trampoline_kernelINS0_14default_configENS1_35adjacent_difference_config_selectorILb0EaEEZNS1_24adjacent_difference_implIS3_Lb0ELb0EPKaPaN6thrust23THRUST_200600_302600_NS4plusIaEEEE10hipError_tPvRmT2_T3_mT4_P12ihipStream_tbEUlT_E_NS1_11comp_targetILNS1_3genE10ELNS1_11target_archE1201ELNS1_3gpuE5ELNS1_3repE0EEENS1_30default_config_static_selectorELNS0_4arch9wavefront6targetE1EEEvT1_,"axG",@progbits,_ZN7rocprim17ROCPRIM_400000_NS6detail17trampoline_kernelINS0_14default_configENS1_35adjacent_difference_config_selectorILb0EaEEZNS1_24adjacent_difference_implIS3_Lb0ELb0EPKaPaN6thrust23THRUST_200600_302600_NS4plusIaEEEE10hipError_tPvRmT2_T3_mT4_P12ihipStream_tbEUlT_E_NS1_11comp_targetILNS1_3genE10ELNS1_11target_archE1201ELNS1_3gpuE5ELNS1_3repE0EEENS1_30default_config_static_selectorELNS0_4arch9wavefront6targetE1EEEvT1_,comdat
	.protected	_ZN7rocprim17ROCPRIM_400000_NS6detail17trampoline_kernelINS0_14default_configENS1_35adjacent_difference_config_selectorILb0EaEEZNS1_24adjacent_difference_implIS3_Lb0ELb0EPKaPaN6thrust23THRUST_200600_302600_NS4plusIaEEEE10hipError_tPvRmT2_T3_mT4_P12ihipStream_tbEUlT_E_NS1_11comp_targetILNS1_3genE10ELNS1_11target_archE1201ELNS1_3gpuE5ELNS1_3repE0EEENS1_30default_config_static_selectorELNS0_4arch9wavefront6targetE1EEEvT1_ ; -- Begin function _ZN7rocprim17ROCPRIM_400000_NS6detail17trampoline_kernelINS0_14default_configENS1_35adjacent_difference_config_selectorILb0EaEEZNS1_24adjacent_difference_implIS3_Lb0ELb0EPKaPaN6thrust23THRUST_200600_302600_NS4plusIaEEEE10hipError_tPvRmT2_T3_mT4_P12ihipStream_tbEUlT_E_NS1_11comp_targetILNS1_3genE10ELNS1_11target_archE1201ELNS1_3gpuE5ELNS1_3repE0EEENS1_30default_config_static_selectorELNS0_4arch9wavefront6targetE1EEEvT1_
	.globl	_ZN7rocprim17ROCPRIM_400000_NS6detail17trampoline_kernelINS0_14default_configENS1_35adjacent_difference_config_selectorILb0EaEEZNS1_24adjacent_difference_implIS3_Lb0ELb0EPKaPaN6thrust23THRUST_200600_302600_NS4plusIaEEEE10hipError_tPvRmT2_T3_mT4_P12ihipStream_tbEUlT_E_NS1_11comp_targetILNS1_3genE10ELNS1_11target_archE1201ELNS1_3gpuE5ELNS1_3repE0EEENS1_30default_config_static_selectorELNS0_4arch9wavefront6targetE1EEEvT1_
	.p2align	8
	.type	_ZN7rocprim17ROCPRIM_400000_NS6detail17trampoline_kernelINS0_14default_configENS1_35adjacent_difference_config_selectorILb0EaEEZNS1_24adjacent_difference_implIS3_Lb0ELb0EPKaPaN6thrust23THRUST_200600_302600_NS4plusIaEEEE10hipError_tPvRmT2_T3_mT4_P12ihipStream_tbEUlT_E_NS1_11comp_targetILNS1_3genE10ELNS1_11target_archE1201ELNS1_3gpuE5ELNS1_3repE0EEENS1_30default_config_static_selectorELNS0_4arch9wavefront6targetE1EEEvT1_,@function
_ZN7rocprim17ROCPRIM_400000_NS6detail17trampoline_kernelINS0_14default_configENS1_35adjacent_difference_config_selectorILb0EaEEZNS1_24adjacent_difference_implIS3_Lb0ELb0EPKaPaN6thrust23THRUST_200600_302600_NS4plusIaEEEE10hipError_tPvRmT2_T3_mT4_P12ihipStream_tbEUlT_E_NS1_11comp_targetILNS1_3genE10ELNS1_11target_archE1201ELNS1_3gpuE5ELNS1_3repE0EEENS1_30default_config_static_selectorELNS0_4arch9wavefront6targetE1EEEvT1_: ; @_ZN7rocprim17ROCPRIM_400000_NS6detail17trampoline_kernelINS0_14default_configENS1_35adjacent_difference_config_selectorILb0EaEEZNS1_24adjacent_difference_implIS3_Lb0ELb0EPKaPaN6thrust23THRUST_200600_302600_NS4plusIaEEEE10hipError_tPvRmT2_T3_mT4_P12ihipStream_tbEUlT_E_NS1_11comp_targetILNS1_3genE10ELNS1_11target_archE1201ELNS1_3gpuE5ELNS1_3repE0EEENS1_30default_config_static_selectorELNS0_4arch9wavefront6targetE1EEEvT1_
; %bb.0:
	.section	.rodata,"a",@progbits
	.p2align	6, 0x0
	.amdhsa_kernel _ZN7rocprim17ROCPRIM_400000_NS6detail17trampoline_kernelINS0_14default_configENS1_35adjacent_difference_config_selectorILb0EaEEZNS1_24adjacent_difference_implIS3_Lb0ELb0EPKaPaN6thrust23THRUST_200600_302600_NS4plusIaEEEE10hipError_tPvRmT2_T3_mT4_P12ihipStream_tbEUlT_E_NS1_11comp_targetILNS1_3genE10ELNS1_11target_archE1201ELNS1_3gpuE5ELNS1_3repE0EEENS1_30default_config_static_selectorELNS0_4arch9wavefront6targetE1EEEvT1_
		.amdhsa_group_segment_fixed_size 0
		.amdhsa_private_segment_fixed_size 0
		.amdhsa_kernarg_size 56
		.amdhsa_user_sgpr_count 2
		.amdhsa_user_sgpr_dispatch_ptr 0
		.amdhsa_user_sgpr_queue_ptr 0
		.amdhsa_user_sgpr_kernarg_segment_ptr 1
		.amdhsa_user_sgpr_dispatch_id 0
		.amdhsa_user_sgpr_kernarg_preload_length 0
		.amdhsa_user_sgpr_kernarg_preload_offset 0
		.amdhsa_user_sgpr_private_segment_size 0
		.amdhsa_uses_dynamic_stack 0
		.amdhsa_enable_private_segment 0
		.amdhsa_system_sgpr_workgroup_id_x 1
		.amdhsa_system_sgpr_workgroup_id_y 0
		.amdhsa_system_sgpr_workgroup_id_z 0
		.amdhsa_system_sgpr_workgroup_info 0
		.amdhsa_system_vgpr_workitem_id 0
		.amdhsa_next_free_vgpr 1
		.amdhsa_next_free_sgpr 0
		.amdhsa_accum_offset 4
		.amdhsa_reserve_vcc 0
		.amdhsa_float_round_mode_32 0
		.amdhsa_float_round_mode_16_64 0
		.amdhsa_float_denorm_mode_32 3
		.amdhsa_float_denorm_mode_16_64 3
		.amdhsa_dx10_clamp 1
		.amdhsa_ieee_mode 1
		.amdhsa_fp16_overflow 0
		.amdhsa_tg_split 0
		.amdhsa_exception_fp_ieee_invalid_op 0
		.amdhsa_exception_fp_denorm_src 0
		.amdhsa_exception_fp_ieee_div_zero 0
		.amdhsa_exception_fp_ieee_overflow 0
		.amdhsa_exception_fp_ieee_underflow 0
		.amdhsa_exception_fp_ieee_inexact 0
		.amdhsa_exception_int_div_zero 0
	.end_amdhsa_kernel
	.section	.text._ZN7rocprim17ROCPRIM_400000_NS6detail17trampoline_kernelINS0_14default_configENS1_35adjacent_difference_config_selectorILb0EaEEZNS1_24adjacent_difference_implIS3_Lb0ELb0EPKaPaN6thrust23THRUST_200600_302600_NS4plusIaEEEE10hipError_tPvRmT2_T3_mT4_P12ihipStream_tbEUlT_E_NS1_11comp_targetILNS1_3genE10ELNS1_11target_archE1201ELNS1_3gpuE5ELNS1_3repE0EEENS1_30default_config_static_selectorELNS0_4arch9wavefront6targetE1EEEvT1_,"axG",@progbits,_ZN7rocprim17ROCPRIM_400000_NS6detail17trampoline_kernelINS0_14default_configENS1_35adjacent_difference_config_selectorILb0EaEEZNS1_24adjacent_difference_implIS3_Lb0ELb0EPKaPaN6thrust23THRUST_200600_302600_NS4plusIaEEEE10hipError_tPvRmT2_T3_mT4_P12ihipStream_tbEUlT_E_NS1_11comp_targetILNS1_3genE10ELNS1_11target_archE1201ELNS1_3gpuE5ELNS1_3repE0EEENS1_30default_config_static_selectorELNS0_4arch9wavefront6targetE1EEEvT1_,comdat
.Lfunc_end467:
	.size	_ZN7rocprim17ROCPRIM_400000_NS6detail17trampoline_kernelINS0_14default_configENS1_35adjacent_difference_config_selectorILb0EaEEZNS1_24adjacent_difference_implIS3_Lb0ELb0EPKaPaN6thrust23THRUST_200600_302600_NS4plusIaEEEE10hipError_tPvRmT2_T3_mT4_P12ihipStream_tbEUlT_E_NS1_11comp_targetILNS1_3genE10ELNS1_11target_archE1201ELNS1_3gpuE5ELNS1_3repE0EEENS1_30default_config_static_selectorELNS0_4arch9wavefront6targetE1EEEvT1_, .Lfunc_end467-_ZN7rocprim17ROCPRIM_400000_NS6detail17trampoline_kernelINS0_14default_configENS1_35adjacent_difference_config_selectorILb0EaEEZNS1_24adjacent_difference_implIS3_Lb0ELb0EPKaPaN6thrust23THRUST_200600_302600_NS4plusIaEEEE10hipError_tPvRmT2_T3_mT4_P12ihipStream_tbEUlT_E_NS1_11comp_targetILNS1_3genE10ELNS1_11target_archE1201ELNS1_3gpuE5ELNS1_3repE0EEENS1_30default_config_static_selectorELNS0_4arch9wavefront6targetE1EEEvT1_
                                        ; -- End function
	.section	.AMDGPU.csdata,"",@progbits
; Kernel info:
; codeLenInByte = 0
; NumSgprs: 6
; NumVgprs: 0
; NumAgprs: 0
; TotalNumVgprs: 0
; ScratchSize: 0
; MemoryBound: 0
; FloatMode: 240
; IeeeMode: 1
; LDSByteSize: 0 bytes/workgroup (compile time only)
; SGPRBlocks: 0
; VGPRBlocks: 0
; NumSGPRsForWavesPerEU: 6
; NumVGPRsForWavesPerEU: 1
; AccumOffset: 4
; Occupancy: 8
; WaveLimiterHint : 0
; COMPUTE_PGM_RSRC2:SCRATCH_EN: 0
; COMPUTE_PGM_RSRC2:USER_SGPR: 2
; COMPUTE_PGM_RSRC2:TRAP_HANDLER: 0
; COMPUTE_PGM_RSRC2:TGID_X_EN: 1
; COMPUTE_PGM_RSRC2:TGID_Y_EN: 0
; COMPUTE_PGM_RSRC2:TGID_Z_EN: 0
; COMPUTE_PGM_RSRC2:TIDIG_COMP_CNT: 0
; COMPUTE_PGM_RSRC3_GFX90A:ACCUM_OFFSET: 0
; COMPUTE_PGM_RSRC3_GFX90A:TG_SPLIT: 0
	.section	.text._ZN7rocprim17ROCPRIM_400000_NS6detail17trampoline_kernelINS0_14default_configENS1_35adjacent_difference_config_selectorILb0EaEEZNS1_24adjacent_difference_implIS3_Lb0ELb0EPKaPaN6thrust23THRUST_200600_302600_NS4plusIaEEEE10hipError_tPvRmT2_T3_mT4_P12ihipStream_tbEUlT_E_NS1_11comp_targetILNS1_3genE5ELNS1_11target_archE942ELNS1_3gpuE9ELNS1_3repE0EEENS1_30default_config_static_selectorELNS0_4arch9wavefront6targetE1EEEvT1_,"axG",@progbits,_ZN7rocprim17ROCPRIM_400000_NS6detail17trampoline_kernelINS0_14default_configENS1_35adjacent_difference_config_selectorILb0EaEEZNS1_24adjacent_difference_implIS3_Lb0ELb0EPKaPaN6thrust23THRUST_200600_302600_NS4plusIaEEEE10hipError_tPvRmT2_T3_mT4_P12ihipStream_tbEUlT_E_NS1_11comp_targetILNS1_3genE5ELNS1_11target_archE942ELNS1_3gpuE9ELNS1_3repE0EEENS1_30default_config_static_selectorELNS0_4arch9wavefront6targetE1EEEvT1_,comdat
	.protected	_ZN7rocprim17ROCPRIM_400000_NS6detail17trampoline_kernelINS0_14default_configENS1_35adjacent_difference_config_selectorILb0EaEEZNS1_24adjacent_difference_implIS3_Lb0ELb0EPKaPaN6thrust23THRUST_200600_302600_NS4plusIaEEEE10hipError_tPvRmT2_T3_mT4_P12ihipStream_tbEUlT_E_NS1_11comp_targetILNS1_3genE5ELNS1_11target_archE942ELNS1_3gpuE9ELNS1_3repE0EEENS1_30default_config_static_selectorELNS0_4arch9wavefront6targetE1EEEvT1_ ; -- Begin function _ZN7rocprim17ROCPRIM_400000_NS6detail17trampoline_kernelINS0_14default_configENS1_35adjacent_difference_config_selectorILb0EaEEZNS1_24adjacent_difference_implIS3_Lb0ELb0EPKaPaN6thrust23THRUST_200600_302600_NS4plusIaEEEE10hipError_tPvRmT2_T3_mT4_P12ihipStream_tbEUlT_E_NS1_11comp_targetILNS1_3genE5ELNS1_11target_archE942ELNS1_3gpuE9ELNS1_3repE0EEENS1_30default_config_static_selectorELNS0_4arch9wavefront6targetE1EEEvT1_
	.globl	_ZN7rocprim17ROCPRIM_400000_NS6detail17trampoline_kernelINS0_14default_configENS1_35adjacent_difference_config_selectorILb0EaEEZNS1_24adjacent_difference_implIS3_Lb0ELb0EPKaPaN6thrust23THRUST_200600_302600_NS4plusIaEEEE10hipError_tPvRmT2_T3_mT4_P12ihipStream_tbEUlT_E_NS1_11comp_targetILNS1_3genE5ELNS1_11target_archE942ELNS1_3gpuE9ELNS1_3repE0EEENS1_30default_config_static_selectorELNS0_4arch9wavefront6targetE1EEEvT1_
	.p2align	8
	.type	_ZN7rocprim17ROCPRIM_400000_NS6detail17trampoline_kernelINS0_14default_configENS1_35adjacent_difference_config_selectorILb0EaEEZNS1_24adjacent_difference_implIS3_Lb0ELb0EPKaPaN6thrust23THRUST_200600_302600_NS4plusIaEEEE10hipError_tPvRmT2_T3_mT4_P12ihipStream_tbEUlT_E_NS1_11comp_targetILNS1_3genE5ELNS1_11target_archE942ELNS1_3gpuE9ELNS1_3repE0EEENS1_30default_config_static_selectorELNS0_4arch9wavefront6targetE1EEEvT1_,@function
_ZN7rocprim17ROCPRIM_400000_NS6detail17trampoline_kernelINS0_14default_configENS1_35adjacent_difference_config_selectorILb0EaEEZNS1_24adjacent_difference_implIS3_Lb0ELb0EPKaPaN6thrust23THRUST_200600_302600_NS4plusIaEEEE10hipError_tPvRmT2_T3_mT4_P12ihipStream_tbEUlT_E_NS1_11comp_targetILNS1_3genE5ELNS1_11target_archE942ELNS1_3gpuE9ELNS1_3repE0EEENS1_30default_config_static_selectorELNS0_4arch9wavefront6targetE1EEEvT1_: ; @_ZN7rocprim17ROCPRIM_400000_NS6detail17trampoline_kernelINS0_14default_configENS1_35adjacent_difference_config_selectorILb0EaEEZNS1_24adjacent_difference_implIS3_Lb0ELb0EPKaPaN6thrust23THRUST_200600_302600_NS4plusIaEEEE10hipError_tPvRmT2_T3_mT4_P12ihipStream_tbEUlT_E_NS1_11comp_targetILNS1_3genE5ELNS1_11target_archE942ELNS1_3gpuE9ELNS1_3repE0EEENS1_30default_config_static_selectorELNS0_4arch9wavefront6targetE1EEEvT1_
; %bb.0:
	s_load_dwordx8 s[40:47], s[0:1], 0x0
	s_mov_b32 s4, 0x5ca1aca0
	v_bfrev_b32_e32 v1, 6
	s_movk_i32 s3, 0x980
	s_load_dwordx2 s[0:1], s[0:1], 0x30
	s_waitcnt lgkmcnt(0)
	s_add_u32 s6, s40, s42
	s_addc_u32 s7, s41, s43
	s_add_u32 s4, 0x14a, s4
	s_addc_u32 s5, 0, 0
	v_add_co_u32_e32 v1, vcc, s4, v1
	s_cmp_lg_u64 vcc, 0
	v_readfirstlane_b32 s8, v1
	s_addc_u32 s4, s5, 0x1af286
	s_mul_hi_u32 s9, s8, 0xfffff680
	s_mul_i32 s5, s4, 0xfffff680
	s_sub_i32 s9, s9, s8
	s_add_i32 s9, s9, s5
	s_mul_i32 s11, s8, 0xfffff680
	s_mul_hi_u32 s5, s8, s9
	s_mul_i32 s10, s8, s9
	s_mul_hi_u32 s8, s8, s11
	s_add_u32 s8, s8, s10
	s_addc_u32 s5, 0, s5
	s_mul_hi_u32 s12, s4, s11
	s_mul_i32 s11, s4, s11
	s_add_u32 s8, s8, s11
	s_mul_hi_u32 s10, s4, s9
	s_addc_u32 s5, s5, s12
	s_addc_u32 s8, s10, 0
	s_mul_i32 s9, s4, s9
	s_add_u32 s5, s5, s9
	s_addc_u32 s8, 0, s8
	v_add_co_u32_e32 v1, vcc, s5, v1
	s_cmp_lg_u64 vcc, 0
	s_addc_u32 s4, s4, s8
	v_readfirstlane_b32 s9, v1
	s_mul_i32 s8, s46, s4
	s_mul_hi_u32 s10, s46, s9
	s_mul_hi_u32 s5, s46, s4
	s_add_u32 s8, s10, s8
	s_addc_u32 s5, 0, s5
	s_mul_hi_u32 s11, s47, s9
	s_mul_i32 s9, s47, s9
	s_add_u32 s8, s8, s9
	s_mul_hi_u32 s10, s47, s4
	s_addc_u32 s5, s5, s11
	s_addc_u32 s8, s10, 0
	s_mul_i32 s4, s47, s4
	s_add_u32 s4, s5, s4
	s_addc_u32 s5, 0, s8
	s_add_u32 s8, s4, 1
	s_addc_u32 s9, s5, 0
	s_add_u32 s10, s4, 2
	s_mul_i32 s12, s5, 0x980
	s_mul_hi_u32 s13, s4, 0x980
	s_addc_u32 s11, s5, 0
	s_add_i32 s13, s13, s12
	s_mul_i32 s12, s4, 0x980
	v_mov_b32_e32 v1, s12
	v_sub_co_u32_e32 v1, vcc, s46, v1
	s_cmp_lg_u64 vcc, 0
	s_subb_u32 s12, s47, s13
	v_subrev_co_u32_e32 v2, vcc, s3, v1
	s_cmp_lg_u64 vcc, 0
	s_subb_u32 s3, s12, 0
	v_readfirstlane_b32 s13, v2
	s_cmpk_gt_u32 s13, 0x97f
	s_cselect_b32 s13, -1, 0
	s_cmp_eq_u32 s3, 0
	s_cselect_b32 s3, s13, -1
	s_cmp_lg_u32 s3, 0
	s_cselect_b32 s3, s10, s8
	s_cselect_b32 s8, s11, s9
	v_readfirstlane_b32 s9, v1
	s_cmpk_gt_u32 s9, 0x97f
	s_cselect_b32 s9, -1, 0
	s_cmp_eq_u32 s12, 0
	s_cselect_b32 s9, s9, -1
	s_cmp_lg_u32 s9, 0
	s_cselect_b32 s8, s8, s5
	s_cselect_b32 s3, s3, s4
	s_mul_i32 s4, s8, 0x980
	s_mul_hi_u32 s5, s3, 0x980
	s_add_i32 s5, s5, s4
	s_mul_i32 s4, s3, 0x980
	s_sub_u32 s4, s46, s4
	s_subb_u32 s5, s47, s5
	s_cmp_lg_u64 s[4:5], 0
	s_cselect_b64 s[4:5], -1, 0
	v_cndmask_b32_e64 v1, 0, 1, s[4:5]
	s_mul_i32 s33, s2, 0x980
	v_readfirstlane_b32 s4, v1
	s_add_u32 s4, s3, s4
	s_addc_u32 s5, s8, 0
	s_add_u32 s2, s0, s2
	s_addc_u32 s3, s1, 0
	s_add_u32 s8, s4, -1
	s_addc_u32 s9, s5, -1
	v_mov_b64_e32 v[2:3], s[8:9]
	v_cmp_ge_u64_e64 s[0:1], s[2:3], v[2:3]
	s_mov_b64 s[10:11], -1
	s_and_b64 vcc, exec, s[0:1]
	s_mul_i32 s47, s8, 0xfffff680
	s_cbranch_vccz .LBB468_40
; %bb.1:
	s_add_i32 s14, s47, s46
	s_add_u32 s10, s6, s33
	s_addc_u32 s11, s7, 0
	v_cmp_gt_u32_e32 vcc, s14, v0
                                        ; implicit-def: $vgpr1
	s_and_saveexec_b64 s[12:13], vcc
	s_cbranch_execz .LBB468_3
; %bb.2:
	global_load_ubyte v1, v0, s[10:11]
.LBB468_3:
	s_or_b64 exec, exec, s[12:13]
	v_or_b32_e32 v2, 0x80, v0
	v_cmp_gt_u32_e32 vcc, s14, v2
                                        ; implicit-def: $vgpr2
	s_and_saveexec_b64 s[12:13], vcc
	s_cbranch_execz .LBB468_5
; %bb.4:
	global_load_ubyte v2, v0, s[10:11] offset:128
.LBB468_5:
	s_or_b64 exec, exec, s[12:13]
	v_or_b32_e32 v3, 0x100, v0
	v_cmp_gt_u32_e32 vcc, s14, v3
                                        ; implicit-def: $vgpr3
	s_and_saveexec_b64 s[12:13], vcc
	s_cbranch_execz .LBB468_7
; %bb.6:
	global_load_ubyte v3, v0, s[10:11] offset:256
.LBB468_7:
	s_or_b64 exec, exec, s[12:13]
	v_or_b32_e32 v4, 0x180, v0
	v_cmp_gt_u32_e32 vcc, s14, v4
                                        ; implicit-def: $vgpr4
	s_and_saveexec_b64 s[12:13], vcc
	s_cbranch_execz .LBB468_9
; %bb.8:
	global_load_ubyte v4, v0, s[10:11] offset:384
.LBB468_9:
	s_or_b64 exec, exec, s[12:13]
	v_or_b32_e32 v5, 0x200, v0
	v_cmp_gt_u32_e32 vcc, s14, v5
                                        ; implicit-def: $vgpr5
	s_and_saveexec_b64 s[12:13], vcc
	s_cbranch_execz .LBB468_11
; %bb.10:
	global_load_ubyte v5, v0, s[10:11] offset:512
.LBB468_11:
	s_or_b64 exec, exec, s[12:13]
	v_or_b32_e32 v6, 0x280, v0
	v_cmp_gt_u32_e32 vcc, s14, v6
                                        ; implicit-def: $vgpr6
	s_and_saveexec_b64 s[12:13], vcc
	s_cbranch_execz .LBB468_13
; %bb.12:
	global_load_ubyte v6, v0, s[10:11] offset:640
.LBB468_13:
	s_or_b64 exec, exec, s[12:13]
	v_or_b32_e32 v7, 0x300, v0
	v_cmp_gt_u32_e32 vcc, s14, v7
                                        ; implicit-def: $vgpr7
	s_and_saveexec_b64 s[12:13], vcc
	s_cbranch_execz .LBB468_15
; %bb.14:
	global_load_ubyte v7, v0, s[10:11] offset:768
.LBB468_15:
	s_or_b64 exec, exec, s[12:13]
	v_or_b32_e32 v8, 0x380, v0
	v_cmp_gt_u32_e32 vcc, s14, v8
                                        ; implicit-def: $vgpr8
	s_and_saveexec_b64 s[12:13], vcc
	s_cbranch_execz .LBB468_17
; %bb.16:
	global_load_ubyte v8, v0, s[10:11] offset:896
.LBB468_17:
	s_or_b64 exec, exec, s[12:13]
	v_or_b32_e32 v9, 0x400, v0
	v_cmp_gt_u32_e32 vcc, s14, v9
                                        ; implicit-def: $vgpr9
	s_and_saveexec_b64 s[12:13], vcc
	s_cbranch_execz .LBB468_19
; %bb.18:
	global_load_ubyte v9, v0, s[10:11] offset:1024
.LBB468_19:
	s_or_b64 exec, exec, s[12:13]
	v_or_b32_e32 v10, 0x480, v0
	v_cmp_gt_u32_e32 vcc, s14, v10
                                        ; implicit-def: $vgpr10
	s_and_saveexec_b64 s[12:13], vcc
	s_cbranch_execz .LBB468_21
; %bb.20:
	global_load_ubyte v10, v0, s[10:11] offset:1152
.LBB468_21:
	s_or_b64 exec, exec, s[12:13]
	v_or_b32_e32 v11, 0x500, v0
	v_cmp_gt_u32_e32 vcc, s14, v11
                                        ; implicit-def: $vgpr11
	s_and_saveexec_b64 s[12:13], vcc
	s_cbranch_execz .LBB468_23
; %bb.22:
	global_load_ubyte v11, v0, s[10:11] offset:1280
.LBB468_23:
	s_or_b64 exec, exec, s[12:13]
	v_or_b32_e32 v12, 0x580, v0
	v_cmp_gt_u32_e32 vcc, s14, v12
                                        ; implicit-def: $vgpr12
	s_and_saveexec_b64 s[12:13], vcc
	s_cbranch_execz .LBB468_25
; %bb.24:
	global_load_ubyte v12, v0, s[10:11] offset:1408
.LBB468_25:
	s_or_b64 exec, exec, s[12:13]
	v_or_b32_e32 v13, 0x600, v0
	v_cmp_gt_u32_e32 vcc, s14, v13
                                        ; implicit-def: $vgpr13
	s_and_saveexec_b64 s[12:13], vcc
	s_cbranch_execz .LBB468_27
; %bb.26:
	global_load_ubyte v13, v0, s[10:11] offset:1536
.LBB468_27:
	s_or_b64 exec, exec, s[12:13]
	v_or_b32_e32 v14, 0x680, v0
	v_cmp_gt_u32_e32 vcc, s14, v14
                                        ; implicit-def: $vgpr14
	s_and_saveexec_b64 s[12:13], vcc
	s_cbranch_execz .LBB468_29
; %bb.28:
	global_load_ubyte v14, v0, s[10:11] offset:1664
.LBB468_29:
	s_or_b64 exec, exec, s[12:13]
	v_or_b32_e32 v15, 0x700, v0
	v_cmp_gt_u32_e32 vcc, s14, v15
                                        ; implicit-def: $vgpr15
	s_and_saveexec_b64 s[12:13], vcc
	s_cbranch_execz .LBB468_31
; %bb.30:
	global_load_ubyte v15, v0, s[10:11] offset:1792
.LBB468_31:
	s_or_b64 exec, exec, s[12:13]
	v_or_b32_e32 v16, 0x780, v0
	v_cmp_gt_u32_e32 vcc, s14, v16
                                        ; implicit-def: $vgpr16
	s_and_saveexec_b64 s[12:13], vcc
	s_cbranch_execz .LBB468_33
; %bb.32:
	global_load_ubyte v16, v0, s[10:11] offset:1920
.LBB468_33:
	s_or_b64 exec, exec, s[12:13]
	v_or_b32_e32 v17, 0x800, v0
	v_cmp_gt_u32_e32 vcc, s14, v17
                                        ; implicit-def: $vgpr17
	s_and_saveexec_b64 s[12:13], vcc
	s_cbranch_execz .LBB468_35
; %bb.34:
	global_load_ubyte v17, v0, s[10:11] offset:2048
.LBB468_35:
	s_or_b64 exec, exec, s[12:13]
	v_or_b32_e32 v18, 0x880, v0
	v_cmp_gt_u32_e32 vcc, s14, v18
                                        ; implicit-def: $vgpr18
	s_and_saveexec_b64 s[12:13], vcc
	s_cbranch_execz .LBB468_37
; %bb.36:
	global_load_ubyte v18, v0, s[10:11] offset:2176
.LBB468_37:
	s_or_b64 exec, exec, s[12:13]
	v_or_b32_e32 v19, 0x900, v0
	v_cmp_gt_u32_e32 vcc, s14, v19
                                        ; implicit-def: $vgpr19
	s_and_saveexec_b64 s[12:13], vcc
	s_cbranch_execz .LBB468_39
; %bb.38:
	global_load_ubyte v19, v0, s[10:11] offset:2304
.LBB468_39:
	s_or_b64 exec, exec, s[12:13]
	s_mov_b64 s[10:11], 0
	s_waitcnt vmcnt(0)
	ds_write_b8 v0, v1
	ds_write_b8 v0, v2 offset:128
	ds_write_b8 v0, v3 offset:256
	;; [unrolled: 1-line block ×18, first 2 shown]
	s_waitcnt lgkmcnt(0)
	s_barrier
.LBB468_40:
	s_and_b64 vcc, exec, s[10:11]
	s_cbranch_vccz .LBB468_42
; %bb.41:
	s_add_u32 s10, s6, s33
	s_addc_u32 s11, s7, 0
	global_load_ubyte v1, v0, s[10:11]
	global_load_ubyte v2, v0, s[10:11] offset:128
	global_load_ubyte v3, v0, s[10:11] offset:256
	;; [unrolled: 1-line block ×18, first 2 shown]
	s_waitcnt vmcnt(18)
	ds_write_b8 v0, v1
	s_waitcnt vmcnt(17)
	ds_write_b8 v0, v2 offset:128
	s_waitcnt vmcnt(16)
	ds_write_b8 v0, v3 offset:256
	;; [unrolled: 2-line block ×18, first 2 shown]
	s_waitcnt lgkmcnt(0)
	s_barrier
.LBB468_42:
	v_mul_u32_u24_e32 v6, 19, v0
	ds_read_b128 v[2:5], v6
	ds_read_u8 v1, v6 offset:16
	ds_read_u8 v7, v6 offset:17
	;; [unrolled: 1-line block ×3, first 2 shown]
	s_cmp_eq_u64 s[2:3], 0
	s_waitcnt lgkmcnt(3)
	v_lshrrev_b32_e32 v9, 8, v2
	v_lshrrev_b32_e32 v10, 16, v2
	;; [unrolled: 1-line block ×12, first 2 shown]
	s_waitcnt lgkmcnt(0)
	s_barrier
	s_cbranch_scc1 .LBB468_47
; %bb.43:
	v_mov_b32_e32 v6, s33
	global_load_ubyte v38, v6, s[6:7] offset:-1
	s_cmp_eq_u64 s[2:3], s[8:9]
	s_cbranch_scc1 .LBB468_48
; %bb.44:
	v_cmp_ne_u32_e32 vcc, 0, v0
	s_waitcnt vmcnt(0)
	v_mov_b32_e32 v6, v38
	ds_write_b8 v0, v8
	s_waitcnt lgkmcnt(0)
	s_barrier
	s_and_saveexec_b64 s[6:7], vcc
	s_cbranch_execz .LBB468_46
; %bb.45:
	v_add_u32_e32 v6, -1, v0
	ds_read_u8 v6, v6
.LBB468_46:
	s_or_b64 exec, exec, s[6:7]
	s_waitcnt lgkmcnt(0)
	v_add_u16_e32 v6, v6, v2
	s_mov_b64 s[6:7], 0
	s_branch .LBB468_49
.LBB468_47:
                                        ; implicit-def: $vgpr6
                                        ; implicit-def: $vgpr39
                                        ; implicit-def: $vgpr37
                                        ; implicit-def: $vgpr36
                                        ; implicit-def: $vgpr35
                                        ; implicit-def: $vgpr34
                                        ; implicit-def: $vgpr33
                                        ; implicit-def: $vgpr32
                                        ; implicit-def: $vgpr31
                                        ; implicit-def: $vgpr30
                                        ; implicit-def: $vgpr28
                                        ; implicit-def: $vgpr27
                                        ; implicit-def: $vgpr26
                                        ; implicit-def: $vgpr25
                                        ; implicit-def: $vgpr24
                                        ; implicit-def: $vgpr23
                                        ; implicit-def: $vgpr22
                                        ; implicit-def: $vgpr21
                                        ; implicit-def: $vgpr29
	s_branch .LBB468_54
.LBB468_48:
	s_mov_b64 s[6:7], -1
                                        ; implicit-def: $vgpr6
.LBB468_49:
	s_and_b64 vcc, exec, s[6:7]
	v_mov_b32_e32 v39, v2
	v_mov_b32_e32 v37, v9
	;; [unrolled: 1-line block ×18, first 2 shown]
	s_cbranch_vccz .LBB468_53
; %bb.50:
	v_mul_u32_u24_e32 v6, 19, v0
	v_cmp_ne_u32_e32 vcc, 0, v0
	ds_write_b8 v0, v8
	s_waitcnt lgkmcnt(0)
	s_barrier
	s_and_saveexec_b64 s[6:7], vcc
	s_cbranch_execz .LBB468_52
; %bb.51:
	v_add_u32_e32 v21, -1, v0
	s_waitcnt vmcnt(0)
	ds_read_u8 v38, v21
.LBB468_52:
	s_or_b64 exec, exec, s[6:7]
	s_mulk_i32 s2, 0xf680
	s_add_i32 s2, s2, s46
	v_add_u32_e32 v21, 18, v6
	v_cmp_gt_u32_e32 vcc, s2, v21
	v_add_u32_e32 v21, 17, v6
	v_add_u32_e32 v22, 16, v6
	v_cndmask_b32_e32 v29, 0, v7, vcc
	v_cmp_gt_u32_e32 vcc, s2, v21
	v_add_u32_e32 v23, 15, v6
	v_add_u32_e32 v24, 14, v6
	v_cndmask_b32_e32 v21, 0, v1, vcc
	;; [unrolled: 4-line block ×8, first 2 shown]
	v_cmp_gt_u32_e32 vcc, s2, v28
	v_add_u32_e32 v39, 1, v6
	s_nop 0
	v_cndmask_b32_e32 v28, 0, v15, vcc
	v_cmp_gt_u32_e32 vcc, s2, v30
	s_nop 1
	v_cndmask_b32_e32 v30, 0, v4, vcc
	v_cmp_gt_u32_e32 vcc, s2, v31
	;; [unrolled: 3-line block ×10, first 2 shown]
	s_waitcnt vmcnt(0) lgkmcnt(0)
	s_nop 0
	v_cndmask_b32_e32 v6, 0, v38, vcc
	v_add_u16_e32 v6, v6, v2
.LBB468_53:
	s_cbranch_execnz .LBB468_64
.LBB468_54:
	s_cmp_eq_u64 s[4:5], 1
	v_cmp_ne_u32_e32 vcc, 0, v0
	s_cbranch_scc1 .LBB468_58
; %bb.55:
	v_mov_b32_e32 v6, v2
	ds_write_b8 v0, v8
	s_waitcnt lgkmcnt(0)
	s_barrier
	s_and_saveexec_b64 s[2:3], vcc
	s_cbranch_execz .LBB468_57
; %bb.56:
	v_add_u32_e32 v6, -1, v0
	ds_read_u8 v6, v6
	s_waitcnt lgkmcnt(0)
	v_add_u16_e32 v6, v6, v2
.LBB468_57:
	s_or_b64 exec, exec, s[2:3]
	s_mov_b64 s[2:3], 0
	s_branch .LBB468_59
.LBB468_58:
	s_mov_b64 s[2:3], -1
                                        ; implicit-def: $vgpr6
.LBB468_59:
	s_andn2_b64 vcc, exec, s[2:3]
	v_mov_b32_e32 v37, v9
	v_mov_b32_e32 v36, v10
	;; [unrolled: 1-line block ×17, first 2 shown]
	s_cbranch_vccnz .LBB468_63
; %bb.60:
	v_mad_u32_u24 v21, v0, 19, 18
	v_cmp_gt_u32_e32 vcc, s46, v21
	v_mad_u32_u24 v21, v0, 19, 17
	v_cmp_gt_u32_e64 s[2:3], s46, v21
	v_mad_u32_u24 v21, v0, 19, 16
	v_cmp_gt_u32_e64 s[4:5], s46, v21
	;; [unrolled: 2-line block ×14, first 2 shown]
	v_mad_u32_u24 v21, v0, 19, 3
	v_mul_u32_u24_e32 v6, 19, v0
	v_cmp_gt_u32_e64 s[30:31], s46, v21
	v_mad_u32_u24 v21, v0, 19, 2
	v_cmp_gt_u32_e64 s[34:35], s46, v21
	v_mad_u32_u24 v21, v0, 19, 1
	v_cmp_ne_u32_e64 s[38:39], 0, v0
	v_cmp_gt_u32_e64 s[40:41], s46, v6
	v_cmp_gt_u32_e64 s[36:37], s46, v21
	s_and_b64 s[40:41], s[38:39], s[40:41]
	v_mov_b32_e32 v6, v2
	ds_write_b8 v0, v8
	s_waitcnt lgkmcnt(0)
	s_barrier
	s_and_saveexec_b64 s[38:39], s[40:41]
	s_cbranch_execz .LBB468_62
; %bb.61:
	v_add_u32_e32 v6, -1, v0
	ds_read_u8 v6, v6
	s_waitcnt lgkmcnt(0)
	v_add_u16_e32 v6, v6, v2
.LBB468_62:
	s_or_b64 exec, exec, s[38:39]
	v_cndmask_b32_e32 v29, 0, v7, vcc
	v_cndmask_b32_e64 v21, 0, v1, s[2:3]
	v_cndmask_b32_e64 v22, 0, v20, s[4:5]
	;; [unrolled: 1-line block ×17, first 2 shown]
.LBB468_63:
	v_mov_b32_e32 v39, v2
.LBB468_64:
	s_add_u32 s4, s44, s42
	v_add_u16_e32 v8, v29, v8
	v_add_u16_e32 v2, v39, v9
	;; [unrolled: 1-line block ×13, first 2 shown]
	s_addc_u32 s5, s45, s43
	v_add_u16_e32 v12, v31, v4
	v_add_u16_e32 v14, v26, v5
	;; [unrolled: 1-line block ×5, first 2 shown]
	s_and_b64 vcc, exec, s[0:1]
	v_mul_u32_u24_e32 v7, 19, v0
	v_lshlrev_b16_e32 v22, 8, v17
	v_lshlrev_b16_e32 v23, 8, v18
	;; [unrolled: 1-line block ×8, first 2 shown]
	s_barrier
	s_cbranch_vccz .LBB468_102
; %bb.65:
	v_or_b32_sdwa v1, v14, v22 dst_sel:DWORD dst_unused:UNUSED_PAD src0_sel:BYTE_0 src1_sel:DWORD
	v_or_b32_sdwa v2, v15, v23 dst_sel:WORD_1 dst_unused:UNUSED_PAD src0_sel:BYTE_0 src1_sel:DWORD
	s_add_i32 s47, s47, s46
	v_or_b32_sdwa v27, v1, v2 dst_sel:DWORD dst_unused:UNUSED_PAD src0_sel:WORD_0 src1_sel:DWORD
	v_or_b32_sdwa v1, v12, v20 dst_sel:DWORD dst_unused:UNUSED_PAD src0_sel:BYTE_0 src1_sel:DWORD
	v_or_b32_sdwa v2, v13, v21 dst_sel:WORD_1 dst_unused:UNUSED_PAD src0_sel:BYTE_0 src1_sel:DWORD
	s_add_u32 s0, s4, s33
	v_or_b32_sdwa v26, v1, v2 dst_sel:DWORD dst_unused:UNUSED_PAD src0_sel:WORD_0 src1_sel:DWORD
	v_or_b32_sdwa v1, v10, v18 dst_sel:DWORD dst_unused:UNUSED_PAD src0_sel:BYTE_0 src1_sel:DWORD
	v_or_b32_sdwa v2, v11, v19 dst_sel:WORD_1 dst_unused:UNUSED_PAD src0_sel:BYTE_0 src1_sel:DWORD
	s_addc_u32 s1, s5, 0
	v_or_b32_sdwa v25, v1, v2 dst_sel:DWORD dst_unused:UNUSED_PAD src0_sel:WORD_0 src1_sel:DWORD
	v_or_b32_sdwa v1, v6, v16 dst_sel:DWORD dst_unused:UNUSED_PAD src0_sel:BYTE_0 src1_sel:DWORD
	v_or_b32_sdwa v2, v9, v17 dst_sel:WORD_1 dst_unused:UNUSED_PAD src0_sel:BYTE_0 src1_sel:DWORD
	v_cmp_gt_u32_e32 vcc, s47, v0
	v_or_b32_sdwa v24, v1, v2 dst_sel:DWORD dst_unused:UNUSED_PAD src0_sel:WORD_0 src1_sel:DWORD
	ds_write_b128 v7, v[24:27]
	ds_write_b8 v7, v4 offset:16
	ds_write_b8 v7, v5 offset:17
	;; [unrolled: 1-line block ×3, first 2 shown]
	s_waitcnt lgkmcnt(0)
	s_barrier
	ds_read_u8 v41, v0 offset:128
	ds_read_u8 v40, v0 offset:256
	;; [unrolled: 1-line block ×3, first 2 shown]
	s_waitcnt vmcnt(0)
	ds_read_u8 v38, v0 offset:512
	ds_read_u8 v37, v0 offset:640
	;; [unrolled: 1-line block ×15, first 2 shown]
	v_mov_b32_e32 v1, 0
	v_lshl_add_u64 v[2:3], s[0:1], 0, v[0:1]
	s_and_saveexec_b64 s[0:1], vcc
	s_cbranch_execz .LBB468_67
; %bb.66:
	ds_read_u8 v1, v0
	s_waitcnt lgkmcnt(0)
	global_store_byte v[2:3], v1, off
.LBB468_67:
	s_or_b64 exec, exec, s[0:1]
	v_or_b32_e32 v1, 0x80, v0
	v_cmp_gt_u32_e32 vcc, s47, v1
	s_and_saveexec_b64 s[0:1], vcc
	s_cbranch_execz .LBB468_69
; %bb.68:
	s_waitcnt lgkmcnt(14)
	global_store_byte v[2:3], v41, off offset:128
.LBB468_69:
	s_or_b64 exec, exec, s[0:1]
	v_or_b32_e32 v1, 0x100, v0
	v_cmp_gt_u32_e32 vcc, s47, v1
	s_and_saveexec_b64 s[0:1], vcc
	s_cbranch_execz .LBB468_71
; %bb.70:
	s_waitcnt lgkmcnt(14)
	global_store_byte v[2:3], v40, off offset:256
.LBB468_71:
	;; [unrolled: 9-line block ×17, first 2 shown]
	s_or_b64 exec, exec, s[0:1]
	v_or_b32_e32 v1, 0x900, v0
	v_cmp_gt_u32_e64 s[0:1], s47, v1
	s_branch .LBB468_104
.LBB468_102:
	s_mov_b64 s[0:1], 0
                                        ; implicit-def: $vgpr24
                                        ; implicit-def: $vgpr2_vgpr3
	s_cbranch_execz .LBB468_104
; %bb.103:
	v_or_b32_sdwa v1, v14, v22 dst_sel:DWORD dst_unused:UNUSED_PAD src0_sel:BYTE_0 src1_sel:DWORD
	v_or_b32_sdwa v2, v15, v23 dst_sel:WORD_1 dst_unused:UNUSED_PAD src0_sel:BYTE_0 src1_sel:DWORD
	s_add_u32 s2, s4, s33
	v_or_b32_sdwa v15, v1, v2 dst_sel:DWORD dst_unused:UNUSED_PAD src0_sel:WORD_0 src1_sel:DWORD
	v_or_b32_sdwa v1, v12, v20 dst_sel:DWORD dst_unused:UNUSED_PAD src0_sel:BYTE_0 src1_sel:DWORD
	v_or_b32_sdwa v2, v13, v21 dst_sel:WORD_1 dst_unused:UNUSED_PAD src0_sel:BYTE_0 src1_sel:DWORD
	s_addc_u32 s3, s5, 0
	v_or_b32_sdwa v14, v1, v2 dst_sel:DWORD dst_unused:UNUSED_PAD src0_sel:WORD_0 src1_sel:DWORD
	v_or_b32_sdwa v1, v10, v18 dst_sel:DWORD dst_unused:UNUSED_PAD src0_sel:BYTE_0 src1_sel:DWORD
	v_or_b32_sdwa v2, v11, v19 dst_sel:WORD_1 dst_unused:UNUSED_PAD src0_sel:BYTE_0 src1_sel:DWORD
	s_or_b64 s[0:1], s[0:1], exec
	v_or_b32_sdwa v13, v1, v2 dst_sel:DWORD dst_unused:UNUSED_PAD src0_sel:WORD_0 src1_sel:DWORD
	v_or_b32_sdwa v1, v6, v16 dst_sel:DWORD dst_unused:UNUSED_PAD src0_sel:BYTE_0 src1_sel:DWORD
	v_or_b32_sdwa v2, v9, v17 dst_sel:WORD_1 dst_unused:UNUSED_PAD src0_sel:BYTE_0 src1_sel:DWORD
	s_nop 0
	v_or_b32_sdwa v12, v1, v2 dst_sel:DWORD dst_unused:UNUSED_PAD src0_sel:WORD_0 src1_sel:DWORD
	ds_write_b128 v7, v[12:15]
	ds_write_b8 v7, v4 offset:16
	ds_write_b8 v7, v5 offset:17
	;; [unrolled: 1-line block ×3, first 2 shown]
	s_waitcnt lgkmcnt(0)
	s_barrier
	ds_read_u8 v4, v0
	ds_read_u8 v5, v0 offset:128
	ds_read_u8 v6, v0 offset:256
	;; [unrolled: 1-line block ×18, first 2 shown]
	v_mov_b32_e32 v1, 0
	v_lshl_add_u64 v[2:3], s[2:3], 0, v[0:1]
	s_waitcnt lgkmcnt(14)
	global_store_byte v0, v4, s[2:3]
	global_store_byte v0, v5, s[2:3] offset:128
	global_store_byte v0, v6, s[2:3] offset:256
	;; [unrolled: 1-line block ×4, first 2 shown]
	s_waitcnt lgkmcnt(13)
	global_store_byte v0, v9, s[2:3] offset:640
	s_waitcnt lgkmcnt(12)
	global_store_byte v0, v10, s[2:3] offset:768
	;; [unrolled: 2-line block ×13, first 2 shown]
.LBB468_104:
	s_and_saveexec_b64 s[2:3], s[0:1]
	s_cbranch_execnz .LBB468_106
; %bb.105:
	s_endpgm
.LBB468_106:
	s_waitcnt lgkmcnt(0)
	global_store_byte v[2:3], v24, off offset:2304
	s_endpgm
	.section	.rodata,"a",@progbits
	.p2align	6, 0x0
	.amdhsa_kernel _ZN7rocprim17ROCPRIM_400000_NS6detail17trampoline_kernelINS0_14default_configENS1_35adjacent_difference_config_selectorILb0EaEEZNS1_24adjacent_difference_implIS3_Lb0ELb0EPKaPaN6thrust23THRUST_200600_302600_NS4plusIaEEEE10hipError_tPvRmT2_T3_mT4_P12ihipStream_tbEUlT_E_NS1_11comp_targetILNS1_3genE5ELNS1_11target_archE942ELNS1_3gpuE9ELNS1_3repE0EEENS1_30default_config_static_selectorELNS0_4arch9wavefront6targetE1EEEvT1_
		.amdhsa_group_segment_fixed_size 2432
		.amdhsa_private_segment_fixed_size 0
		.amdhsa_kernarg_size 56
		.amdhsa_user_sgpr_count 2
		.amdhsa_user_sgpr_dispatch_ptr 0
		.amdhsa_user_sgpr_queue_ptr 0
		.amdhsa_user_sgpr_kernarg_segment_ptr 1
		.amdhsa_user_sgpr_dispatch_id 0
		.amdhsa_user_sgpr_kernarg_preload_length 0
		.amdhsa_user_sgpr_kernarg_preload_offset 0
		.amdhsa_user_sgpr_private_segment_size 0
		.amdhsa_uses_dynamic_stack 0
		.amdhsa_enable_private_segment 0
		.amdhsa_system_sgpr_workgroup_id_x 1
		.amdhsa_system_sgpr_workgroup_id_y 0
		.amdhsa_system_sgpr_workgroup_id_z 0
		.amdhsa_system_sgpr_workgroup_info 0
		.amdhsa_system_vgpr_workitem_id 0
		.amdhsa_next_free_vgpr 42
		.amdhsa_next_free_sgpr 48
		.amdhsa_accum_offset 44
		.amdhsa_reserve_vcc 1
		.amdhsa_float_round_mode_32 0
		.amdhsa_float_round_mode_16_64 0
		.amdhsa_float_denorm_mode_32 3
		.amdhsa_float_denorm_mode_16_64 3
		.amdhsa_dx10_clamp 1
		.amdhsa_ieee_mode 1
		.amdhsa_fp16_overflow 0
		.amdhsa_tg_split 0
		.amdhsa_exception_fp_ieee_invalid_op 0
		.amdhsa_exception_fp_denorm_src 0
		.amdhsa_exception_fp_ieee_div_zero 0
		.amdhsa_exception_fp_ieee_overflow 0
		.amdhsa_exception_fp_ieee_underflow 0
		.amdhsa_exception_fp_ieee_inexact 0
		.amdhsa_exception_int_div_zero 0
	.end_amdhsa_kernel
	.section	.text._ZN7rocprim17ROCPRIM_400000_NS6detail17trampoline_kernelINS0_14default_configENS1_35adjacent_difference_config_selectorILb0EaEEZNS1_24adjacent_difference_implIS3_Lb0ELb0EPKaPaN6thrust23THRUST_200600_302600_NS4plusIaEEEE10hipError_tPvRmT2_T3_mT4_P12ihipStream_tbEUlT_E_NS1_11comp_targetILNS1_3genE5ELNS1_11target_archE942ELNS1_3gpuE9ELNS1_3repE0EEENS1_30default_config_static_selectorELNS0_4arch9wavefront6targetE1EEEvT1_,"axG",@progbits,_ZN7rocprim17ROCPRIM_400000_NS6detail17trampoline_kernelINS0_14default_configENS1_35adjacent_difference_config_selectorILb0EaEEZNS1_24adjacent_difference_implIS3_Lb0ELb0EPKaPaN6thrust23THRUST_200600_302600_NS4plusIaEEEE10hipError_tPvRmT2_T3_mT4_P12ihipStream_tbEUlT_E_NS1_11comp_targetILNS1_3genE5ELNS1_11target_archE942ELNS1_3gpuE9ELNS1_3repE0EEENS1_30default_config_static_selectorELNS0_4arch9wavefront6targetE1EEEvT1_,comdat
.Lfunc_end468:
	.size	_ZN7rocprim17ROCPRIM_400000_NS6detail17trampoline_kernelINS0_14default_configENS1_35adjacent_difference_config_selectorILb0EaEEZNS1_24adjacent_difference_implIS3_Lb0ELb0EPKaPaN6thrust23THRUST_200600_302600_NS4plusIaEEEE10hipError_tPvRmT2_T3_mT4_P12ihipStream_tbEUlT_E_NS1_11comp_targetILNS1_3genE5ELNS1_11target_archE942ELNS1_3gpuE9ELNS1_3repE0EEENS1_30default_config_static_selectorELNS0_4arch9wavefront6targetE1EEEvT1_, .Lfunc_end468-_ZN7rocprim17ROCPRIM_400000_NS6detail17trampoline_kernelINS0_14default_configENS1_35adjacent_difference_config_selectorILb0EaEEZNS1_24adjacent_difference_implIS3_Lb0ELb0EPKaPaN6thrust23THRUST_200600_302600_NS4plusIaEEEE10hipError_tPvRmT2_T3_mT4_P12ihipStream_tbEUlT_E_NS1_11comp_targetILNS1_3genE5ELNS1_11target_archE942ELNS1_3gpuE9ELNS1_3repE0EEENS1_30default_config_static_selectorELNS0_4arch9wavefront6targetE1EEEvT1_
                                        ; -- End function
	.section	.AMDGPU.csdata,"",@progbits
; Kernel info:
; codeLenInByte = 4608
; NumSgprs: 54
; NumVgprs: 42
; NumAgprs: 0
; TotalNumVgprs: 42
; ScratchSize: 0
; MemoryBound: 0
; FloatMode: 240
; IeeeMode: 1
; LDSByteSize: 2432 bytes/workgroup (compile time only)
; SGPRBlocks: 6
; VGPRBlocks: 5
; NumSGPRsForWavesPerEU: 54
; NumVGPRsForWavesPerEU: 42
; AccumOffset: 44
; Occupancy: 8
; WaveLimiterHint : 1
; COMPUTE_PGM_RSRC2:SCRATCH_EN: 0
; COMPUTE_PGM_RSRC2:USER_SGPR: 2
; COMPUTE_PGM_RSRC2:TRAP_HANDLER: 0
; COMPUTE_PGM_RSRC2:TGID_X_EN: 1
; COMPUTE_PGM_RSRC2:TGID_Y_EN: 0
; COMPUTE_PGM_RSRC2:TGID_Z_EN: 0
; COMPUTE_PGM_RSRC2:TIDIG_COMP_CNT: 0
; COMPUTE_PGM_RSRC3_GFX90A:ACCUM_OFFSET: 10
; COMPUTE_PGM_RSRC3_GFX90A:TG_SPLIT: 0
	.section	.text._ZN7rocprim17ROCPRIM_400000_NS6detail17trampoline_kernelINS0_14default_configENS1_35adjacent_difference_config_selectorILb0EaEEZNS1_24adjacent_difference_implIS3_Lb0ELb0EPKaPaN6thrust23THRUST_200600_302600_NS4plusIaEEEE10hipError_tPvRmT2_T3_mT4_P12ihipStream_tbEUlT_E_NS1_11comp_targetILNS1_3genE4ELNS1_11target_archE910ELNS1_3gpuE8ELNS1_3repE0EEENS1_30default_config_static_selectorELNS0_4arch9wavefront6targetE1EEEvT1_,"axG",@progbits,_ZN7rocprim17ROCPRIM_400000_NS6detail17trampoline_kernelINS0_14default_configENS1_35adjacent_difference_config_selectorILb0EaEEZNS1_24adjacent_difference_implIS3_Lb0ELb0EPKaPaN6thrust23THRUST_200600_302600_NS4plusIaEEEE10hipError_tPvRmT2_T3_mT4_P12ihipStream_tbEUlT_E_NS1_11comp_targetILNS1_3genE4ELNS1_11target_archE910ELNS1_3gpuE8ELNS1_3repE0EEENS1_30default_config_static_selectorELNS0_4arch9wavefront6targetE1EEEvT1_,comdat
	.protected	_ZN7rocprim17ROCPRIM_400000_NS6detail17trampoline_kernelINS0_14default_configENS1_35adjacent_difference_config_selectorILb0EaEEZNS1_24adjacent_difference_implIS3_Lb0ELb0EPKaPaN6thrust23THRUST_200600_302600_NS4plusIaEEEE10hipError_tPvRmT2_T3_mT4_P12ihipStream_tbEUlT_E_NS1_11comp_targetILNS1_3genE4ELNS1_11target_archE910ELNS1_3gpuE8ELNS1_3repE0EEENS1_30default_config_static_selectorELNS0_4arch9wavefront6targetE1EEEvT1_ ; -- Begin function _ZN7rocprim17ROCPRIM_400000_NS6detail17trampoline_kernelINS0_14default_configENS1_35adjacent_difference_config_selectorILb0EaEEZNS1_24adjacent_difference_implIS3_Lb0ELb0EPKaPaN6thrust23THRUST_200600_302600_NS4plusIaEEEE10hipError_tPvRmT2_T3_mT4_P12ihipStream_tbEUlT_E_NS1_11comp_targetILNS1_3genE4ELNS1_11target_archE910ELNS1_3gpuE8ELNS1_3repE0EEENS1_30default_config_static_selectorELNS0_4arch9wavefront6targetE1EEEvT1_
	.globl	_ZN7rocprim17ROCPRIM_400000_NS6detail17trampoline_kernelINS0_14default_configENS1_35adjacent_difference_config_selectorILb0EaEEZNS1_24adjacent_difference_implIS3_Lb0ELb0EPKaPaN6thrust23THRUST_200600_302600_NS4plusIaEEEE10hipError_tPvRmT2_T3_mT4_P12ihipStream_tbEUlT_E_NS1_11comp_targetILNS1_3genE4ELNS1_11target_archE910ELNS1_3gpuE8ELNS1_3repE0EEENS1_30default_config_static_selectorELNS0_4arch9wavefront6targetE1EEEvT1_
	.p2align	8
	.type	_ZN7rocprim17ROCPRIM_400000_NS6detail17trampoline_kernelINS0_14default_configENS1_35adjacent_difference_config_selectorILb0EaEEZNS1_24adjacent_difference_implIS3_Lb0ELb0EPKaPaN6thrust23THRUST_200600_302600_NS4plusIaEEEE10hipError_tPvRmT2_T3_mT4_P12ihipStream_tbEUlT_E_NS1_11comp_targetILNS1_3genE4ELNS1_11target_archE910ELNS1_3gpuE8ELNS1_3repE0EEENS1_30default_config_static_selectorELNS0_4arch9wavefront6targetE1EEEvT1_,@function
_ZN7rocprim17ROCPRIM_400000_NS6detail17trampoline_kernelINS0_14default_configENS1_35adjacent_difference_config_selectorILb0EaEEZNS1_24adjacent_difference_implIS3_Lb0ELb0EPKaPaN6thrust23THRUST_200600_302600_NS4plusIaEEEE10hipError_tPvRmT2_T3_mT4_P12ihipStream_tbEUlT_E_NS1_11comp_targetILNS1_3genE4ELNS1_11target_archE910ELNS1_3gpuE8ELNS1_3repE0EEENS1_30default_config_static_selectorELNS0_4arch9wavefront6targetE1EEEvT1_: ; @_ZN7rocprim17ROCPRIM_400000_NS6detail17trampoline_kernelINS0_14default_configENS1_35adjacent_difference_config_selectorILb0EaEEZNS1_24adjacent_difference_implIS3_Lb0ELb0EPKaPaN6thrust23THRUST_200600_302600_NS4plusIaEEEE10hipError_tPvRmT2_T3_mT4_P12ihipStream_tbEUlT_E_NS1_11comp_targetILNS1_3genE4ELNS1_11target_archE910ELNS1_3gpuE8ELNS1_3repE0EEENS1_30default_config_static_selectorELNS0_4arch9wavefront6targetE1EEEvT1_
; %bb.0:
	.section	.rodata,"a",@progbits
	.p2align	6, 0x0
	.amdhsa_kernel _ZN7rocprim17ROCPRIM_400000_NS6detail17trampoline_kernelINS0_14default_configENS1_35adjacent_difference_config_selectorILb0EaEEZNS1_24adjacent_difference_implIS3_Lb0ELb0EPKaPaN6thrust23THRUST_200600_302600_NS4plusIaEEEE10hipError_tPvRmT2_T3_mT4_P12ihipStream_tbEUlT_E_NS1_11comp_targetILNS1_3genE4ELNS1_11target_archE910ELNS1_3gpuE8ELNS1_3repE0EEENS1_30default_config_static_selectorELNS0_4arch9wavefront6targetE1EEEvT1_
		.amdhsa_group_segment_fixed_size 0
		.amdhsa_private_segment_fixed_size 0
		.amdhsa_kernarg_size 56
		.amdhsa_user_sgpr_count 2
		.amdhsa_user_sgpr_dispatch_ptr 0
		.amdhsa_user_sgpr_queue_ptr 0
		.amdhsa_user_sgpr_kernarg_segment_ptr 1
		.amdhsa_user_sgpr_dispatch_id 0
		.amdhsa_user_sgpr_kernarg_preload_length 0
		.amdhsa_user_sgpr_kernarg_preload_offset 0
		.amdhsa_user_sgpr_private_segment_size 0
		.amdhsa_uses_dynamic_stack 0
		.amdhsa_enable_private_segment 0
		.amdhsa_system_sgpr_workgroup_id_x 1
		.amdhsa_system_sgpr_workgroup_id_y 0
		.amdhsa_system_sgpr_workgroup_id_z 0
		.amdhsa_system_sgpr_workgroup_info 0
		.amdhsa_system_vgpr_workitem_id 0
		.amdhsa_next_free_vgpr 1
		.amdhsa_next_free_sgpr 0
		.amdhsa_accum_offset 4
		.amdhsa_reserve_vcc 0
		.amdhsa_float_round_mode_32 0
		.amdhsa_float_round_mode_16_64 0
		.amdhsa_float_denorm_mode_32 3
		.amdhsa_float_denorm_mode_16_64 3
		.amdhsa_dx10_clamp 1
		.amdhsa_ieee_mode 1
		.amdhsa_fp16_overflow 0
		.amdhsa_tg_split 0
		.amdhsa_exception_fp_ieee_invalid_op 0
		.amdhsa_exception_fp_denorm_src 0
		.amdhsa_exception_fp_ieee_div_zero 0
		.amdhsa_exception_fp_ieee_overflow 0
		.amdhsa_exception_fp_ieee_underflow 0
		.amdhsa_exception_fp_ieee_inexact 0
		.amdhsa_exception_int_div_zero 0
	.end_amdhsa_kernel
	.section	.text._ZN7rocprim17ROCPRIM_400000_NS6detail17trampoline_kernelINS0_14default_configENS1_35adjacent_difference_config_selectorILb0EaEEZNS1_24adjacent_difference_implIS3_Lb0ELb0EPKaPaN6thrust23THRUST_200600_302600_NS4plusIaEEEE10hipError_tPvRmT2_T3_mT4_P12ihipStream_tbEUlT_E_NS1_11comp_targetILNS1_3genE4ELNS1_11target_archE910ELNS1_3gpuE8ELNS1_3repE0EEENS1_30default_config_static_selectorELNS0_4arch9wavefront6targetE1EEEvT1_,"axG",@progbits,_ZN7rocprim17ROCPRIM_400000_NS6detail17trampoline_kernelINS0_14default_configENS1_35adjacent_difference_config_selectorILb0EaEEZNS1_24adjacent_difference_implIS3_Lb0ELb0EPKaPaN6thrust23THRUST_200600_302600_NS4plusIaEEEE10hipError_tPvRmT2_T3_mT4_P12ihipStream_tbEUlT_E_NS1_11comp_targetILNS1_3genE4ELNS1_11target_archE910ELNS1_3gpuE8ELNS1_3repE0EEENS1_30default_config_static_selectorELNS0_4arch9wavefront6targetE1EEEvT1_,comdat
.Lfunc_end469:
	.size	_ZN7rocprim17ROCPRIM_400000_NS6detail17trampoline_kernelINS0_14default_configENS1_35adjacent_difference_config_selectorILb0EaEEZNS1_24adjacent_difference_implIS3_Lb0ELb0EPKaPaN6thrust23THRUST_200600_302600_NS4plusIaEEEE10hipError_tPvRmT2_T3_mT4_P12ihipStream_tbEUlT_E_NS1_11comp_targetILNS1_3genE4ELNS1_11target_archE910ELNS1_3gpuE8ELNS1_3repE0EEENS1_30default_config_static_selectorELNS0_4arch9wavefront6targetE1EEEvT1_, .Lfunc_end469-_ZN7rocprim17ROCPRIM_400000_NS6detail17trampoline_kernelINS0_14default_configENS1_35adjacent_difference_config_selectorILb0EaEEZNS1_24adjacent_difference_implIS3_Lb0ELb0EPKaPaN6thrust23THRUST_200600_302600_NS4plusIaEEEE10hipError_tPvRmT2_T3_mT4_P12ihipStream_tbEUlT_E_NS1_11comp_targetILNS1_3genE4ELNS1_11target_archE910ELNS1_3gpuE8ELNS1_3repE0EEENS1_30default_config_static_selectorELNS0_4arch9wavefront6targetE1EEEvT1_
                                        ; -- End function
	.section	.AMDGPU.csdata,"",@progbits
; Kernel info:
; codeLenInByte = 0
; NumSgprs: 6
; NumVgprs: 0
; NumAgprs: 0
; TotalNumVgprs: 0
; ScratchSize: 0
; MemoryBound: 0
; FloatMode: 240
; IeeeMode: 1
; LDSByteSize: 0 bytes/workgroup (compile time only)
; SGPRBlocks: 0
; VGPRBlocks: 0
; NumSGPRsForWavesPerEU: 6
; NumVGPRsForWavesPerEU: 1
; AccumOffset: 4
; Occupancy: 8
; WaveLimiterHint : 0
; COMPUTE_PGM_RSRC2:SCRATCH_EN: 0
; COMPUTE_PGM_RSRC2:USER_SGPR: 2
; COMPUTE_PGM_RSRC2:TRAP_HANDLER: 0
; COMPUTE_PGM_RSRC2:TGID_X_EN: 1
; COMPUTE_PGM_RSRC2:TGID_Y_EN: 0
; COMPUTE_PGM_RSRC2:TGID_Z_EN: 0
; COMPUTE_PGM_RSRC2:TIDIG_COMP_CNT: 0
; COMPUTE_PGM_RSRC3_GFX90A:ACCUM_OFFSET: 0
; COMPUTE_PGM_RSRC3_GFX90A:TG_SPLIT: 0
	.section	.text._ZN7rocprim17ROCPRIM_400000_NS6detail17trampoline_kernelINS0_14default_configENS1_35adjacent_difference_config_selectorILb0EaEEZNS1_24adjacent_difference_implIS3_Lb0ELb0EPKaPaN6thrust23THRUST_200600_302600_NS4plusIaEEEE10hipError_tPvRmT2_T3_mT4_P12ihipStream_tbEUlT_E_NS1_11comp_targetILNS1_3genE3ELNS1_11target_archE908ELNS1_3gpuE7ELNS1_3repE0EEENS1_30default_config_static_selectorELNS0_4arch9wavefront6targetE1EEEvT1_,"axG",@progbits,_ZN7rocprim17ROCPRIM_400000_NS6detail17trampoline_kernelINS0_14default_configENS1_35adjacent_difference_config_selectorILb0EaEEZNS1_24adjacent_difference_implIS3_Lb0ELb0EPKaPaN6thrust23THRUST_200600_302600_NS4plusIaEEEE10hipError_tPvRmT2_T3_mT4_P12ihipStream_tbEUlT_E_NS1_11comp_targetILNS1_3genE3ELNS1_11target_archE908ELNS1_3gpuE7ELNS1_3repE0EEENS1_30default_config_static_selectorELNS0_4arch9wavefront6targetE1EEEvT1_,comdat
	.protected	_ZN7rocprim17ROCPRIM_400000_NS6detail17trampoline_kernelINS0_14default_configENS1_35adjacent_difference_config_selectorILb0EaEEZNS1_24adjacent_difference_implIS3_Lb0ELb0EPKaPaN6thrust23THRUST_200600_302600_NS4plusIaEEEE10hipError_tPvRmT2_T3_mT4_P12ihipStream_tbEUlT_E_NS1_11comp_targetILNS1_3genE3ELNS1_11target_archE908ELNS1_3gpuE7ELNS1_3repE0EEENS1_30default_config_static_selectorELNS0_4arch9wavefront6targetE1EEEvT1_ ; -- Begin function _ZN7rocprim17ROCPRIM_400000_NS6detail17trampoline_kernelINS0_14default_configENS1_35adjacent_difference_config_selectorILb0EaEEZNS1_24adjacent_difference_implIS3_Lb0ELb0EPKaPaN6thrust23THRUST_200600_302600_NS4plusIaEEEE10hipError_tPvRmT2_T3_mT4_P12ihipStream_tbEUlT_E_NS1_11comp_targetILNS1_3genE3ELNS1_11target_archE908ELNS1_3gpuE7ELNS1_3repE0EEENS1_30default_config_static_selectorELNS0_4arch9wavefront6targetE1EEEvT1_
	.globl	_ZN7rocprim17ROCPRIM_400000_NS6detail17trampoline_kernelINS0_14default_configENS1_35adjacent_difference_config_selectorILb0EaEEZNS1_24adjacent_difference_implIS3_Lb0ELb0EPKaPaN6thrust23THRUST_200600_302600_NS4plusIaEEEE10hipError_tPvRmT2_T3_mT4_P12ihipStream_tbEUlT_E_NS1_11comp_targetILNS1_3genE3ELNS1_11target_archE908ELNS1_3gpuE7ELNS1_3repE0EEENS1_30default_config_static_selectorELNS0_4arch9wavefront6targetE1EEEvT1_
	.p2align	8
	.type	_ZN7rocprim17ROCPRIM_400000_NS6detail17trampoline_kernelINS0_14default_configENS1_35adjacent_difference_config_selectorILb0EaEEZNS1_24adjacent_difference_implIS3_Lb0ELb0EPKaPaN6thrust23THRUST_200600_302600_NS4plusIaEEEE10hipError_tPvRmT2_T3_mT4_P12ihipStream_tbEUlT_E_NS1_11comp_targetILNS1_3genE3ELNS1_11target_archE908ELNS1_3gpuE7ELNS1_3repE0EEENS1_30default_config_static_selectorELNS0_4arch9wavefront6targetE1EEEvT1_,@function
_ZN7rocprim17ROCPRIM_400000_NS6detail17trampoline_kernelINS0_14default_configENS1_35adjacent_difference_config_selectorILb0EaEEZNS1_24adjacent_difference_implIS3_Lb0ELb0EPKaPaN6thrust23THRUST_200600_302600_NS4plusIaEEEE10hipError_tPvRmT2_T3_mT4_P12ihipStream_tbEUlT_E_NS1_11comp_targetILNS1_3genE3ELNS1_11target_archE908ELNS1_3gpuE7ELNS1_3repE0EEENS1_30default_config_static_selectorELNS0_4arch9wavefront6targetE1EEEvT1_: ; @_ZN7rocprim17ROCPRIM_400000_NS6detail17trampoline_kernelINS0_14default_configENS1_35adjacent_difference_config_selectorILb0EaEEZNS1_24adjacent_difference_implIS3_Lb0ELb0EPKaPaN6thrust23THRUST_200600_302600_NS4plusIaEEEE10hipError_tPvRmT2_T3_mT4_P12ihipStream_tbEUlT_E_NS1_11comp_targetILNS1_3genE3ELNS1_11target_archE908ELNS1_3gpuE7ELNS1_3repE0EEENS1_30default_config_static_selectorELNS0_4arch9wavefront6targetE1EEEvT1_
; %bb.0:
	.section	.rodata,"a",@progbits
	.p2align	6, 0x0
	.amdhsa_kernel _ZN7rocprim17ROCPRIM_400000_NS6detail17trampoline_kernelINS0_14default_configENS1_35adjacent_difference_config_selectorILb0EaEEZNS1_24adjacent_difference_implIS3_Lb0ELb0EPKaPaN6thrust23THRUST_200600_302600_NS4plusIaEEEE10hipError_tPvRmT2_T3_mT4_P12ihipStream_tbEUlT_E_NS1_11comp_targetILNS1_3genE3ELNS1_11target_archE908ELNS1_3gpuE7ELNS1_3repE0EEENS1_30default_config_static_selectorELNS0_4arch9wavefront6targetE1EEEvT1_
		.amdhsa_group_segment_fixed_size 0
		.amdhsa_private_segment_fixed_size 0
		.amdhsa_kernarg_size 56
		.amdhsa_user_sgpr_count 2
		.amdhsa_user_sgpr_dispatch_ptr 0
		.amdhsa_user_sgpr_queue_ptr 0
		.amdhsa_user_sgpr_kernarg_segment_ptr 1
		.amdhsa_user_sgpr_dispatch_id 0
		.amdhsa_user_sgpr_kernarg_preload_length 0
		.amdhsa_user_sgpr_kernarg_preload_offset 0
		.amdhsa_user_sgpr_private_segment_size 0
		.amdhsa_uses_dynamic_stack 0
		.amdhsa_enable_private_segment 0
		.amdhsa_system_sgpr_workgroup_id_x 1
		.amdhsa_system_sgpr_workgroup_id_y 0
		.amdhsa_system_sgpr_workgroup_id_z 0
		.amdhsa_system_sgpr_workgroup_info 0
		.amdhsa_system_vgpr_workitem_id 0
		.amdhsa_next_free_vgpr 1
		.amdhsa_next_free_sgpr 0
		.amdhsa_accum_offset 4
		.amdhsa_reserve_vcc 0
		.amdhsa_float_round_mode_32 0
		.amdhsa_float_round_mode_16_64 0
		.amdhsa_float_denorm_mode_32 3
		.amdhsa_float_denorm_mode_16_64 3
		.amdhsa_dx10_clamp 1
		.amdhsa_ieee_mode 1
		.amdhsa_fp16_overflow 0
		.amdhsa_tg_split 0
		.amdhsa_exception_fp_ieee_invalid_op 0
		.amdhsa_exception_fp_denorm_src 0
		.amdhsa_exception_fp_ieee_div_zero 0
		.amdhsa_exception_fp_ieee_overflow 0
		.amdhsa_exception_fp_ieee_underflow 0
		.amdhsa_exception_fp_ieee_inexact 0
		.amdhsa_exception_int_div_zero 0
	.end_amdhsa_kernel
	.section	.text._ZN7rocprim17ROCPRIM_400000_NS6detail17trampoline_kernelINS0_14default_configENS1_35adjacent_difference_config_selectorILb0EaEEZNS1_24adjacent_difference_implIS3_Lb0ELb0EPKaPaN6thrust23THRUST_200600_302600_NS4plusIaEEEE10hipError_tPvRmT2_T3_mT4_P12ihipStream_tbEUlT_E_NS1_11comp_targetILNS1_3genE3ELNS1_11target_archE908ELNS1_3gpuE7ELNS1_3repE0EEENS1_30default_config_static_selectorELNS0_4arch9wavefront6targetE1EEEvT1_,"axG",@progbits,_ZN7rocprim17ROCPRIM_400000_NS6detail17trampoline_kernelINS0_14default_configENS1_35adjacent_difference_config_selectorILb0EaEEZNS1_24adjacent_difference_implIS3_Lb0ELb0EPKaPaN6thrust23THRUST_200600_302600_NS4plusIaEEEE10hipError_tPvRmT2_T3_mT4_P12ihipStream_tbEUlT_E_NS1_11comp_targetILNS1_3genE3ELNS1_11target_archE908ELNS1_3gpuE7ELNS1_3repE0EEENS1_30default_config_static_selectorELNS0_4arch9wavefront6targetE1EEEvT1_,comdat
.Lfunc_end470:
	.size	_ZN7rocprim17ROCPRIM_400000_NS6detail17trampoline_kernelINS0_14default_configENS1_35adjacent_difference_config_selectorILb0EaEEZNS1_24adjacent_difference_implIS3_Lb0ELb0EPKaPaN6thrust23THRUST_200600_302600_NS4plusIaEEEE10hipError_tPvRmT2_T3_mT4_P12ihipStream_tbEUlT_E_NS1_11comp_targetILNS1_3genE3ELNS1_11target_archE908ELNS1_3gpuE7ELNS1_3repE0EEENS1_30default_config_static_selectorELNS0_4arch9wavefront6targetE1EEEvT1_, .Lfunc_end470-_ZN7rocprim17ROCPRIM_400000_NS6detail17trampoline_kernelINS0_14default_configENS1_35adjacent_difference_config_selectorILb0EaEEZNS1_24adjacent_difference_implIS3_Lb0ELb0EPKaPaN6thrust23THRUST_200600_302600_NS4plusIaEEEE10hipError_tPvRmT2_T3_mT4_P12ihipStream_tbEUlT_E_NS1_11comp_targetILNS1_3genE3ELNS1_11target_archE908ELNS1_3gpuE7ELNS1_3repE0EEENS1_30default_config_static_selectorELNS0_4arch9wavefront6targetE1EEEvT1_
                                        ; -- End function
	.section	.AMDGPU.csdata,"",@progbits
; Kernel info:
; codeLenInByte = 0
; NumSgprs: 6
; NumVgprs: 0
; NumAgprs: 0
; TotalNumVgprs: 0
; ScratchSize: 0
; MemoryBound: 0
; FloatMode: 240
; IeeeMode: 1
; LDSByteSize: 0 bytes/workgroup (compile time only)
; SGPRBlocks: 0
; VGPRBlocks: 0
; NumSGPRsForWavesPerEU: 6
; NumVGPRsForWavesPerEU: 1
; AccumOffset: 4
; Occupancy: 8
; WaveLimiterHint : 0
; COMPUTE_PGM_RSRC2:SCRATCH_EN: 0
; COMPUTE_PGM_RSRC2:USER_SGPR: 2
; COMPUTE_PGM_RSRC2:TRAP_HANDLER: 0
; COMPUTE_PGM_RSRC2:TGID_X_EN: 1
; COMPUTE_PGM_RSRC2:TGID_Y_EN: 0
; COMPUTE_PGM_RSRC2:TGID_Z_EN: 0
; COMPUTE_PGM_RSRC2:TIDIG_COMP_CNT: 0
; COMPUTE_PGM_RSRC3_GFX90A:ACCUM_OFFSET: 0
; COMPUTE_PGM_RSRC3_GFX90A:TG_SPLIT: 0
	.section	.text._ZN7rocprim17ROCPRIM_400000_NS6detail17trampoline_kernelINS0_14default_configENS1_35adjacent_difference_config_selectorILb0EaEEZNS1_24adjacent_difference_implIS3_Lb0ELb0EPKaPaN6thrust23THRUST_200600_302600_NS4plusIaEEEE10hipError_tPvRmT2_T3_mT4_P12ihipStream_tbEUlT_E_NS1_11comp_targetILNS1_3genE2ELNS1_11target_archE906ELNS1_3gpuE6ELNS1_3repE0EEENS1_30default_config_static_selectorELNS0_4arch9wavefront6targetE1EEEvT1_,"axG",@progbits,_ZN7rocprim17ROCPRIM_400000_NS6detail17trampoline_kernelINS0_14default_configENS1_35adjacent_difference_config_selectorILb0EaEEZNS1_24adjacent_difference_implIS3_Lb0ELb0EPKaPaN6thrust23THRUST_200600_302600_NS4plusIaEEEE10hipError_tPvRmT2_T3_mT4_P12ihipStream_tbEUlT_E_NS1_11comp_targetILNS1_3genE2ELNS1_11target_archE906ELNS1_3gpuE6ELNS1_3repE0EEENS1_30default_config_static_selectorELNS0_4arch9wavefront6targetE1EEEvT1_,comdat
	.protected	_ZN7rocprim17ROCPRIM_400000_NS6detail17trampoline_kernelINS0_14default_configENS1_35adjacent_difference_config_selectorILb0EaEEZNS1_24adjacent_difference_implIS3_Lb0ELb0EPKaPaN6thrust23THRUST_200600_302600_NS4plusIaEEEE10hipError_tPvRmT2_T3_mT4_P12ihipStream_tbEUlT_E_NS1_11comp_targetILNS1_3genE2ELNS1_11target_archE906ELNS1_3gpuE6ELNS1_3repE0EEENS1_30default_config_static_selectorELNS0_4arch9wavefront6targetE1EEEvT1_ ; -- Begin function _ZN7rocprim17ROCPRIM_400000_NS6detail17trampoline_kernelINS0_14default_configENS1_35adjacent_difference_config_selectorILb0EaEEZNS1_24adjacent_difference_implIS3_Lb0ELb0EPKaPaN6thrust23THRUST_200600_302600_NS4plusIaEEEE10hipError_tPvRmT2_T3_mT4_P12ihipStream_tbEUlT_E_NS1_11comp_targetILNS1_3genE2ELNS1_11target_archE906ELNS1_3gpuE6ELNS1_3repE0EEENS1_30default_config_static_selectorELNS0_4arch9wavefront6targetE1EEEvT1_
	.globl	_ZN7rocprim17ROCPRIM_400000_NS6detail17trampoline_kernelINS0_14default_configENS1_35adjacent_difference_config_selectorILb0EaEEZNS1_24adjacent_difference_implIS3_Lb0ELb0EPKaPaN6thrust23THRUST_200600_302600_NS4plusIaEEEE10hipError_tPvRmT2_T3_mT4_P12ihipStream_tbEUlT_E_NS1_11comp_targetILNS1_3genE2ELNS1_11target_archE906ELNS1_3gpuE6ELNS1_3repE0EEENS1_30default_config_static_selectorELNS0_4arch9wavefront6targetE1EEEvT1_
	.p2align	8
	.type	_ZN7rocprim17ROCPRIM_400000_NS6detail17trampoline_kernelINS0_14default_configENS1_35adjacent_difference_config_selectorILb0EaEEZNS1_24adjacent_difference_implIS3_Lb0ELb0EPKaPaN6thrust23THRUST_200600_302600_NS4plusIaEEEE10hipError_tPvRmT2_T3_mT4_P12ihipStream_tbEUlT_E_NS1_11comp_targetILNS1_3genE2ELNS1_11target_archE906ELNS1_3gpuE6ELNS1_3repE0EEENS1_30default_config_static_selectorELNS0_4arch9wavefront6targetE1EEEvT1_,@function
_ZN7rocprim17ROCPRIM_400000_NS6detail17trampoline_kernelINS0_14default_configENS1_35adjacent_difference_config_selectorILb0EaEEZNS1_24adjacent_difference_implIS3_Lb0ELb0EPKaPaN6thrust23THRUST_200600_302600_NS4plusIaEEEE10hipError_tPvRmT2_T3_mT4_P12ihipStream_tbEUlT_E_NS1_11comp_targetILNS1_3genE2ELNS1_11target_archE906ELNS1_3gpuE6ELNS1_3repE0EEENS1_30default_config_static_selectorELNS0_4arch9wavefront6targetE1EEEvT1_: ; @_ZN7rocprim17ROCPRIM_400000_NS6detail17trampoline_kernelINS0_14default_configENS1_35adjacent_difference_config_selectorILb0EaEEZNS1_24adjacent_difference_implIS3_Lb0ELb0EPKaPaN6thrust23THRUST_200600_302600_NS4plusIaEEEE10hipError_tPvRmT2_T3_mT4_P12ihipStream_tbEUlT_E_NS1_11comp_targetILNS1_3genE2ELNS1_11target_archE906ELNS1_3gpuE6ELNS1_3repE0EEENS1_30default_config_static_selectorELNS0_4arch9wavefront6targetE1EEEvT1_
; %bb.0:
	.section	.rodata,"a",@progbits
	.p2align	6, 0x0
	.amdhsa_kernel _ZN7rocprim17ROCPRIM_400000_NS6detail17trampoline_kernelINS0_14default_configENS1_35adjacent_difference_config_selectorILb0EaEEZNS1_24adjacent_difference_implIS3_Lb0ELb0EPKaPaN6thrust23THRUST_200600_302600_NS4plusIaEEEE10hipError_tPvRmT2_T3_mT4_P12ihipStream_tbEUlT_E_NS1_11comp_targetILNS1_3genE2ELNS1_11target_archE906ELNS1_3gpuE6ELNS1_3repE0EEENS1_30default_config_static_selectorELNS0_4arch9wavefront6targetE1EEEvT1_
		.amdhsa_group_segment_fixed_size 0
		.amdhsa_private_segment_fixed_size 0
		.amdhsa_kernarg_size 56
		.amdhsa_user_sgpr_count 2
		.amdhsa_user_sgpr_dispatch_ptr 0
		.amdhsa_user_sgpr_queue_ptr 0
		.amdhsa_user_sgpr_kernarg_segment_ptr 1
		.amdhsa_user_sgpr_dispatch_id 0
		.amdhsa_user_sgpr_kernarg_preload_length 0
		.amdhsa_user_sgpr_kernarg_preload_offset 0
		.amdhsa_user_sgpr_private_segment_size 0
		.amdhsa_uses_dynamic_stack 0
		.amdhsa_enable_private_segment 0
		.amdhsa_system_sgpr_workgroup_id_x 1
		.amdhsa_system_sgpr_workgroup_id_y 0
		.amdhsa_system_sgpr_workgroup_id_z 0
		.amdhsa_system_sgpr_workgroup_info 0
		.amdhsa_system_vgpr_workitem_id 0
		.amdhsa_next_free_vgpr 1
		.amdhsa_next_free_sgpr 0
		.amdhsa_accum_offset 4
		.amdhsa_reserve_vcc 0
		.amdhsa_float_round_mode_32 0
		.amdhsa_float_round_mode_16_64 0
		.amdhsa_float_denorm_mode_32 3
		.amdhsa_float_denorm_mode_16_64 3
		.amdhsa_dx10_clamp 1
		.amdhsa_ieee_mode 1
		.amdhsa_fp16_overflow 0
		.amdhsa_tg_split 0
		.amdhsa_exception_fp_ieee_invalid_op 0
		.amdhsa_exception_fp_denorm_src 0
		.amdhsa_exception_fp_ieee_div_zero 0
		.amdhsa_exception_fp_ieee_overflow 0
		.amdhsa_exception_fp_ieee_underflow 0
		.amdhsa_exception_fp_ieee_inexact 0
		.amdhsa_exception_int_div_zero 0
	.end_amdhsa_kernel
	.section	.text._ZN7rocprim17ROCPRIM_400000_NS6detail17trampoline_kernelINS0_14default_configENS1_35adjacent_difference_config_selectorILb0EaEEZNS1_24adjacent_difference_implIS3_Lb0ELb0EPKaPaN6thrust23THRUST_200600_302600_NS4plusIaEEEE10hipError_tPvRmT2_T3_mT4_P12ihipStream_tbEUlT_E_NS1_11comp_targetILNS1_3genE2ELNS1_11target_archE906ELNS1_3gpuE6ELNS1_3repE0EEENS1_30default_config_static_selectorELNS0_4arch9wavefront6targetE1EEEvT1_,"axG",@progbits,_ZN7rocprim17ROCPRIM_400000_NS6detail17trampoline_kernelINS0_14default_configENS1_35adjacent_difference_config_selectorILb0EaEEZNS1_24adjacent_difference_implIS3_Lb0ELb0EPKaPaN6thrust23THRUST_200600_302600_NS4plusIaEEEE10hipError_tPvRmT2_T3_mT4_P12ihipStream_tbEUlT_E_NS1_11comp_targetILNS1_3genE2ELNS1_11target_archE906ELNS1_3gpuE6ELNS1_3repE0EEENS1_30default_config_static_selectorELNS0_4arch9wavefront6targetE1EEEvT1_,comdat
.Lfunc_end471:
	.size	_ZN7rocprim17ROCPRIM_400000_NS6detail17trampoline_kernelINS0_14default_configENS1_35adjacent_difference_config_selectorILb0EaEEZNS1_24adjacent_difference_implIS3_Lb0ELb0EPKaPaN6thrust23THRUST_200600_302600_NS4plusIaEEEE10hipError_tPvRmT2_T3_mT4_P12ihipStream_tbEUlT_E_NS1_11comp_targetILNS1_3genE2ELNS1_11target_archE906ELNS1_3gpuE6ELNS1_3repE0EEENS1_30default_config_static_selectorELNS0_4arch9wavefront6targetE1EEEvT1_, .Lfunc_end471-_ZN7rocprim17ROCPRIM_400000_NS6detail17trampoline_kernelINS0_14default_configENS1_35adjacent_difference_config_selectorILb0EaEEZNS1_24adjacent_difference_implIS3_Lb0ELb0EPKaPaN6thrust23THRUST_200600_302600_NS4plusIaEEEE10hipError_tPvRmT2_T3_mT4_P12ihipStream_tbEUlT_E_NS1_11comp_targetILNS1_3genE2ELNS1_11target_archE906ELNS1_3gpuE6ELNS1_3repE0EEENS1_30default_config_static_selectorELNS0_4arch9wavefront6targetE1EEEvT1_
                                        ; -- End function
	.section	.AMDGPU.csdata,"",@progbits
; Kernel info:
; codeLenInByte = 0
; NumSgprs: 6
; NumVgprs: 0
; NumAgprs: 0
; TotalNumVgprs: 0
; ScratchSize: 0
; MemoryBound: 0
; FloatMode: 240
; IeeeMode: 1
; LDSByteSize: 0 bytes/workgroup (compile time only)
; SGPRBlocks: 0
; VGPRBlocks: 0
; NumSGPRsForWavesPerEU: 6
; NumVGPRsForWavesPerEU: 1
; AccumOffset: 4
; Occupancy: 8
; WaveLimiterHint : 0
; COMPUTE_PGM_RSRC2:SCRATCH_EN: 0
; COMPUTE_PGM_RSRC2:USER_SGPR: 2
; COMPUTE_PGM_RSRC2:TRAP_HANDLER: 0
; COMPUTE_PGM_RSRC2:TGID_X_EN: 1
; COMPUTE_PGM_RSRC2:TGID_Y_EN: 0
; COMPUTE_PGM_RSRC2:TGID_Z_EN: 0
; COMPUTE_PGM_RSRC2:TIDIG_COMP_CNT: 0
; COMPUTE_PGM_RSRC3_GFX90A:ACCUM_OFFSET: 0
; COMPUTE_PGM_RSRC3_GFX90A:TG_SPLIT: 0
	.section	.text._ZN7rocprim17ROCPRIM_400000_NS6detail17trampoline_kernelINS0_14default_configENS1_35adjacent_difference_config_selectorILb0EaEEZNS1_24adjacent_difference_implIS3_Lb0ELb0EPKaPaN6thrust23THRUST_200600_302600_NS4plusIaEEEE10hipError_tPvRmT2_T3_mT4_P12ihipStream_tbEUlT_E_NS1_11comp_targetILNS1_3genE9ELNS1_11target_archE1100ELNS1_3gpuE3ELNS1_3repE0EEENS1_30default_config_static_selectorELNS0_4arch9wavefront6targetE1EEEvT1_,"axG",@progbits,_ZN7rocprim17ROCPRIM_400000_NS6detail17trampoline_kernelINS0_14default_configENS1_35adjacent_difference_config_selectorILb0EaEEZNS1_24adjacent_difference_implIS3_Lb0ELb0EPKaPaN6thrust23THRUST_200600_302600_NS4plusIaEEEE10hipError_tPvRmT2_T3_mT4_P12ihipStream_tbEUlT_E_NS1_11comp_targetILNS1_3genE9ELNS1_11target_archE1100ELNS1_3gpuE3ELNS1_3repE0EEENS1_30default_config_static_selectorELNS0_4arch9wavefront6targetE1EEEvT1_,comdat
	.protected	_ZN7rocprim17ROCPRIM_400000_NS6detail17trampoline_kernelINS0_14default_configENS1_35adjacent_difference_config_selectorILb0EaEEZNS1_24adjacent_difference_implIS3_Lb0ELb0EPKaPaN6thrust23THRUST_200600_302600_NS4plusIaEEEE10hipError_tPvRmT2_T3_mT4_P12ihipStream_tbEUlT_E_NS1_11comp_targetILNS1_3genE9ELNS1_11target_archE1100ELNS1_3gpuE3ELNS1_3repE0EEENS1_30default_config_static_selectorELNS0_4arch9wavefront6targetE1EEEvT1_ ; -- Begin function _ZN7rocprim17ROCPRIM_400000_NS6detail17trampoline_kernelINS0_14default_configENS1_35adjacent_difference_config_selectorILb0EaEEZNS1_24adjacent_difference_implIS3_Lb0ELb0EPKaPaN6thrust23THRUST_200600_302600_NS4plusIaEEEE10hipError_tPvRmT2_T3_mT4_P12ihipStream_tbEUlT_E_NS1_11comp_targetILNS1_3genE9ELNS1_11target_archE1100ELNS1_3gpuE3ELNS1_3repE0EEENS1_30default_config_static_selectorELNS0_4arch9wavefront6targetE1EEEvT1_
	.globl	_ZN7rocprim17ROCPRIM_400000_NS6detail17trampoline_kernelINS0_14default_configENS1_35adjacent_difference_config_selectorILb0EaEEZNS1_24adjacent_difference_implIS3_Lb0ELb0EPKaPaN6thrust23THRUST_200600_302600_NS4plusIaEEEE10hipError_tPvRmT2_T3_mT4_P12ihipStream_tbEUlT_E_NS1_11comp_targetILNS1_3genE9ELNS1_11target_archE1100ELNS1_3gpuE3ELNS1_3repE0EEENS1_30default_config_static_selectorELNS0_4arch9wavefront6targetE1EEEvT1_
	.p2align	8
	.type	_ZN7rocprim17ROCPRIM_400000_NS6detail17trampoline_kernelINS0_14default_configENS1_35adjacent_difference_config_selectorILb0EaEEZNS1_24adjacent_difference_implIS3_Lb0ELb0EPKaPaN6thrust23THRUST_200600_302600_NS4plusIaEEEE10hipError_tPvRmT2_T3_mT4_P12ihipStream_tbEUlT_E_NS1_11comp_targetILNS1_3genE9ELNS1_11target_archE1100ELNS1_3gpuE3ELNS1_3repE0EEENS1_30default_config_static_selectorELNS0_4arch9wavefront6targetE1EEEvT1_,@function
_ZN7rocprim17ROCPRIM_400000_NS6detail17trampoline_kernelINS0_14default_configENS1_35adjacent_difference_config_selectorILb0EaEEZNS1_24adjacent_difference_implIS3_Lb0ELb0EPKaPaN6thrust23THRUST_200600_302600_NS4plusIaEEEE10hipError_tPvRmT2_T3_mT4_P12ihipStream_tbEUlT_E_NS1_11comp_targetILNS1_3genE9ELNS1_11target_archE1100ELNS1_3gpuE3ELNS1_3repE0EEENS1_30default_config_static_selectorELNS0_4arch9wavefront6targetE1EEEvT1_: ; @_ZN7rocprim17ROCPRIM_400000_NS6detail17trampoline_kernelINS0_14default_configENS1_35adjacent_difference_config_selectorILb0EaEEZNS1_24adjacent_difference_implIS3_Lb0ELb0EPKaPaN6thrust23THRUST_200600_302600_NS4plusIaEEEE10hipError_tPvRmT2_T3_mT4_P12ihipStream_tbEUlT_E_NS1_11comp_targetILNS1_3genE9ELNS1_11target_archE1100ELNS1_3gpuE3ELNS1_3repE0EEENS1_30default_config_static_selectorELNS0_4arch9wavefront6targetE1EEEvT1_
; %bb.0:
	.section	.rodata,"a",@progbits
	.p2align	6, 0x0
	.amdhsa_kernel _ZN7rocprim17ROCPRIM_400000_NS6detail17trampoline_kernelINS0_14default_configENS1_35adjacent_difference_config_selectorILb0EaEEZNS1_24adjacent_difference_implIS3_Lb0ELb0EPKaPaN6thrust23THRUST_200600_302600_NS4plusIaEEEE10hipError_tPvRmT2_T3_mT4_P12ihipStream_tbEUlT_E_NS1_11comp_targetILNS1_3genE9ELNS1_11target_archE1100ELNS1_3gpuE3ELNS1_3repE0EEENS1_30default_config_static_selectorELNS0_4arch9wavefront6targetE1EEEvT1_
		.amdhsa_group_segment_fixed_size 0
		.amdhsa_private_segment_fixed_size 0
		.amdhsa_kernarg_size 56
		.amdhsa_user_sgpr_count 2
		.amdhsa_user_sgpr_dispatch_ptr 0
		.amdhsa_user_sgpr_queue_ptr 0
		.amdhsa_user_sgpr_kernarg_segment_ptr 1
		.amdhsa_user_sgpr_dispatch_id 0
		.amdhsa_user_sgpr_kernarg_preload_length 0
		.amdhsa_user_sgpr_kernarg_preload_offset 0
		.amdhsa_user_sgpr_private_segment_size 0
		.amdhsa_uses_dynamic_stack 0
		.amdhsa_enable_private_segment 0
		.amdhsa_system_sgpr_workgroup_id_x 1
		.amdhsa_system_sgpr_workgroup_id_y 0
		.amdhsa_system_sgpr_workgroup_id_z 0
		.amdhsa_system_sgpr_workgroup_info 0
		.amdhsa_system_vgpr_workitem_id 0
		.amdhsa_next_free_vgpr 1
		.amdhsa_next_free_sgpr 0
		.amdhsa_accum_offset 4
		.amdhsa_reserve_vcc 0
		.amdhsa_float_round_mode_32 0
		.amdhsa_float_round_mode_16_64 0
		.amdhsa_float_denorm_mode_32 3
		.amdhsa_float_denorm_mode_16_64 3
		.amdhsa_dx10_clamp 1
		.amdhsa_ieee_mode 1
		.amdhsa_fp16_overflow 0
		.amdhsa_tg_split 0
		.amdhsa_exception_fp_ieee_invalid_op 0
		.amdhsa_exception_fp_denorm_src 0
		.amdhsa_exception_fp_ieee_div_zero 0
		.amdhsa_exception_fp_ieee_overflow 0
		.amdhsa_exception_fp_ieee_underflow 0
		.amdhsa_exception_fp_ieee_inexact 0
		.amdhsa_exception_int_div_zero 0
	.end_amdhsa_kernel
	.section	.text._ZN7rocprim17ROCPRIM_400000_NS6detail17trampoline_kernelINS0_14default_configENS1_35adjacent_difference_config_selectorILb0EaEEZNS1_24adjacent_difference_implIS3_Lb0ELb0EPKaPaN6thrust23THRUST_200600_302600_NS4plusIaEEEE10hipError_tPvRmT2_T3_mT4_P12ihipStream_tbEUlT_E_NS1_11comp_targetILNS1_3genE9ELNS1_11target_archE1100ELNS1_3gpuE3ELNS1_3repE0EEENS1_30default_config_static_selectorELNS0_4arch9wavefront6targetE1EEEvT1_,"axG",@progbits,_ZN7rocprim17ROCPRIM_400000_NS6detail17trampoline_kernelINS0_14default_configENS1_35adjacent_difference_config_selectorILb0EaEEZNS1_24adjacent_difference_implIS3_Lb0ELb0EPKaPaN6thrust23THRUST_200600_302600_NS4plusIaEEEE10hipError_tPvRmT2_T3_mT4_P12ihipStream_tbEUlT_E_NS1_11comp_targetILNS1_3genE9ELNS1_11target_archE1100ELNS1_3gpuE3ELNS1_3repE0EEENS1_30default_config_static_selectorELNS0_4arch9wavefront6targetE1EEEvT1_,comdat
.Lfunc_end472:
	.size	_ZN7rocprim17ROCPRIM_400000_NS6detail17trampoline_kernelINS0_14default_configENS1_35adjacent_difference_config_selectorILb0EaEEZNS1_24adjacent_difference_implIS3_Lb0ELb0EPKaPaN6thrust23THRUST_200600_302600_NS4plusIaEEEE10hipError_tPvRmT2_T3_mT4_P12ihipStream_tbEUlT_E_NS1_11comp_targetILNS1_3genE9ELNS1_11target_archE1100ELNS1_3gpuE3ELNS1_3repE0EEENS1_30default_config_static_selectorELNS0_4arch9wavefront6targetE1EEEvT1_, .Lfunc_end472-_ZN7rocprim17ROCPRIM_400000_NS6detail17trampoline_kernelINS0_14default_configENS1_35adjacent_difference_config_selectorILb0EaEEZNS1_24adjacent_difference_implIS3_Lb0ELb0EPKaPaN6thrust23THRUST_200600_302600_NS4plusIaEEEE10hipError_tPvRmT2_T3_mT4_P12ihipStream_tbEUlT_E_NS1_11comp_targetILNS1_3genE9ELNS1_11target_archE1100ELNS1_3gpuE3ELNS1_3repE0EEENS1_30default_config_static_selectorELNS0_4arch9wavefront6targetE1EEEvT1_
                                        ; -- End function
	.section	.AMDGPU.csdata,"",@progbits
; Kernel info:
; codeLenInByte = 0
; NumSgprs: 6
; NumVgprs: 0
; NumAgprs: 0
; TotalNumVgprs: 0
; ScratchSize: 0
; MemoryBound: 0
; FloatMode: 240
; IeeeMode: 1
; LDSByteSize: 0 bytes/workgroup (compile time only)
; SGPRBlocks: 0
; VGPRBlocks: 0
; NumSGPRsForWavesPerEU: 6
; NumVGPRsForWavesPerEU: 1
; AccumOffset: 4
; Occupancy: 8
; WaveLimiterHint : 0
; COMPUTE_PGM_RSRC2:SCRATCH_EN: 0
; COMPUTE_PGM_RSRC2:USER_SGPR: 2
; COMPUTE_PGM_RSRC2:TRAP_HANDLER: 0
; COMPUTE_PGM_RSRC2:TGID_X_EN: 1
; COMPUTE_PGM_RSRC2:TGID_Y_EN: 0
; COMPUTE_PGM_RSRC2:TGID_Z_EN: 0
; COMPUTE_PGM_RSRC2:TIDIG_COMP_CNT: 0
; COMPUTE_PGM_RSRC3_GFX90A:ACCUM_OFFSET: 0
; COMPUTE_PGM_RSRC3_GFX90A:TG_SPLIT: 0
	.section	.text._ZN7rocprim17ROCPRIM_400000_NS6detail17trampoline_kernelINS0_14default_configENS1_35adjacent_difference_config_selectorILb0EaEEZNS1_24adjacent_difference_implIS3_Lb0ELb0EPKaPaN6thrust23THRUST_200600_302600_NS4plusIaEEEE10hipError_tPvRmT2_T3_mT4_P12ihipStream_tbEUlT_E_NS1_11comp_targetILNS1_3genE8ELNS1_11target_archE1030ELNS1_3gpuE2ELNS1_3repE0EEENS1_30default_config_static_selectorELNS0_4arch9wavefront6targetE1EEEvT1_,"axG",@progbits,_ZN7rocprim17ROCPRIM_400000_NS6detail17trampoline_kernelINS0_14default_configENS1_35adjacent_difference_config_selectorILb0EaEEZNS1_24adjacent_difference_implIS3_Lb0ELb0EPKaPaN6thrust23THRUST_200600_302600_NS4plusIaEEEE10hipError_tPvRmT2_T3_mT4_P12ihipStream_tbEUlT_E_NS1_11comp_targetILNS1_3genE8ELNS1_11target_archE1030ELNS1_3gpuE2ELNS1_3repE0EEENS1_30default_config_static_selectorELNS0_4arch9wavefront6targetE1EEEvT1_,comdat
	.protected	_ZN7rocprim17ROCPRIM_400000_NS6detail17trampoline_kernelINS0_14default_configENS1_35adjacent_difference_config_selectorILb0EaEEZNS1_24adjacent_difference_implIS3_Lb0ELb0EPKaPaN6thrust23THRUST_200600_302600_NS4plusIaEEEE10hipError_tPvRmT2_T3_mT4_P12ihipStream_tbEUlT_E_NS1_11comp_targetILNS1_3genE8ELNS1_11target_archE1030ELNS1_3gpuE2ELNS1_3repE0EEENS1_30default_config_static_selectorELNS0_4arch9wavefront6targetE1EEEvT1_ ; -- Begin function _ZN7rocprim17ROCPRIM_400000_NS6detail17trampoline_kernelINS0_14default_configENS1_35adjacent_difference_config_selectorILb0EaEEZNS1_24adjacent_difference_implIS3_Lb0ELb0EPKaPaN6thrust23THRUST_200600_302600_NS4plusIaEEEE10hipError_tPvRmT2_T3_mT4_P12ihipStream_tbEUlT_E_NS1_11comp_targetILNS1_3genE8ELNS1_11target_archE1030ELNS1_3gpuE2ELNS1_3repE0EEENS1_30default_config_static_selectorELNS0_4arch9wavefront6targetE1EEEvT1_
	.globl	_ZN7rocprim17ROCPRIM_400000_NS6detail17trampoline_kernelINS0_14default_configENS1_35adjacent_difference_config_selectorILb0EaEEZNS1_24adjacent_difference_implIS3_Lb0ELb0EPKaPaN6thrust23THRUST_200600_302600_NS4plusIaEEEE10hipError_tPvRmT2_T3_mT4_P12ihipStream_tbEUlT_E_NS1_11comp_targetILNS1_3genE8ELNS1_11target_archE1030ELNS1_3gpuE2ELNS1_3repE0EEENS1_30default_config_static_selectorELNS0_4arch9wavefront6targetE1EEEvT1_
	.p2align	8
	.type	_ZN7rocprim17ROCPRIM_400000_NS6detail17trampoline_kernelINS0_14default_configENS1_35adjacent_difference_config_selectorILb0EaEEZNS1_24adjacent_difference_implIS3_Lb0ELb0EPKaPaN6thrust23THRUST_200600_302600_NS4plusIaEEEE10hipError_tPvRmT2_T3_mT4_P12ihipStream_tbEUlT_E_NS1_11comp_targetILNS1_3genE8ELNS1_11target_archE1030ELNS1_3gpuE2ELNS1_3repE0EEENS1_30default_config_static_selectorELNS0_4arch9wavefront6targetE1EEEvT1_,@function
_ZN7rocprim17ROCPRIM_400000_NS6detail17trampoline_kernelINS0_14default_configENS1_35adjacent_difference_config_selectorILb0EaEEZNS1_24adjacent_difference_implIS3_Lb0ELb0EPKaPaN6thrust23THRUST_200600_302600_NS4plusIaEEEE10hipError_tPvRmT2_T3_mT4_P12ihipStream_tbEUlT_E_NS1_11comp_targetILNS1_3genE8ELNS1_11target_archE1030ELNS1_3gpuE2ELNS1_3repE0EEENS1_30default_config_static_selectorELNS0_4arch9wavefront6targetE1EEEvT1_: ; @_ZN7rocprim17ROCPRIM_400000_NS6detail17trampoline_kernelINS0_14default_configENS1_35adjacent_difference_config_selectorILb0EaEEZNS1_24adjacent_difference_implIS3_Lb0ELb0EPKaPaN6thrust23THRUST_200600_302600_NS4plusIaEEEE10hipError_tPvRmT2_T3_mT4_P12ihipStream_tbEUlT_E_NS1_11comp_targetILNS1_3genE8ELNS1_11target_archE1030ELNS1_3gpuE2ELNS1_3repE0EEENS1_30default_config_static_selectorELNS0_4arch9wavefront6targetE1EEEvT1_
; %bb.0:
	.section	.rodata,"a",@progbits
	.p2align	6, 0x0
	.amdhsa_kernel _ZN7rocprim17ROCPRIM_400000_NS6detail17trampoline_kernelINS0_14default_configENS1_35adjacent_difference_config_selectorILb0EaEEZNS1_24adjacent_difference_implIS3_Lb0ELb0EPKaPaN6thrust23THRUST_200600_302600_NS4plusIaEEEE10hipError_tPvRmT2_T3_mT4_P12ihipStream_tbEUlT_E_NS1_11comp_targetILNS1_3genE8ELNS1_11target_archE1030ELNS1_3gpuE2ELNS1_3repE0EEENS1_30default_config_static_selectorELNS0_4arch9wavefront6targetE1EEEvT1_
		.amdhsa_group_segment_fixed_size 0
		.amdhsa_private_segment_fixed_size 0
		.amdhsa_kernarg_size 56
		.amdhsa_user_sgpr_count 2
		.amdhsa_user_sgpr_dispatch_ptr 0
		.amdhsa_user_sgpr_queue_ptr 0
		.amdhsa_user_sgpr_kernarg_segment_ptr 1
		.amdhsa_user_sgpr_dispatch_id 0
		.amdhsa_user_sgpr_kernarg_preload_length 0
		.amdhsa_user_sgpr_kernarg_preload_offset 0
		.amdhsa_user_sgpr_private_segment_size 0
		.amdhsa_uses_dynamic_stack 0
		.amdhsa_enable_private_segment 0
		.amdhsa_system_sgpr_workgroup_id_x 1
		.amdhsa_system_sgpr_workgroup_id_y 0
		.amdhsa_system_sgpr_workgroup_id_z 0
		.amdhsa_system_sgpr_workgroup_info 0
		.amdhsa_system_vgpr_workitem_id 0
		.amdhsa_next_free_vgpr 1
		.amdhsa_next_free_sgpr 0
		.amdhsa_accum_offset 4
		.amdhsa_reserve_vcc 0
		.amdhsa_float_round_mode_32 0
		.amdhsa_float_round_mode_16_64 0
		.amdhsa_float_denorm_mode_32 3
		.amdhsa_float_denorm_mode_16_64 3
		.amdhsa_dx10_clamp 1
		.amdhsa_ieee_mode 1
		.amdhsa_fp16_overflow 0
		.amdhsa_tg_split 0
		.amdhsa_exception_fp_ieee_invalid_op 0
		.amdhsa_exception_fp_denorm_src 0
		.amdhsa_exception_fp_ieee_div_zero 0
		.amdhsa_exception_fp_ieee_overflow 0
		.amdhsa_exception_fp_ieee_underflow 0
		.amdhsa_exception_fp_ieee_inexact 0
		.amdhsa_exception_int_div_zero 0
	.end_amdhsa_kernel
	.section	.text._ZN7rocprim17ROCPRIM_400000_NS6detail17trampoline_kernelINS0_14default_configENS1_35adjacent_difference_config_selectorILb0EaEEZNS1_24adjacent_difference_implIS3_Lb0ELb0EPKaPaN6thrust23THRUST_200600_302600_NS4plusIaEEEE10hipError_tPvRmT2_T3_mT4_P12ihipStream_tbEUlT_E_NS1_11comp_targetILNS1_3genE8ELNS1_11target_archE1030ELNS1_3gpuE2ELNS1_3repE0EEENS1_30default_config_static_selectorELNS0_4arch9wavefront6targetE1EEEvT1_,"axG",@progbits,_ZN7rocprim17ROCPRIM_400000_NS6detail17trampoline_kernelINS0_14default_configENS1_35adjacent_difference_config_selectorILb0EaEEZNS1_24adjacent_difference_implIS3_Lb0ELb0EPKaPaN6thrust23THRUST_200600_302600_NS4plusIaEEEE10hipError_tPvRmT2_T3_mT4_P12ihipStream_tbEUlT_E_NS1_11comp_targetILNS1_3genE8ELNS1_11target_archE1030ELNS1_3gpuE2ELNS1_3repE0EEENS1_30default_config_static_selectorELNS0_4arch9wavefront6targetE1EEEvT1_,comdat
.Lfunc_end473:
	.size	_ZN7rocprim17ROCPRIM_400000_NS6detail17trampoline_kernelINS0_14default_configENS1_35adjacent_difference_config_selectorILb0EaEEZNS1_24adjacent_difference_implIS3_Lb0ELb0EPKaPaN6thrust23THRUST_200600_302600_NS4plusIaEEEE10hipError_tPvRmT2_T3_mT4_P12ihipStream_tbEUlT_E_NS1_11comp_targetILNS1_3genE8ELNS1_11target_archE1030ELNS1_3gpuE2ELNS1_3repE0EEENS1_30default_config_static_selectorELNS0_4arch9wavefront6targetE1EEEvT1_, .Lfunc_end473-_ZN7rocprim17ROCPRIM_400000_NS6detail17trampoline_kernelINS0_14default_configENS1_35adjacent_difference_config_selectorILb0EaEEZNS1_24adjacent_difference_implIS3_Lb0ELb0EPKaPaN6thrust23THRUST_200600_302600_NS4plusIaEEEE10hipError_tPvRmT2_T3_mT4_P12ihipStream_tbEUlT_E_NS1_11comp_targetILNS1_3genE8ELNS1_11target_archE1030ELNS1_3gpuE2ELNS1_3repE0EEENS1_30default_config_static_selectorELNS0_4arch9wavefront6targetE1EEEvT1_
                                        ; -- End function
	.section	.AMDGPU.csdata,"",@progbits
; Kernel info:
; codeLenInByte = 0
; NumSgprs: 6
; NumVgprs: 0
; NumAgprs: 0
; TotalNumVgprs: 0
; ScratchSize: 0
; MemoryBound: 0
; FloatMode: 240
; IeeeMode: 1
; LDSByteSize: 0 bytes/workgroup (compile time only)
; SGPRBlocks: 0
; VGPRBlocks: 0
; NumSGPRsForWavesPerEU: 6
; NumVGPRsForWavesPerEU: 1
; AccumOffset: 4
; Occupancy: 8
; WaveLimiterHint : 0
; COMPUTE_PGM_RSRC2:SCRATCH_EN: 0
; COMPUTE_PGM_RSRC2:USER_SGPR: 2
; COMPUTE_PGM_RSRC2:TRAP_HANDLER: 0
; COMPUTE_PGM_RSRC2:TGID_X_EN: 1
; COMPUTE_PGM_RSRC2:TGID_Y_EN: 0
; COMPUTE_PGM_RSRC2:TGID_Z_EN: 0
; COMPUTE_PGM_RSRC2:TIDIG_COMP_CNT: 0
; COMPUTE_PGM_RSRC3_GFX90A:ACCUM_OFFSET: 0
; COMPUTE_PGM_RSRC3_GFX90A:TG_SPLIT: 0
	.section	.text._ZN7rocprim17ROCPRIM_400000_NS6detail17trampoline_kernelINS0_14default_configENS1_25transform_config_selectorIaLb0EEEZNS1_14transform_implILb0ES3_S5_NS0_18transform_iteratorINS0_17counting_iteratorImlEEZNS1_24adjacent_difference_implIS3_Lb1ELb0EPKaPaN6thrust23THRUST_200600_302600_NS4plusIaEEEE10hipError_tPvRmT2_T3_mT4_P12ihipStream_tbEUlmE_aEESD_NS0_8identityIvEEEESI_SL_SM_mSN_SP_bEUlT_E_NS1_11comp_targetILNS1_3genE0ELNS1_11target_archE4294967295ELNS1_3gpuE0ELNS1_3repE0EEENS1_30default_config_static_selectorELNS0_4arch9wavefront6targetE1EEEvT1_,"axG",@progbits,_ZN7rocprim17ROCPRIM_400000_NS6detail17trampoline_kernelINS0_14default_configENS1_25transform_config_selectorIaLb0EEEZNS1_14transform_implILb0ES3_S5_NS0_18transform_iteratorINS0_17counting_iteratorImlEEZNS1_24adjacent_difference_implIS3_Lb1ELb0EPKaPaN6thrust23THRUST_200600_302600_NS4plusIaEEEE10hipError_tPvRmT2_T3_mT4_P12ihipStream_tbEUlmE_aEESD_NS0_8identityIvEEEESI_SL_SM_mSN_SP_bEUlT_E_NS1_11comp_targetILNS1_3genE0ELNS1_11target_archE4294967295ELNS1_3gpuE0ELNS1_3repE0EEENS1_30default_config_static_selectorELNS0_4arch9wavefront6targetE1EEEvT1_,comdat
	.protected	_ZN7rocprim17ROCPRIM_400000_NS6detail17trampoline_kernelINS0_14default_configENS1_25transform_config_selectorIaLb0EEEZNS1_14transform_implILb0ES3_S5_NS0_18transform_iteratorINS0_17counting_iteratorImlEEZNS1_24adjacent_difference_implIS3_Lb1ELb0EPKaPaN6thrust23THRUST_200600_302600_NS4plusIaEEEE10hipError_tPvRmT2_T3_mT4_P12ihipStream_tbEUlmE_aEESD_NS0_8identityIvEEEESI_SL_SM_mSN_SP_bEUlT_E_NS1_11comp_targetILNS1_3genE0ELNS1_11target_archE4294967295ELNS1_3gpuE0ELNS1_3repE0EEENS1_30default_config_static_selectorELNS0_4arch9wavefront6targetE1EEEvT1_ ; -- Begin function _ZN7rocprim17ROCPRIM_400000_NS6detail17trampoline_kernelINS0_14default_configENS1_25transform_config_selectorIaLb0EEEZNS1_14transform_implILb0ES3_S5_NS0_18transform_iteratorINS0_17counting_iteratorImlEEZNS1_24adjacent_difference_implIS3_Lb1ELb0EPKaPaN6thrust23THRUST_200600_302600_NS4plusIaEEEE10hipError_tPvRmT2_T3_mT4_P12ihipStream_tbEUlmE_aEESD_NS0_8identityIvEEEESI_SL_SM_mSN_SP_bEUlT_E_NS1_11comp_targetILNS1_3genE0ELNS1_11target_archE4294967295ELNS1_3gpuE0ELNS1_3repE0EEENS1_30default_config_static_selectorELNS0_4arch9wavefront6targetE1EEEvT1_
	.globl	_ZN7rocprim17ROCPRIM_400000_NS6detail17trampoline_kernelINS0_14default_configENS1_25transform_config_selectorIaLb0EEEZNS1_14transform_implILb0ES3_S5_NS0_18transform_iteratorINS0_17counting_iteratorImlEEZNS1_24adjacent_difference_implIS3_Lb1ELb0EPKaPaN6thrust23THRUST_200600_302600_NS4plusIaEEEE10hipError_tPvRmT2_T3_mT4_P12ihipStream_tbEUlmE_aEESD_NS0_8identityIvEEEESI_SL_SM_mSN_SP_bEUlT_E_NS1_11comp_targetILNS1_3genE0ELNS1_11target_archE4294967295ELNS1_3gpuE0ELNS1_3repE0EEENS1_30default_config_static_selectorELNS0_4arch9wavefront6targetE1EEEvT1_
	.p2align	8
	.type	_ZN7rocprim17ROCPRIM_400000_NS6detail17trampoline_kernelINS0_14default_configENS1_25transform_config_selectorIaLb0EEEZNS1_14transform_implILb0ES3_S5_NS0_18transform_iteratorINS0_17counting_iteratorImlEEZNS1_24adjacent_difference_implIS3_Lb1ELb0EPKaPaN6thrust23THRUST_200600_302600_NS4plusIaEEEE10hipError_tPvRmT2_T3_mT4_P12ihipStream_tbEUlmE_aEESD_NS0_8identityIvEEEESI_SL_SM_mSN_SP_bEUlT_E_NS1_11comp_targetILNS1_3genE0ELNS1_11target_archE4294967295ELNS1_3gpuE0ELNS1_3repE0EEENS1_30default_config_static_selectorELNS0_4arch9wavefront6targetE1EEEvT1_,@function
_ZN7rocprim17ROCPRIM_400000_NS6detail17trampoline_kernelINS0_14default_configENS1_25transform_config_selectorIaLb0EEEZNS1_14transform_implILb0ES3_S5_NS0_18transform_iteratorINS0_17counting_iteratorImlEEZNS1_24adjacent_difference_implIS3_Lb1ELb0EPKaPaN6thrust23THRUST_200600_302600_NS4plusIaEEEE10hipError_tPvRmT2_T3_mT4_P12ihipStream_tbEUlmE_aEESD_NS0_8identityIvEEEESI_SL_SM_mSN_SP_bEUlT_E_NS1_11comp_targetILNS1_3genE0ELNS1_11target_archE4294967295ELNS1_3gpuE0ELNS1_3repE0EEENS1_30default_config_static_selectorELNS0_4arch9wavefront6targetE1EEEvT1_: ; @_ZN7rocprim17ROCPRIM_400000_NS6detail17trampoline_kernelINS0_14default_configENS1_25transform_config_selectorIaLb0EEEZNS1_14transform_implILb0ES3_S5_NS0_18transform_iteratorINS0_17counting_iteratorImlEEZNS1_24adjacent_difference_implIS3_Lb1ELb0EPKaPaN6thrust23THRUST_200600_302600_NS4plusIaEEEE10hipError_tPvRmT2_T3_mT4_P12ihipStream_tbEUlmE_aEESD_NS0_8identityIvEEEESI_SL_SM_mSN_SP_bEUlT_E_NS1_11comp_targetILNS1_3genE0ELNS1_11target_archE4294967295ELNS1_3gpuE0ELNS1_3repE0EEENS1_30default_config_static_selectorELNS0_4arch9wavefront6targetE1EEEvT1_
; %bb.0:
	.section	.rodata,"a",@progbits
	.p2align	6, 0x0
	.amdhsa_kernel _ZN7rocprim17ROCPRIM_400000_NS6detail17trampoline_kernelINS0_14default_configENS1_25transform_config_selectorIaLb0EEEZNS1_14transform_implILb0ES3_S5_NS0_18transform_iteratorINS0_17counting_iteratorImlEEZNS1_24adjacent_difference_implIS3_Lb1ELb0EPKaPaN6thrust23THRUST_200600_302600_NS4plusIaEEEE10hipError_tPvRmT2_T3_mT4_P12ihipStream_tbEUlmE_aEESD_NS0_8identityIvEEEESI_SL_SM_mSN_SP_bEUlT_E_NS1_11comp_targetILNS1_3genE0ELNS1_11target_archE4294967295ELNS1_3gpuE0ELNS1_3repE0EEENS1_30default_config_static_selectorELNS0_4arch9wavefront6targetE1EEEvT1_
		.amdhsa_group_segment_fixed_size 0
		.amdhsa_private_segment_fixed_size 0
		.amdhsa_kernarg_size 56
		.amdhsa_user_sgpr_count 2
		.amdhsa_user_sgpr_dispatch_ptr 0
		.amdhsa_user_sgpr_queue_ptr 0
		.amdhsa_user_sgpr_kernarg_segment_ptr 1
		.amdhsa_user_sgpr_dispatch_id 0
		.amdhsa_user_sgpr_kernarg_preload_length 0
		.amdhsa_user_sgpr_kernarg_preload_offset 0
		.amdhsa_user_sgpr_private_segment_size 0
		.amdhsa_uses_dynamic_stack 0
		.amdhsa_enable_private_segment 0
		.amdhsa_system_sgpr_workgroup_id_x 1
		.amdhsa_system_sgpr_workgroup_id_y 0
		.amdhsa_system_sgpr_workgroup_id_z 0
		.amdhsa_system_sgpr_workgroup_info 0
		.amdhsa_system_vgpr_workitem_id 0
		.amdhsa_next_free_vgpr 1
		.amdhsa_next_free_sgpr 0
		.amdhsa_accum_offset 4
		.amdhsa_reserve_vcc 0
		.amdhsa_float_round_mode_32 0
		.amdhsa_float_round_mode_16_64 0
		.amdhsa_float_denorm_mode_32 3
		.amdhsa_float_denorm_mode_16_64 3
		.amdhsa_dx10_clamp 1
		.amdhsa_ieee_mode 1
		.amdhsa_fp16_overflow 0
		.amdhsa_tg_split 0
		.amdhsa_exception_fp_ieee_invalid_op 0
		.amdhsa_exception_fp_denorm_src 0
		.amdhsa_exception_fp_ieee_div_zero 0
		.amdhsa_exception_fp_ieee_overflow 0
		.amdhsa_exception_fp_ieee_underflow 0
		.amdhsa_exception_fp_ieee_inexact 0
		.amdhsa_exception_int_div_zero 0
	.end_amdhsa_kernel
	.section	.text._ZN7rocprim17ROCPRIM_400000_NS6detail17trampoline_kernelINS0_14default_configENS1_25transform_config_selectorIaLb0EEEZNS1_14transform_implILb0ES3_S5_NS0_18transform_iteratorINS0_17counting_iteratorImlEEZNS1_24adjacent_difference_implIS3_Lb1ELb0EPKaPaN6thrust23THRUST_200600_302600_NS4plusIaEEEE10hipError_tPvRmT2_T3_mT4_P12ihipStream_tbEUlmE_aEESD_NS0_8identityIvEEEESI_SL_SM_mSN_SP_bEUlT_E_NS1_11comp_targetILNS1_3genE0ELNS1_11target_archE4294967295ELNS1_3gpuE0ELNS1_3repE0EEENS1_30default_config_static_selectorELNS0_4arch9wavefront6targetE1EEEvT1_,"axG",@progbits,_ZN7rocprim17ROCPRIM_400000_NS6detail17trampoline_kernelINS0_14default_configENS1_25transform_config_selectorIaLb0EEEZNS1_14transform_implILb0ES3_S5_NS0_18transform_iteratorINS0_17counting_iteratorImlEEZNS1_24adjacent_difference_implIS3_Lb1ELb0EPKaPaN6thrust23THRUST_200600_302600_NS4plusIaEEEE10hipError_tPvRmT2_T3_mT4_P12ihipStream_tbEUlmE_aEESD_NS0_8identityIvEEEESI_SL_SM_mSN_SP_bEUlT_E_NS1_11comp_targetILNS1_3genE0ELNS1_11target_archE4294967295ELNS1_3gpuE0ELNS1_3repE0EEENS1_30default_config_static_selectorELNS0_4arch9wavefront6targetE1EEEvT1_,comdat
.Lfunc_end474:
	.size	_ZN7rocprim17ROCPRIM_400000_NS6detail17trampoline_kernelINS0_14default_configENS1_25transform_config_selectorIaLb0EEEZNS1_14transform_implILb0ES3_S5_NS0_18transform_iteratorINS0_17counting_iteratorImlEEZNS1_24adjacent_difference_implIS3_Lb1ELb0EPKaPaN6thrust23THRUST_200600_302600_NS4plusIaEEEE10hipError_tPvRmT2_T3_mT4_P12ihipStream_tbEUlmE_aEESD_NS0_8identityIvEEEESI_SL_SM_mSN_SP_bEUlT_E_NS1_11comp_targetILNS1_3genE0ELNS1_11target_archE4294967295ELNS1_3gpuE0ELNS1_3repE0EEENS1_30default_config_static_selectorELNS0_4arch9wavefront6targetE1EEEvT1_, .Lfunc_end474-_ZN7rocprim17ROCPRIM_400000_NS6detail17trampoline_kernelINS0_14default_configENS1_25transform_config_selectorIaLb0EEEZNS1_14transform_implILb0ES3_S5_NS0_18transform_iteratorINS0_17counting_iteratorImlEEZNS1_24adjacent_difference_implIS3_Lb1ELb0EPKaPaN6thrust23THRUST_200600_302600_NS4plusIaEEEE10hipError_tPvRmT2_T3_mT4_P12ihipStream_tbEUlmE_aEESD_NS0_8identityIvEEEESI_SL_SM_mSN_SP_bEUlT_E_NS1_11comp_targetILNS1_3genE0ELNS1_11target_archE4294967295ELNS1_3gpuE0ELNS1_3repE0EEENS1_30default_config_static_selectorELNS0_4arch9wavefront6targetE1EEEvT1_
                                        ; -- End function
	.section	.AMDGPU.csdata,"",@progbits
; Kernel info:
; codeLenInByte = 0
; NumSgprs: 6
; NumVgprs: 0
; NumAgprs: 0
; TotalNumVgprs: 0
; ScratchSize: 0
; MemoryBound: 0
; FloatMode: 240
; IeeeMode: 1
; LDSByteSize: 0 bytes/workgroup (compile time only)
; SGPRBlocks: 0
; VGPRBlocks: 0
; NumSGPRsForWavesPerEU: 6
; NumVGPRsForWavesPerEU: 1
; AccumOffset: 4
; Occupancy: 8
; WaveLimiterHint : 0
; COMPUTE_PGM_RSRC2:SCRATCH_EN: 0
; COMPUTE_PGM_RSRC2:USER_SGPR: 2
; COMPUTE_PGM_RSRC2:TRAP_HANDLER: 0
; COMPUTE_PGM_RSRC2:TGID_X_EN: 1
; COMPUTE_PGM_RSRC2:TGID_Y_EN: 0
; COMPUTE_PGM_RSRC2:TGID_Z_EN: 0
; COMPUTE_PGM_RSRC2:TIDIG_COMP_CNT: 0
; COMPUTE_PGM_RSRC3_GFX90A:ACCUM_OFFSET: 0
; COMPUTE_PGM_RSRC3_GFX90A:TG_SPLIT: 0
	.section	.text._ZN7rocprim17ROCPRIM_400000_NS6detail17trampoline_kernelINS0_14default_configENS1_25transform_config_selectorIaLb0EEEZNS1_14transform_implILb0ES3_S5_NS0_18transform_iteratorINS0_17counting_iteratorImlEEZNS1_24adjacent_difference_implIS3_Lb1ELb0EPKaPaN6thrust23THRUST_200600_302600_NS4plusIaEEEE10hipError_tPvRmT2_T3_mT4_P12ihipStream_tbEUlmE_aEESD_NS0_8identityIvEEEESI_SL_SM_mSN_SP_bEUlT_E_NS1_11comp_targetILNS1_3genE5ELNS1_11target_archE942ELNS1_3gpuE9ELNS1_3repE0EEENS1_30default_config_static_selectorELNS0_4arch9wavefront6targetE1EEEvT1_,"axG",@progbits,_ZN7rocprim17ROCPRIM_400000_NS6detail17trampoline_kernelINS0_14default_configENS1_25transform_config_selectorIaLb0EEEZNS1_14transform_implILb0ES3_S5_NS0_18transform_iteratorINS0_17counting_iteratorImlEEZNS1_24adjacent_difference_implIS3_Lb1ELb0EPKaPaN6thrust23THRUST_200600_302600_NS4plusIaEEEE10hipError_tPvRmT2_T3_mT4_P12ihipStream_tbEUlmE_aEESD_NS0_8identityIvEEEESI_SL_SM_mSN_SP_bEUlT_E_NS1_11comp_targetILNS1_3genE5ELNS1_11target_archE942ELNS1_3gpuE9ELNS1_3repE0EEENS1_30default_config_static_selectorELNS0_4arch9wavefront6targetE1EEEvT1_,comdat
	.protected	_ZN7rocprim17ROCPRIM_400000_NS6detail17trampoline_kernelINS0_14default_configENS1_25transform_config_selectorIaLb0EEEZNS1_14transform_implILb0ES3_S5_NS0_18transform_iteratorINS0_17counting_iteratorImlEEZNS1_24adjacent_difference_implIS3_Lb1ELb0EPKaPaN6thrust23THRUST_200600_302600_NS4plusIaEEEE10hipError_tPvRmT2_T3_mT4_P12ihipStream_tbEUlmE_aEESD_NS0_8identityIvEEEESI_SL_SM_mSN_SP_bEUlT_E_NS1_11comp_targetILNS1_3genE5ELNS1_11target_archE942ELNS1_3gpuE9ELNS1_3repE0EEENS1_30default_config_static_selectorELNS0_4arch9wavefront6targetE1EEEvT1_ ; -- Begin function _ZN7rocprim17ROCPRIM_400000_NS6detail17trampoline_kernelINS0_14default_configENS1_25transform_config_selectorIaLb0EEEZNS1_14transform_implILb0ES3_S5_NS0_18transform_iteratorINS0_17counting_iteratorImlEEZNS1_24adjacent_difference_implIS3_Lb1ELb0EPKaPaN6thrust23THRUST_200600_302600_NS4plusIaEEEE10hipError_tPvRmT2_T3_mT4_P12ihipStream_tbEUlmE_aEESD_NS0_8identityIvEEEESI_SL_SM_mSN_SP_bEUlT_E_NS1_11comp_targetILNS1_3genE5ELNS1_11target_archE942ELNS1_3gpuE9ELNS1_3repE0EEENS1_30default_config_static_selectorELNS0_4arch9wavefront6targetE1EEEvT1_
	.globl	_ZN7rocprim17ROCPRIM_400000_NS6detail17trampoline_kernelINS0_14default_configENS1_25transform_config_selectorIaLb0EEEZNS1_14transform_implILb0ES3_S5_NS0_18transform_iteratorINS0_17counting_iteratorImlEEZNS1_24adjacent_difference_implIS3_Lb1ELb0EPKaPaN6thrust23THRUST_200600_302600_NS4plusIaEEEE10hipError_tPvRmT2_T3_mT4_P12ihipStream_tbEUlmE_aEESD_NS0_8identityIvEEEESI_SL_SM_mSN_SP_bEUlT_E_NS1_11comp_targetILNS1_3genE5ELNS1_11target_archE942ELNS1_3gpuE9ELNS1_3repE0EEENS1_30default_config_static_selectorELNS0_4arch9wavefront6targetE1EEEvT1_
	.p2align	8
	.type	_ZN7rocprim17ROCPRIM_400000_NS6detail17trampoline_kernelINS0_14default_configENS1_25transform_config_selectorIaLb0EEEZNS1_14transform_implILb0ES3_S5_NS0_18transform_iteratorINS0_17counting_iteratorImlEEZNS1_24adjacent_difference_implIS3_Lb1ELb0EPKaPaN6thrust23THRUST_200600_302600_NS4plusIaEEEE10hipError_tPvRmT2_T3_mT4_P12ihipStream_tbEUlmE_aEESD_NS0_8identityIvEEEESI_SL_SM_mSN_SP_bEUlT_E_NS1_11comp_targetILNS1_3genE5ELNS1_11target_archE942ELNS1_3gpuE9ELNS1_3repE0EEENS1_30default_config_static_selectorELNS0_4arch9wavefront6targetE1EEEvT1_,@function
_ZN7rocprim17ROCPRIM_400000_NS6detail17trampoline_kernelINS0_14default_configENS1_25transform_config_selectorIaLb0EEEZNS1_14transform_implILb0ES3_S5_NS0_18transform_iteratorINS0_17counting_iteratorImlEEZNS1_24adjacent_difference_implIS3_Lb1ELb0EPKaPaN6thrust23THRUST_200600_302600_NS4plusIaEEEE10hipError_tPvRmT2_T3_mT4_P12ihipStream_tbEUlmE_aEESD_NS0_8identityIvEEEESI_SL_SM_mSN_SP_bEUlT_E_NS1_11comp_targetILNS1_3genE5ELNS1_11target_archE942ELNS1_3gpuE9ELNS1_3repE0EEENS1_30default_config_static_selectorELNS0_4arch9wavefront6targetE1EEEvT1_: ; @_ZN7rocprim17ROCPRIM_400000_NS6detail17trampoline_kernelINS0_14default_configENS1_25transform_config_selectorIaLb0EEEZNS1_14transform_implILb0ES3_S5_NS0_18transform_iteratorINS0_17counting_iteratorImlEEZNS1_24adjacent_difference_implIS3_Lb1ELb0EPKaPaN6thrust23THRUST_200600_302600_NS4plusIaEEEE10hipError_tPvRmT2_T3_mT4_P12ihipStream_tbEUlmE_aEESD_NS0_8identityIvEEEESI_SL_SM_mSN_SP_bEUlT_E_NS1_11comp_targetILNS1_3genE5ELNS1_11target_archE942ELNS1_3gpuE9ELNS1_3repE0EEENS1_30default_config_static_selectorELNS0_4arch9wavefront6targetE1EEEvT1_
; %bb.0:
	s_load_dwordx4 s[4:7], s[0:1], 0x18
	s_load_dwordx2 s[8:9], s[0:1], 0x28
	s_load_dword s3, s[0:1], 0x38
	s_load_dwordx4 s[12:15], s[0:1], 0x0
	s_load_dword s18, s[0:1], 0x10
	s_mov_b32 s19, 0
	s_waitcnt lgkmcnt(0)
	s_add_u32 s24, s8, s4
	s_addc_u32 s25, s9, s5
	s_lshl_b32 s26, s2, 13
	s_add_i32 s3, s3, -1
	s_add_u32 s0, s12, s26
	s_addc_u32 s1, s13, 0
	s_add_u32 s20, s0, s4
	s_addc_u32 s21, s1, s5
	s_cmp_lg_u32 s2, s3
	s_cbranch_scc0 .LBB475_2
; %bb.1:
	v_mov_b32_e32 v1, 0
	v_lshl_add_u64 v[2:3], s[20:21], 0, v[0:1]
	v_mov_b64_e32 v[4:5], s[14:15]
	v_mad_u64_u32 v[4:5], s[0:1], v2, s18, v[4:5]
	v_mov_b32_e32 v2, v5
	v_mad_u64_u32 v[2:3], s[0:1], v3, s18, v[2:3]
	v_mov_b32_e32 v5, v2
	s_lshl_b64 s[0:1], s[18:19], 10
	v_lshl_add_u64 v[2:3], v[4:5], 0, s[0:1]
	global_load_ubyte v10, v[4:5], off
	v_lshl_add_u64 v[4:5], v[2:3], 0, s[0:1]
	v_lshl_add_u64 v[6:7], v[4:5], 0, s[0:1]
	;; [unrolled: 1-line block ×3, first 2 shown]
	global_load_ubyte v11, v[2:3], off
	global_load_ubyte v12, v[4:5], off
	global_load_ubyte v13, v[6:7], off
	global_load_ubyte v14, v[8:9], off
	v_lshl_add_u64 v[2:3], v[8:9], 0, s[0:1]
	global_load_ubyte v4, v[2:3], off
	v_lshl_add_u64 v[2:3], v[2:3], 0, s[0:1]
	global_load_ubyte v8, v[2:3], off
	;; [unrolled: 2-line block ×3, first 2 shown]
	s_add_u32 s2, s24, s26
	s_addc_u32 s3, s25, 0
	v_lshl_add_u64 v[2:3], s[2:3], 0, v[0:1]
	v_add_co_u32_e32 v6, vcc, 0x1000, v2
	s_nop 1
	v_addc_co_u32_e32 v7, vcc, 0, v3, vcc
	s_mov_b64 s[16:17], -1
	s_waitcnt vmcnt(7)
	global_store_byte v0, v10, s[2:3]
	s_waitcnt vmcnt(7)
	global_store_byte v0, v11, s[2:3] offset:1024
	s_waitcnt vmcnt(7)
	global_store_byte v0, v12, s[2:3] offset:2048
	;; [unrolled: 2-line block ×3, first 2 shown]
	s_waitcnt vmcnt(7)
	global_store_byte v[6:7], v14, off
	s_waitcnt vmcnt(7)
	global_store_byte v[6:7], v4, off offset:1024
	s_waitcnt vmcnt(7)
	global_store_byte v[6:7], v8, off offset:2048
	s_cbranch_execz .LBB475_3
	s_branch .LBB475_36
.LBB475_2:
	s_mov_b64 s[16:17], 0
                                        ; implicit-def: $vgpr5
                                        ; implicit-def: $vgpr2_vgpr3
.LBB475_3:
	s_sub_i32 s19, s6, s26
	v_cmp_gt_u32_e32 vcc, s19, v0
                                        ; implicit-def: $vgpr1
	s_and_saveexec_b64 s[0:1], vcc
	s_cbranch_execz .LBB475_5
; %bb.4:
	v_mov_b32_e32 v1, 0
	v_lshl_add_u64 v[2:3], s[20:21], 0, v[0:1]
	s_waitcnt vmcnt(7)
	v_mov_b64_e32 v[4:5], s[14:15]
	v_mad_u64_u32 v[4:5], s[2:3], v2, s18, v[4:5]
	v_mov_b32_e32 v2, v5
	v_mad_u64_u32 v[2:3], s[2:3], v3, s18, v[2:3]
	v_mov_b32_e32 v5, v2
	global_load_ubyte v1, v[4:5], off
.LBB475_5:
	s_or_b64 exec, exec, s[0:1]
	v_or_b32_e32 v2, 0x400, v0
	v_cmp_gt_u32_e64 s[0:1], s19, v2
                                        ; implicit-def: $vgpr4
	s_and_saveexec_b64 s[2:3], s[0:1]
	s_cbranch_execz .LBB475_7
; %bb.6:
	v_mov_b32_e32 v3, 0
	v_lshl_add_u64 v[2:3], s[20:21], 0, v[2:3]
	s_waitcnt vmcnt(7)
	v_mov_b64_e32 v[4:5], s[14:15]
	v_mad_u64_u32 v[4:5], s[4:5], v2, s18, v[4:5]
	v_mov_b32_e32 v2, v5
	v_mad_u64_u32 v[2:3], s[4:5], v3, s18, v[2:3]
	v_mov_b32_e32 v5, v2
	global_load_ubyte v4, v[4:5], off
.LBB475_7:
	s_or_b64 exec, exec, s[2:3]
	v_or_b32_e32 v2, 0x800, v0
	v_cmp_gt_u32_e64 s[2:3], s19, v2
                                        ; implicit-def: $vgpr5
	s_and_saveexec_b64 s[4:5], s[2:3]
	s_cbranch_execz .LBB475_9
; %bb.8:
	v_mov_b32_e32 v3, 0
	v_lshl_add_u64 v[2:3], s[20:21], 0, v[2:3]
	v_mov_b64_e32 v[6:7], s[14:15]
	v_mad_u64_u32 v[6:7], s[6:7], v2, s18, v[6:7]
	v_mov_b32_e32 v2, v7
	v_mad_u64_u32 v[2:3], s[6:7], v3, s18, v[2:3]
	v_mov_b32_e32 v7, v2
	global_load_ubyte v5, v[6:7], off
.LBB475_9:
	s_or_b64 exec, exec, s[4:5]
	v_or_b32_e32 v2, 0xc00, v0
	v_cmp_gt_u32_e64 s[4:5], s19, v2
                                        ; implicit-def: $vgpr6
	s_and_saveexec_b64 s[6:7], s[4:5]
	s_cbranch_execz .LBB475_11
; %bb.10:
	v_mov_b32_e32 v3, 0
	v_lshl_add_u64 v[2:3], s[20:21], 0, v[2:3]
	v_mov_b64_e32 v[6:7], s[14:15]
	v_mad_u64_u32 v[6:7], s[8:9], v2, s18, v[6:7]
	v_mov_b32_e32 v2, v7
	v_mad_u64_u32 v[2:3], s[8:9], v3, s18, v[2:3]
	v_mov_b32_e32 v7, v2
	global_load_ubyte v6, v[6:7], off
.LBB475_11:
	s_or_b64 exec, exec, s[6:7]
	v_or_b32_e32 v2, 0x1000, v0
	v_cmp_gt_u32_e64 s[6:7], s19, v2
                                        ; implicit-def: $vgpr7
	s_and_saveexec_b64 s[8:9], s[6:7]
	s_cbranch_execz .LBB475_13
; %bb.12:
	v_mov_b32_e32 v3, 0
	v_lshl_add_u64 v[2:3], s[20:21], 0, v[2:3]
	v_mov_b64_e32 v[8:9], s[14:15]
	v_mad_u64_u32 v[8:9], s[10:11], v2, s18, v[8:9]
	v_mov_b32_e32 v2, v9
	v_mad_u64_u32 v[2:3], s[10:11], v3, s18, v[2:3]
	v_mov_b32_e32 v9, v2
	global_load_ubyte v7, v[8:9], off
.LBB475_13:
	s_or_b64 exec, exec, s[8:9]
	v_or_b32_e32 v2, 0x1400, v0
	v_cmp_gt_u32_e64 s[8:9], s19, v2
                                        ; implicit-def: $vgpr8
	s_and_saveexec_b64 s[10:11], s[8:9]
	s_cbranch_execz .LBB475_15
; %bb.14:
	v_mov_b32_e32 v3, 0
	v_lshl_add_u64 v[2:3], s[20:21], 0, v[2:3]
	v_mov_b64_e32 v[8:9], s[14:15]
	v_mad_u64_u32 v[8:9], s[12:13], v2, s18, v[8:9]
	v_mov_b32_e32 v2, v9
	v_mad_u64_u32 v[2:3], s[12:13], v3, s18, v[2:3]
	v_mov_b32_e32 v9, v2
	global_load_ubyte v8, v[8:9], off
.LBB475_15:
	s_or_b64 exec, exec, s[10:11]
	v_or_b32_e32 v2, 0x1800, v0
	v_cmp_gt_u32_e64 s[10:11], s19, v2
                                        ; implicit-def: $vgpr9
	s_and_saveexec_b64 s[12:13], s[10:11]
	s_cbranch_execz .LBB475_17
; %bb.16:
	v_mov_b32_e32 v3, 0
	v_lshl_add_u64 v[2:3], s[20:21], 0, v[2:3]
	v_mov_b64_e32 v[10:11], s[14:15]
	v_mad_u64_u32 v[10:11], s[22:23], v2, s18, v[10:11]
	v_mov_b32_e32 v2, v11
	v_mad_u64_u32 v[2:3], s[22:23], v3, s18, v[2:3]
	v_mov_b32_e32 v11, v2
	global_load_ubyte v9, v[10:11], off
.LBB475_17:
	s_or_b64 exec, exec, s[12:13]
	v_or_b32_e32 v2, 0x1c00, v0
	v_cmp_gt_u32_e64 s[12:13], s19, v2
                                        ; implicit-def: $vgpr3
	s_and_saveexec_b64 s[22:23], s[12:13]
	s_cbranch_execz .LBB475_19
; %bb.18:
	v_mov_b32_e32 v3, 0
	v_lshl_add_u64 v[2:3], s[20:21], 0, v[2:3]
	v_mov_b64_e32 v[10:11], s[14:15]
	v_mad_u64_u32 v[10:11], s[14:15], v2, s18, v[10:11]
	v_mov_b32_e32 v2, v11
	v_mad_u64_u32 v[2:3], s[14:15], v3, s18, v[2:3]
	v_mov_b32_e32 v11, v2
	global_load_ubyte v3, v[10:11], off
.LBB475_19:
	s_or_b64 exec, exec, s[22:23]
	s_waitcnt vmcnt(0)
	v_lshlrev_b16_e32 v2, 8, v4
	v_or_b32_sdwa v1, v1, v2 dst_sel:DWORD dst_unused:UNUSED_PAD src0_sel:BYTE_0 src1_sel:DWORD
	v_lshlrev_b16_e32 v2, 8, v6
	v_or_b32_sdwa v2, v5, v2 dst_sel:WORD_1 dst_unused:UNUSED_PAD src0_sel:BYTE_0 src1_sel:DWORD
	s_add_u32 s14, s24, s26
	v_or_b32_sdwa v5, v1, v2 dst_sel:DWORD dst_unused:UNUSED_PAD src0_sel:WORD_0 src1_sel:DWORD
	v_lshlrev_b16_e32 v1, 8, v8
	v_lshlrev_b16_e32 v2, 8, v3
	v_or_b32_sdwa v1, v7, v1 dst_sel:DWORD dst_unused:UNUSED_PAD src0_sel:BYTE_0 src1_sel:DWORD
	v_or_b32_sdwa v2, v9, v2 dst_sel:WORD_1 dst_unused:UNUSED_PAD src0_sel:BYTE_0 src1_sel:DWORD
	s_addc_u32 s15, s25, 0
	v_or_b32_sdwa v4, v1, v2 dst_sel:DWORD dst_unused:UNUSED_PAD src0_sel:WORD_0 src1_sel:DWORD
	v_mov_b32_e32 v1, 0
	v_lshl_add_u64 v[2:3], s[14:15], 0, v[0:1]
	s_and_saveexec_b64 s[14:15], vcc
	s_cbranch_execz .LBB475_21
; %bb.20:
	global_store_byte v[2:3], v5, off
.LBB475_21:
	s_or_b64 exec, exec, s[14:15]
	s_and_saveexec_b64 s[14:15], s[0:1]
	s_cbranch_execz .LBB475_23
; %bb.22:
	v_lshrrev_b32_e32 v0, 8, v5
	global_store_byte v[2:3], v0, off offset:1024
.LBB475_23:
	s_or_b64 exec, exec, s[14:15]
	s_mov_b32 s0, 0x7060104
	v_perm_b32 v0, v5, v5, s0
	s_movk_i32 s15, 0xff
	s_mov_b32 s14, 0xffff
	v_cndmask_b32_e64 v1, v0, v5, s[2:3]
	s_and_saveexec_b64 s[0:1], s[2:3]
	s_cbranch_execz .LBB475_25
; %bb.24:
	global_store_byte_d16_hi v[2:3], v1, off offset:2048
.LBB475_25:
	s_or_b64 exec, exec, s[0:1]
	s_movk_i32 s0, 0xff00
	v_and_b32_sdwa v6, v0, s0 dst_sel:DWORD dst_unused:UNUSED_PAD src0_sel:WORD_1 src1_sel:DWORD
	v_and_b32_sdwa v1, v1, s15 dst_sel:DWORD dst_unused:UNUSED_PAD src0_sel:WORD_1 src1_sel:DWORD
	v_or_b32_sdwa v1, v1, v6 dst_sel:WORD_1 dst_unused:UNUSED_PAD src0_sel:DWORD src1_sel:DWORD
	s_nop 0
	v_and_or_b32 v0, v0, s14, v1
	v_cndmask_b32_e64 v0, v0, v5, s[4:5]
	s_and_saveexec_b64 s[0:1], s[4:5]
	s_cbranch_execz .LBB475_27
; %bb.26:
	v_lshrrev_b32_e32 v0, 24, v0
	global_store_byte v[2:3], v0, off offset:3072
.LBB475_27:
	s_or_b64 exec, exec, s[0:1]
	s_and_saveexec_b64 s[0:1], s[6:7]
	s_cbranch_execz .LBB475_29
; %bb.28:
	v_add_co_u32_e32 v0, vcc, 0x1000, v2
	s_nop 1
	v_addc_co_u32_e32 v1, vcc, 0, v3, vcc
	global_store_byte v[0:1], v4, off
.LBB475_29:
	s_or_b64 exec, exec, s[0:1]
	s_mov_b32 s0, 0x3020104
	v_perm_b32 v1, v4, v4, s0
	v_cndmask_b32_e64 v0, v1, v4, s[8:9]
	s_and_saveexec_b64 s[0:1], s[8:9]
	s_cbranch_execz .LBB475_31
; %bb.30:
	v_add_co_u32_e32 v6, vcc, 0x1000, v2
	v_lshrrev_b32_e32 v5, 8, v0
	s_nop 0
	v_addc_co_u32_e32 v7, vcc, 0, v3, vcc
	global_store_byte v[6:7], v5, off offset:1024
.LBB475_31:
	s_or_b64 exec, exec, s[0:1]
	s_mov_b32 s0, 0x7060104
	v_perm_b32 v0, v1, v0, s0
	s_and_saveexec_b64 s[0:1], s[10:11]
	s_cbranch_execz .LBB475_33
; %bb.32:
	v_add_co_u32_e32 v6, vcc, 0x1000, v2
	v_cndmask_b32_e64 v1, v0, v4, s[10:11]
	s_nop 0
	v_addc_co_u32_e32 v7, vcc, 0, v3, vcc
	global_store_byte_d16_hi v[6:7], v1, off offset:2048
.LBB475_33:
	s_or_b64 exec, exec, s[0:1]
                                        ; implicit-def: $vgpr5
	s_and_saveexec_b64 s[0:1], s[12:13]
; %bb.34:
	v_cndmask_b32_e64 v0, v0, v4, s[12:13]
	v_lshrrev_b32_e32 v5, 24, v0
	s_or_b64 s[16:17], s[16:17], exec
; %bb.35:
	s_or_b64 exec, exec, s[0:1]
.LBB475_36:
	s_and_saveexec_b64 s[0:1], s[16:17]
	s_cbranch_execnz .LBB475_38
; %bb.37:
	s_endpgm
.LBB475_38:
	v_add_co_u32_e32 v0, vcc, 0x1000, v2
	s_nop 1
	v_addc_co_u32_e32 v1, vcc, 0, v3, vcc
	s_waitcnt vmcnt(7)
	global_store_byte v[0:1], v5, off offset:3072
	s_endpgm
	.section	.rodata,"a",@progbits
	.p2align	6, 0x0
	.amdhsa_kernel _ZN7rocprim17ROCPRIM_400000_NS6detail17trampoline_kernelINS0_14default_configENS1_25transform_config_selectorIaLb0EEEZNS1_14transform_implILb0ES3_S5_NS0_18transform_iteratorINS0_17counting_iteratorImlEEZNS1_24adjacent_difference_implIS3_Lb1ELb0EPKaPaN6thrust23THRUST_200600_302600_NS4plusIaEEEE10hipError_tPvRmT2_T3_mT4_P12ihipStream_tbEUlmE_aEESD_NS0_8identityIvEEEESI_SL_SM_mSN_SP_bEUlT_E_NS1_11comp_targetILNS1_3genE5ELNS1_11target_archE942ELNS1_3gpuE9ELNS1_3repE0EEENS1_30default_config_static_selectorELNS0_4arch9wavefront6targetE1EEEvT1_
		.amdhsa_group_segment_fixed_size 0
		.amdhsa_private_segment_fixed_size 0
		.amdhsa_kernarg_size 312
		.amdhsa_user_sgpr_count 2
		.amdhsa_user_sgpr_dispatch_ptr 0
		.amdhsa_user_sgpr_queue_ptr 0
		.amdhsa_user_sgpr_kernarg_segment_ptr 1
		.amdhsa_user_sgpr_dispatch_id 0
		.amdhsa_user_sgpr_kernarg_preload_length 0
		.amdhsa_user_sgpr_kernarg_preload_offset 0
		.amdhsa_user_sgpr_private_segment_size 0
		.amdhsa_uses_dynamic_stack 0
		.amdhsa_enable_private_segment 0
		.amdhsa_system_sgpr_workgroup_id_x 1
		.amdhsa_system_sgpr_workgroup_id_y 0
		.amdhsa_system_sgpr_workgroup_id_z 0
		.amdhsa_system_sgpr_workgroup_info 0
		.amdhsa_system_vgpr_workitem_id 0
		.amdhsa_next_free_vgpr 15
		.amdhsa_next_free_sgpr 27
		.amdhsa_accum_offset 16
		.amdhsa_reserve_vcc 1
		.amdhsa_float_round_mode_32 0
		.amdhsa_float_round_mode_16_64 0
		.amdhsa_float_denorm_mode_32 3
		.amdhsa_float_denorm_mode_16_64 3
		.amdhsa_dx10_clamp 1
		.amdhsa_ieee_mode 1
		.amdhsa_fp16_overflow 0
		.amdhsa_tg_split 0
		.amdhsa_exception_fp_ieee_invalid_op 0
		.amdhsa_exception_fp_denorm_src 0
		.amdhsa_exception_fp_ieee_div_zero 0
		.amdhsa_exception_fp_ieee_overflow 0
		.amdhsa_exception_fp_ieee_underflow 0
		.amdhsa_exception_fp_ieee_inexact 0
		.amdhsa_exception_int_div_zero 0
	.end_amdhsa_kernel
	.section	.text._ZN7rocprim17ROCPRIM_400000_NS6detail17trampoline_kernelINS0_14default_configENS1_25transform_config_selectorIaLb0EEEZNS1_14transform_implILb0ES3_S5_NS0_18transform_iteratorINS0_17counting_iteratorImlEEZNS1_24adjacent_difference_implIS3_Lb1ELb0EPKaPaN6thrust23THRUST_200600_302600_NS4plusIaEEEE10hipError_tPvRmT2_T3_mT4_P12ihipStream_tbEUlmE_aEESD_NS0_8identityIvEEEESI_SL_SM_mSN_SP_bEUlT_E_NS1_11comp_targetILNS1_3genE5ELNS1_11target_archE942ELNS1_3gpuE9ELNS1_3repE0EEENS1_30default_config_static_selectorELNS0_4arch9wavefront6targetE1EEEvT1_,"axG",@progbits,_ZN7rocprim17ROCPRIM_400000_NS6detail17trampoline_kernelINS0_14default_configENS1_25transform_config_selectorIaLb0EEEZNS1_14transform_implILb0ES3_S5_NS0_18transform_iteratorINS0_17counting_iteratorImlEEZNS1_24adjacent_difference_implIS3_Lb1ELb0EPKaPaN6thrust23THRUST_200600_302600_NS4plusIaEEEE10hipError_tPvRmT2_T3_mT4_P12ihipStream_tbEUlmE_aEESD_NS0_8identityIvEEEESI_SL_SM_mSN_SP_bEUlT_E_NS1_11comp_targetILNS1_3genE5ELNS1_11target_archE942ELNS1_3gpuE9ELNS1_3repE0EEENS1_30default_config_static_selectorELNS0_4arch9wavefront6targetE1EEEvT1_,comdat
.Lfunc_end475:
	.size	_ZN7rocprim17ROCPRIM_400000_NS6detail17trampoline_kernelINS0_14default_configENS1_25transform_config_selectorIaLb0EEEZNS1_14transform_implILb0ES3_S5_NS0_18transform_iteratorINS0_17counting_iteratorImlEEZNS1_24adjacent_difference_implIS3_Lb1ELb0EPKaPaN6thrust23THRUST_200600_302600_NS4plusIaEEEE10hipError_tPvRmT2_T3_mT4_P12ihipStream_tbEUlmE_aEESD_NS0_8identityIvEEEESI_SL_SM_mSN_SP_bEUlT_E_NS1_11comp_targetILNS1_3genE5ELNS1_11target_archE942ELNS1_3gpuE9ELNS1_3repE0EEENS1_30default_config_static_selectorELNS0_4arch9wavefront6targetE1EEEvT1_, .Lfunc_end475-_ZN7rocprim17ROCPRIM_400000_NS6detail17trampoline_kernelINS0_14default_configENS1_25transform_config_selectorIaLb0EEEZNS1_14transform_implILb0ES3_S5_NS0_18transform_iteratorINS0_17counting_iteratorImlEEZNS1_24adjacent_difference_implIS3_Lb1ELb0EPKaPaN6thrust23THRUST_200600_302600_NS4plusIaEEEE10hipError_tPvRmT2_T3_mT4_P12ihipStream_tbEUlmE_aEESD_NS0_8identityIvEEEESI_SL_SM_mSN_SP_bEUlT_E_NS1_11comp_targetILNS1_3genE5ELNS1_11target_archE942ELNS1_3gpuE9ELNS1_3repE0EEENS1_30default_config_static_selectorELNS0_4arch9wavefront6targetE1EEEvT1_
                                        ; -- End function
	.section	.AMDGPU.csdata,"",@progbits
; Kernel info:
; codeLenInByte = 1480
; NumSgprs: 33
; NumVgprs: 15
; NumAgprs: 0
; TotalNumVgprs: 15
; ScratchSize: 0
; MemoryBound: 0
; FloatMode: 240
; IeeeMode: 1
; LDSByteSize: 0 bytes/workgroup (compile time only)
; SGPRBlocks: 4
; VGPRBlocks: 1
; NumSGPRsForWavesPerEU: 33
; NumVGPRsForWavesPerEU: 15
; AccumOffset: 16
; Occupancy: 8
; WaveLimiterHint : 1
; COMPUTE_PGM_RSRC2:SCRATCH_EN: 0
; COMPUTE_PGM_RSRC2:USER_SGPR: 2
; COMPUTE_PGM_RSRC2:TRAP_HANDLER: 0
; COMPUTE_PGM_RSRC2:TGID_X_EN: 1
; COMPUTE_PGM_RSRC2:TGID_Y_EN: 0
; COMPUTE_PGM_RSRC2:TGID_Z_EN: 0
; COMPUTE_PGM_RSRC2:TIDIG_COMP_CNT: 0
; COMPUTE_PGM_RSRC3_GFX90A:ACCUM_OFFSET: 3
; COMPUTE_PGM_RSRC3_GFX90A:TG_SPLIT: 0
	.section	.text._ZN7rocprim17ROCPRIM_400000_NS6detail17trampoline_kernelINS0_14default_configENS1_25transform_config_selectorIaLb0EEEZNS1_14transform_implILb0ES3_S5_NS0_18transform_iteratorINS0_17counting_iteratorImlEEZNS1_24adjacent_difference_implIS3_Lb1ELb0EPKaPaN6thrust23THRUST_200600_302600_NS4plusIaEEEE10hipError_tPvRmT2_T3_mT4_P12ihipStream_tbEUlmE_aEESD_NS0_8identityIvEEEESI_SL_SM_mSN_SP_bEUlT_E_NS1_11comp_targetILNS1_3genE4ELNS1_11target_archE910ELNS1_3gpuE8ELNS1_3repE0EEENS1_30default_config_static_selectorELNS0_4arch9wavefront6targetE1EEEvT1_,"axG",@progbits,_ZN7rocprim17ROCPRIM_400000_NS6detail17trampoline_kernelINS0_14default_configENS1_25transform_config_selectorIaLb0EEEZNS1_14transform_implILb0ES3_S5_NS0_18transform_iteratorINS0_17counting_iteratorImlEEZNS1_24adjacent_difference_implIS3_Lb1ELb0EPKaPaN6thrust23THRUST_200600_302600_NS4plusIaEEEE10hipError_tPvRmT2_T3_mT4_P12ihipStream_tbEUlmE_aEESD_NS0_8identityIvEEEESI_SL_SM_mSN_SP_bEUlT_E_NS1_11comp_targetILNS1_3genE4ELNS1_11target_archE910ELNS1_3gpuE8ELNS1_3repE0EEENS1_30default_config_static_selectorELNS0_4arch9wavefront6targetE1EEEvT1_,comdat
	.protected	_ZN7rocprim17ROCPRIM_400000_NS6detail17trampoline_kernelINS0_14default_configENS1_25transform_config_selectorIaLb0EEEZNS1_14transform_implILb0ES3_S5_NS0_18transform_iteratorINS0_17counting_iteratorImlEEZNS1_24adjacent_difference_implIS3_Lb1ELb0EPKaPaN6thrust23THRUST_200600_302600_NS4plusIaEEEE10hipError_tPvRmT2_T3_mT4_P12ihipStream_tbEUlmE_aEESD_NS0_8identityIvEEEESI_SL_SM_mSN_SP_bEUlT_E_NS1_11comp_targetILNS1_3genE4ELNS1_11target_archE910ELNS1_3gpuE8ELNS1_3repE0EEENS1_30default_config_static_selectorELNS0_4arch9wavefront6targetE1EEEvT1_ ; -- Begin function _ZN7rocprim17ROCPRIM_400000_NS6detail17trampoline_kernelINS0_14default_configENS1_25transform_config_selectorIaLb0EEEZNS1_14transform_implILb0ES3_S5_NS0_18transform_iteratorINS0_17counting_iteratorImlEEZNS1_24adjacent_difference_implIS3_Lb1ELb0EPKaPaN6thrust23THRUST_200600_302600_NS4plusIaEEEE10hipError_tPvRmT2_T3_mT4_P12ihipStream_tbEUlmE_aEESD_NS0_8identityIvEEEESI_SL_SM_mSN_SP_bEUlT_E_NS1_11comp_targetILNS1_3genE4ELNS1_11target_archE910ELNS1_3gpuE8ELNS1_3repE0EEENS1_30default_config_static_selectorELNS0_4arch9wavefront6targetE1EEEvT1_
	.globl	_ZN7rocprim17ROCPRIM_400000_NS6detail17trampoline_kernelINS0_14default_configENS1_25transform_config_selectorIaLb0EEEZNS1_14transform_implILb0ES3_S5_NS0_18transform_iteratorINS0_17counting_iteratorImlEEZNS1_24adjacent_difference_implIS3_Lb1ELb0EPKaPaN6thrust23THRUST_200600_302600_NS4plusIaEEEE10hipError_tPvRmT2_T3_mT4_P12ihipStream_tbEUlmE_aEESD_NS0_8identityIvEEEESI_SL_SM_mSN_SP_bEUlT_E_NS1_11comp_targetILNS1_3genE4ELNS1_11target_archE910ELNS1_3gpuE8ELNS1_3repE0EEENS1_30default_config_static_selectorELNS0_4arch9wavefront6targetE1EEEvT1_
	.p2align	8
	.type	_ZN7rocprim17ROCPRIM_400000_NS6detail17trampoline_kernelINS0_14default_configENS1_25transform_config_selectorIaLb0EEEZNS1_14transform_implILb0ES3_S5_NS0_18transform_iteratorINS0_17counting_iteratorImlEEZNS1_24adjacent_difference_implIS3_Lb1ELb0EPKaPaN6thrust23THRUST_200600_302600_NS4plusIaEEEE10hipError_tPvRmT2_T3_mT4_P12ihipStream_tbEUlmE_aEESD_NS0_8identityIvEEEESI_SL_SM_mSN_SP_bEUlT_E_NS1_11comp_targetILNS1_3genE4ELNS1_11target_archE910ELNS1_3gpuE8ELNS1_3repE0EEENS1_30default_config_static_selectorELNS0_4arch9wavefront6targetE1EEEvT1_,@function
_ZN7rocprim17ROCPRIM_400000_NS6detail17trampoline_kernelINS0_14default_configENS1_25transform_config_selectorIaLb0EEEZNS1_14transform_implILb0ES3_S5_NS0_18transform_iteratorINS0_17counting_iteratorImlEEZNS1_24adjacent_difference_implIS3_Lb1ELb0EPKaPaN6thrust23THRUST_200600_302600_NS4plusIaEEEE10hipError_tPvRmT2_T3_mT4_P12ihipStream_tbEUlmE_aEESD_NS0_8identityIvEEEESI_SL_SM_mSN_SP_bEUlT_E_NS1_11comp_targetILNS1_3genE4ELNS1_11target_archE910ELNS1_3gpuE8ELNS1_3repE0EEENS1_30default_config_static_selectorELNS0_4arch9wavefront6targetE1EEEvT1_: ; @_ZN7rocprim17ROCPRIM_400000_NS6detail17trampoline_kernelINS0_14default_configENS1_25transform_config_selectorIaLb0EEEZNS1_14transform_implILb0ES3_S5_NS0_18transform_iteratorINS0_17counting_iteratorImlEEZNS1_24adjacent_difference_implIS3_Lb1ELb0EPKaPaN6thrust23THRUST_200600_302600_NS4plusIaEEEE10hipError_tPvRmT2_T3_mT4_P12ihipStream_tbEUlmE_aEESD_NS0_8identityIvEEEESI_SL_SM_mSN_SP_bEUlT_E_NS1_11comp_targetILNS1_3genE4ELNS1_11target_archE910ELNS1_3gpuE8ELNS1_3repE0EEENS1_30default_config_static_selectorELNS0_4arch9wavefront6targetE1EEEvT1_
; %bb.0:
	.section	.rodata,"a",@progbits
	.p2align	6, 0x0
	.amdhsa_kernel _ZN7rocprim17ROCPRIM_400000_NS6detail17trampoline_kernelINS0_14default_configENS1_25transform_config_selectorIaLb0EEEZNS1_14transform_implILb0ES3_S5_NS0_18transform_iteratorINS0_17counting_iteratorImlEEZNS1_24adjacent_difference_implIS3_Lb1ELb0EPKaPaN6thrust23THRUST_200600_302600_NS4plusIaEEEE10hipError_tPvRmT2_T3_mT4_P12ihipStream_tbEUlmE_aEESD_NS0_8identityIvEEEESI_SL_SM_mSN_SP_bEUlT_E_NS1_11comp_targetILNS1_3genE4ELNS1_11target_archE910ELNS1_3gpuE8ELNS1_3repE0EEENS1_30default_config_static_selectorELNS0_4arch9wavefront6targetE1EEEvT1_
		.amdhsa_group_segment_fixed_size 0
		.amdhsa_private_segment_fixed_size 0
		.amdhsa_kernarg_size 56
		.amdhsa_user_sgpr_count 2
		.amdhsa_user_sgpr_dispatch_ptr 0
		.amdhsa_user_sgpr_queue_ptr 0
		.amdhsa_user_sgpr_kernarg_segment_ptr 1
		.amdhsa_user_sgpr_dispatch_id 0
		.amdhsa_user_sgpr_kernarg_preload_length 0
		.amdhsa_user_sgpr_kernarg_preload_offset 0
		.amdhsa_user_sgpr_private_segment_size 0
		.amdhsa_uses_dynamic_stack 0
		.amdhsa_enable_private_segment 0
		.amdhsa_system_sgpr_workgroup_id_x 1
		.amdhsa_system_sgpr_workgroup_id_y 0
		.amdhsa_system_sgpr_workgroup_id_z 0
		.amdhsa_system_sgpr_workgroup_info 0
		.amdhsa_system_vgpr_workitem_id 0
		.amdhsa_next_free_vgpr 1
		.amdhsa_next_free_sgpr 0
		.amdhsa_accum_offset 4
		.amdhsa_reserve_vcc 0
		.amdhsa_float_round_mode_32 0
		.amdhsa_float_round_mode_16_64 0
		.amdhsa_float_denorm_mode_32 3
		.amdhsa_float_denorm_mode_16_64 3
		.amdhsa_dx10_clamp 1
		.amdhsa_ieee_mode 1
		.amdhsa_fp16_overflow 0
		.amdhsa_tg_split 0
		.amdhsa_exception_fp_ieee_invalid_op 0
		.amdhsa_exception_fp_denorm_src 0
		.amdhsa_exception_fp_ieee_div_zero 0
		.amdhsa_exception_fp_ieee_overflow 0
		.amdhsa_exception_fp_ieee_underflow 0
		.amdhsa_exception_fp_ieee_inexact 0
		.amdhsa_exception_int_div_zero 0
	.end_amdhsa_kernel
	.section	.text._ZN7rocprim17ROCPRIM_400000_NS6detail17trampoline_kernelINS0_14default_configENS1_25transform_config_selectorIaLb0EEEZNS1_14transform_implILb0ES3_S5_NS0_18transform_iteratorINS0_17counting_iteratorImlEEZNS1_24adjacent_difference_implIS3_Lb1ELb0EPKaPaN6thrust23THRUST_200600_302600_NS4plusIaEEEE10hipError_tPvRmT2_T3_mT4_P12ihipStream_tbEUlmE_aEESD_NS0_8identityIvEEEESI_SL_SM_mSN_SP_bEUlT_E_NS1_11comp_targetILNS1_3genE4ELNS1_11target_archE910ELNS1_3gpuE8ELNS1_3repE0EEENS1_30default_config_static_selectorELNS0_4arch9wavefront6targetE1EEEvT1_,"axG",@progbits,_ZN7rocprim17ROCPRIM_400000_NS6detail17trampoline_kernelINS0_14default_configENS1_25transform_config_selectorIaLb0EEEZNS1_14transform_implILb0ES3_S5_NS0_18transform_iteratorINS0_17counting_iteratorImlEEZNS1_24adjacent_difference_implIS3_Lb1ELb0EPKaPaN6thrust23THRUST_200600_302600_NS4plusIaEEEE10hipError_tPvRmT2_T3_mT4_P12ihipStream_tbEUlmE_aEESD_NS0_8identityIvEEEESI_SL_SM_mSN_SP_bEUlT_E_NS1_11comp_targetILNS1_3genE4ELNS1_11target_archE910ELNS1_3gpuE8ELNS1_3repE0EEENS1_30default_config_static_selectorELNS0_4arch9wavefront6targetE1EEEvT1_,comdat
.Lfunc_end476:
	.size	_ZN7rocprim17ROCPRIM_400000_NS6detail17trampoline_kernelINS0_14default_configENS1_25transform_config_selectorIaLb0EEEZNS1_14transform_implILb0ES3_S5_NS0_18transform_iteratorINS0_17counting_iteratorImlEEZNS1_24adjacent_difference_implIS3_Lb1ELb0EPKaPaN6thrust23THRUST_200600_302600_NS4plusIaEEEE10hipError_tPvRmT2_T3_mT4_P12ihipStream_tbEUlmE_aEESD_NS0_8identityIvEEEESI_SL_SM_mSN_SP_bEUlT_E_NS1_11comp_targetILNS1_3genE4ELNS1_11target_archE910ELNS1_3gpuE8ELNS1_3repE0EEENS1_30default_config_static_selectorELNS0_4arch9wavefront6targetE1EEEvT1_, .Lfunc_end476-_ZN7rocprim17ROCPRIM_400000_NS6detail17trampoline_kernelINS0_14default_configENS1_25transform_config_selectorIaLb0EEEZNS1_14transform_implILb0ES3_S5_NS0_18transform_iteratorINS0_17counting_iteratorImlEEZNS1_24adjacent_difference_implIS3_Lb1ELb0EPKaPaN6thrust23THRUST_200600_302600_NS4plusIaEEEE10hipError_tPvRmT2_T3_mT4_P12ihipStream_tbEUlmE_aEESD_NS0_8identityIvEEEESI_SL_SM_mSN_SP_bEUlT_E_NS1_11comp_targetILNS1_3genE4ELNS1_11target_archE910ELNS1_3gpuE8ELNS1_3repE0EEENS1_30default_config_static_selectorELNS0_4arch9wavefront6targetE1EEEvT1_
                                        ; -- End function
	.section	.AMDGPU.csdata,"",@progbits
; Kernel info:
; codeLenInByte = 0
; NumSgprs: 6
; NumVgprs: 0
; NumAgprs: 0
; TotalNumVgprs: 0
; ScratchSize: 0
; MemoryBound: 0
; FloatMode: 240
; IeeeMode: 1
; LDSByteSize: 0 bytes/workgroup (compile time only)
; SGPRBlocks: 0
; VGPRBlocks: 0
; NumSGPRsForWavesPerEU: 6
; NumVGPRsForWavesPerEU: 1
; AccumOffset: 4
; Occupancy: 8
; WaveLimiterHint : 0
; COMPUTE_PGM_RSRC2:SCRATCH_EN: 0
; COMPUTE_PGM_RSRC2:USER_SGPR: 2
; COMPUTE_PGM_RSRC2:TRAP_HANDLER: 0
; COMPUTE_PGM_RSRC2:TGID_X_EN: 1
; COMPUTE_PGM_RSRC2:TGID_Y_EN: 0
; COMPUTE_PGM_RSRC2:TGID_Z_EN: 0
; COMPUTE_PGM_RSRC2:TIDIG_COMP_CNT: 0
; COMPUTE_PGM_RSRC3_GFX90A:ACCUM_OFFSET: 0
; COMPUTE_PGM_RSRC3_GFX90A:TG_SPLIT: 0
	.section	.text._ZN7rocprim17ROCPRIM_400000_NS6detail17trampoline_kernelINS0_14default_configENS1_25transform_config_selectorIaLb0EEEZNS1_14transform_implILb0ES3_S5_NS0_18transform_iteratorINS0_17counting_iteratorImlEEZNS1_24adjacent_difference_implIS3_Lb1ELb0EPKaPaN6thrust23THRUST_200600_302600_NS4plusIaEEEE10hipError_tPvRmT2_T3_mT4_P12ihipStream_tbEUlmE_aEESD_NS0_8identityIvEEEESI_SL_SM_mSN_SP_bEUlT_E_NS1_11comp_targetILNS1_3genE3ELNS1_11target_archE908ELNS1_3gpuE7ELNS1_3repE0EEENS1_30default_config_static_selectorELNS0_4arch9wavefront6targetE1EEEvT1_,"axG",@progbits,_ZN7rocprim17ROCPRIM_400000_NS6detail17trampoline_kernelINS0_14default_configENS1_25transform_config_selectorIaLb0EEEZNS1_14transform_implILb0ES3_S5_NS0_18transform_iteratorINS0_17counting_iteratorImlEEZNS1_24adjacent_difference_implIS3_Lb1ELb0EPKaPaN6thrust23THRUST_200600_302600_NS4plusIaEEEE10hipError_tPvRmT2_T3_mT4_P12ihipStream_tbEUlmE_aEESD_NS0_8identityIvEEEESI_SL_SM_mSN_SP_bEUlT_E_NS1_11comp_targetILNS1_3genE3ELNS1_11target_archE908ELNS1_3gpuE7ELNS1_3repE0EEENS1_30default_config_static_selectorELNS0_4arch9wavefront6targetE1EEEvT1_,comdat
	.protected	_ZN7rocprim17ROCPRIM_400000_NS6detail17trampoline_kernelINS0_14default_configENS1_25transform_config_selectorIaLb0EEEZNS1_14transform_implILb0ES3_S5_NS0_18transform_iteratorINS0_17counting_iteratorImlEEZNS1_24adjacent_difference_implIS3_Lb1ELb0EPKaPaN6thrust23THRUST_200600_302600_NS4plusIaEEEE10hipError_tPvRmT2_T3_mT4_P12ihipStream_tbEUlmE_aEESD_NS0_8identityIvEEEESI_SL_SM_mSN_SP_bEUlT_E_NS1_11comp_targetILNS1_3genE3ELNS1_11target_archE908ELNS1_3gpuE7ELNS1_3repE0EEENS1_30default_config_static_selectorELNS0_4arch9wavefront6targetE1EEEvT1_ ; -- Begin function _ZN7rocprim17ROCPRIM_400000_NS6detail17trampoline_kernelINS0_14default_configENS1_25transform_config_selectorIaLb0EEEZNS1_14transform_implILb0ES3_S5_NS0_18transform_iteratorINS0_17counting_iteratorImlEEZNS1_24adjacent_difference_implIS3_Lb1ELb0EPKaPaN6thrust23THRUST_200600_302600_NS4plusIaEEEE10hipError_tPvRmT2_T3_mT4_P12ihipStream_tbEUlmE_aEESD_NS0_8identityIvEEEESI_SL_SM_mSN_SP_bEUlT_E_NS1_11comp_targetILNS1_3genE3ELNS1_11target_archE908ELNS1_3gpuE7ELNS1_3repE0EEENS1_30default_config_static_selectorELNS0_4arch9wavefront6targetE1EEEvT1_
	.globl	_ZN7rocprim17ROCPRIM_400000_NS6detail17trampoline_kernelINS0_14default_configENS1_25transform_config_selectorIaLb0EEEZNS1_14transform_implILb0ES3_S5_NS0_18transform_iteratorINS0_17counting_iteratorImlEEZNS1_24adjacent_difference_implIS3_Lb1ELb0EPKaPaN6thrust23THRUST_200600_302600_NS4plusIaEEEE10hipError_tPvRmT2_T3_mT4_P12ihipStream_tbEUlmE_aEESD_NS0_8identityIvEEEESI_SL_SM_mSN_SP_bEUlT_E_NS1_11comp_targetILNS1_3genE3ELNS1_11target_archE908ELNS1_3gpuE7ELNS1_3repE0EEENS1_30default_config_static_selectorELNS0_4arch9wavefront6targetE1EEEvT1_
	.p2align	8
	.type	_ZN7rocprim17ROCPRIM_400000_NS6detail17trampoline_kernelINS0_14default_configENS1_25transform_config_selectorIaLb0EEEZNS1_14transform_implILb0ES3_S5_NS0_18transform_iteratorINS0_17counting_iteratorImlEEZNS1_24adjacent_difference_implIS3_Lb1ELb0EPKaPaN6thrust23THRUST_200600_302600_NS4plusIaEEEE10hipError_tPvRmT2_T3_mT4_P12ihipStream_tbEUlmE_aEESD_NS0_8identityIvEEEESI_SL_SM_mSN_SP_bEUlT_E_NS1_11comp_targetILNS1_3genE3ELNS1_11target_archE908ELNS1_3gpuE7ELNS1_3repE0EEENS1_30default_config_static_selectorELNS0_4arch9wavefront6targetE1EEEvT1_,@function
_ZN7rocprim17ROCPRIM_400000_NS6detail17trampoline_kernelINS0_14default_configENS1_25transform_config_selectorIaLb0EEEZNS1_14transform_implILb0ES3_S5_NS0_18transform_iteratorINS0_17counting_iteratorImlEEZNS1_24adjacent_difference_implIS3_Lb1ELb0EPKaPaN6thrust23THRUST_200600_302600_NS4plusIaEEEE10hipError_tPvRmT2_T3_mT4_P12ihipStream_tbEUlmE_aEESD_NS0_8identityIvEEEESI_SL_SM_mSN_SP_bEUlT_E_NS1_11comp_targetILNS1_3genE3ELNS1_11target_archE908ELNS1_3gpuE7ELNS1_3repE0EEENS1_30default_config_static_selectorELNS0_4arch9wavefront6targetE1EEEvT1_: ; @_ZN7rocprim17ROCPRIM_400000_NS6detail17trampoline_kernelINS0_14default_configENS1_25transform_config_selectorIaLb0EEEZNS1_14transform_implILb0ES3_S5_NS0_18transform_iteratorINS0_17counting_iteratorImlEEZNS1_24adjacent_difference_implIS3_Lb1ELb0EPKaPaN6thrust23THRUST_200600_302600_NS4plusIaEEEE10hipError_tPvRmT2_T3_mT4_P12ihipStream_tbEUlmE_aEESD_NS0_8identityIvEEEESI_SL_SM_mSN_SP_bEUlT_E_NS1_11comp_targetILNS1_3genE3ELNS1_11target_archE908ELNS1_3gpuE7ELNS1_3repE0EEENS1_30default_config_static_selectorELNS0_4arch9wavefront6targetE1EEEvT1_
; %bb.0:
	.section	.rodata,"a",@progbits
	.p2align	6, 0x0
	.amdhsa_kernel _ZN7rocprim17ROCPRIM_400000_NS6detail17trampoline_kernelINS0_14default_configENS1_25transform_config_selectorIaLb0EEEZNS1_14transform_implILb0ES3_S5_NS0_18transform_iteratorINS0_17counting_iteratorImlEEZNS1_24adjacent_difference_implIS3_Lb1ELb0EPKaPaN6thrust23THRUST_200600_302600_NS4plusIaEEEE10hipError_tPvRmT2_T3_mT4_P12ihipStream_tbEUlmE_aEESD_NS0_8identityIvEEEESI_SL_SM_mSN_SP_bEUlT_E_NS1_11comp_targetILNS1_3genE3ELNS1_11target_archE908ELNS1_3gpuE7ELNS1_3repE0EEENS1_30default_config_static_selectorELNS0_4arch9wavefront6targetE1EEEvT1_
		.amdhsa_group_segment_fixed_size 0
		.amdhsa_private_segment_fixed_size 0
		.amdhsa_kernarg_size 56
		.amdhsa_user_sgpr_count 2
		.amdhsa_user_sgpr_dispatch_ptr 0
		.amdhsa_user_sgpr_queue_ptr 0
		.amdhsa_user_sgpr_kernarg_segment_ptr 1
		.amdhsa_user_sgpr_dispatch_id 0
		.amdhsa_user_sgpr_kernarg_preload_length 0
		.amdhsa_user_sgpr_kernarg_preload_offset 0
		.amdhsa_user_sgpr_private_segment_size 0
		.amdhsa_uses_dynamic_stack 0
		.amdhsa_enable_private_segment 0
		.amdhsa_system_sgpr_workgroup_id_x 1
		.amdhsa_system_sgpr_workgroup_id_y 0
		.amdhsa_system_sgpr_workgroup_id_z 0
		.amdhsa_system_sgpr_workgroup_info 0
		.amdhsa_system_vgpr_workitem_id 0
		.amdhsa_next_free_vgpr 1
		.amdhsa_next_free_sgpr 0
		.amdhsa_accum_offset 4
		.amdhsa_reserve_vcc 0
		.amdhsa_float_round_mode_32 0
		.amdhsa_float_round_mode_16_64 0
		.amdhsa_float_denorm_mode_32 3
		.amdhsa_float_denorm_mode_16_64 3
		.amdhsa_dx10_clamp 1
		.amdhsa_ieee_mode 1
		.amdhsa_fp16_overflow 0
		.amdhsa_tg_split 0
		.amdhsa_exception_fp_ieee_invalid_op 0
		.amdhsa_exception_fp_denorm_src 0
		.amdhsa_exception_fp_ieee_div_zero 0
		.amdhsa_exception_fp_ieee_overflow 0
		.amdhsa_exception_fp_ieee_underflow 0
		.amdhsa_exception_fp_ieee_inexact 0
		.amdhsa_exception_int_div_zero 0
	.end_amdhsa_kernel
	.section	.text._ZN7rocprim17ROCPRIM_400000_NS6detail17trampoline_kernelINS0_14default_configENS1_25transform_config_selectorIaLb0EEEZNS1_14transform_implILb0ES3_S5_NS0_18transform_iteratorINS0_17counting_iteratorImlEEZNS1_24adjacent_difference_implIS3_Lb1ELb0EPKaPaN6thrust23THRUST_200600_302600_NS4plusIaEEEE10hipError_tPvRmT2_T3_mT4_P12ihipStream_tbEUlmE_aEESD_NS0_8identityIvEEEESI_SL_SM_mSN_SP_bEUlT_E_NS1_11comp_targetILNS1_3genE3ELNS1_11target_archE908ELNS1_3gpuE7ELNS1_3repE0EEENS1_30default_config_static_selectorELNS0_4arch9wavefront6targetE1EEEvT1_,"axG",@progbits,_ZN7rocprim17ROCPRIM_400000_NS6detail17trampoline_kernelINS0_14default_configENS1_25transform_config_selectorIaLb0EEEZNS1_14transform_implILb0ES3_S5_NS0_18transform_iteratorINS0_17counting_iteratorImlEEZNS1_24adjacent_difference_implIS3_Lb1ELb0EPKaPaN6thrust23THRUST_200600_302600_NS4plusIaEEEE10hipError_tPvRmT2_T3_mT4_P12ihipStream_tbEUlmE_aEESD_NS0_8identityIvEEEESI_SL_SM_mSN_SP_bEUlT_E_NS1_11comp_targetILNS1_3genE3ELNS1_11target_archE908ELNS1_3gpuE7ELNS1_3repE0EEENS1_30default_config_static_selectorELNS0_4arch9wavefront6targetE1EEEvT1_,comdat
.Lfunc_end477:
	.size	_ZN7rocprim17ROCPRIM_400000_NS6detail17trampoline_kernelINS0_14default_configENS1_25transform_config_selectorIaLb0EEEZNS1_14transform_implILb0ES3_S5_NS0_18transform_iteratorINS0_17counting_iteratorImlEEZNS1_24adjacent_difference_implIS3_Lb1ELb0EPKaPaN6thrust23THRUST_200600_302600_NS4plusIaEEEE10hipError_tPvRmT2_T3_mT4_P12ihipStream_tbEUlmE_aEESD_NS0_8identityIvEEEESI_SL_SM_mSN_SP_bEUlT_E_NS1_11comp_targetILNS1_3genE3ELNS1_11target_archE908ELNS1_3gpuE7ELNS1_3repE0EEENS1_30default_config_static_selectorELNS0_4arch9wavefront6targetE1EEEvT1_, .Lfunc_end477-_ZN7rocprim17ROCPRIM_400000_NS6detail17trampoline_kernelINS0_14default_configENS1_25transform_config_selectorIaLb0EEEZNS1_14transform_implILb0ES3_S5_NS0_18transform_iteratorINS0_17counting_iteratorImlEEZNS1_24adjacent_difference_implIS3_Lb1ELb0EPKaPaN6thrust23THRUST_200600_302600_NS4plusIaEEEE10hipError_tPvRmT2_T3_mT4_P12ihipStream_tbEUlmE_aEESD_NS0_8identityIvEEEESI_SL_SM_mSN_SP_bEUlT_E_NS1_11comp_targetILNS1_3genE3ELNS1_11target_archE908ELNS1_3gpuE7ELNS1_3repE0EEENS1_30default_config_static_selectorELNS0_4arch9wavefront6targetE1EEEvT1_
                                        ; -- End function
	.section	.AMDGPU.csdata,"",@progbits
; Kernel info:
; codeLenInByte = 0
; NumSgprs: 6
; NumVgprs: 0
; NumAgprs: 0
; TotalNumVgprs: 0
; ScratchSize: 0
; MemoryBound: 0
; FloatMode: 240
; IeeeMode: 1
; LDSByteSize: 0 bytes/workgroup (compile time only)
; SGPRBlocks: 0
; VGPRBlocks: 0
; NumSGPRsForWavesPerEU: 6
; NumVGPRsForWavesPerEU: 1
; AccumOffset: 4
; Occupancy: 8
; WaveLimiterHint : 0
; COMPUTE_PGM_RSRC2:SCRATCH_EN: 0
; COMPUTE_PGM_RSRC2:USER_SGPR: 2
; COMPUTE_PGM_RSRC2:TRAP_HANDLER: 0
; COMPUTE_PGM_RSRC2:TGID_X_EN: 1
; COMPUTE_PGM_RSRC2:TGID_Y_EN: 0
; COMPUTE_PGM_RSRC2:TGID_Z_EN: 0
; COMPUTE_PGM_RSRC2:TIDIG_COMP_CNT: 0
; COMPUTE_PGM_RSRC3_GFX90A:ACCUM_OFFSET: 0
; COMPUTE_PGM_RSRC3_GFX90A:TG_SPLIT: 0
	.section	.text._ZN7rocprim17ROCPRIM_400000_NS6detail17trampoline_kernelINS0_14default_configENS1_25transform_config_selectorIaLb0EEEZNS1_14transform_implILb0ES3_S5_NS0_18transform_iteratorINS0_17counting_iteratorImlEEZNS1_24adjacent_difference_implIS3_Lb1ELb0EPKaPaN6thrust23THRUST_200600_302600_NS4plusIaEEEE10hipError_tPvRmT2_T3_mT4_P12ihipStream_tbEUlmE_aEESD_NS0_8identityIvEEEESI_SL_SM_mSN_SP_bEUlT_E_NS1_11comp_targetILNS1_3genE2ELNS1_11target_archE906ELNS1_3gpuE6ELNS1_3repE0EEENS1_30default_config_static_selectorELNS0_4arch9wavefront6targetE1EEEvT1_,"axG",@progbits,_ZN7rocprim17ROCPRIM_400000_NS6detail17trampoline_kernelINS0_14default_configENS1_25transform_config_selectorIaLb0EEEZNS1_14transform_implILb0ES3_S5_NS0_18transform_iteratorINS0_17counting_iteratorImlEEZNS1_24adjacent_difference_implIS3_Lb1ELb0EPKaPaN6thrust23THRUST_200600_302600_NS4plusIaEEEE10hipError_tPvRmT2_T3_mT4_P12ihipStream_tbEUlmE_aEESD_NS0_8identityIvEEEESI_SL_SM_mSN_SP_bEUlT_E_NS1_11comp_targetILNS1_3genE2ELNS1_11target_archE906ELNS1_3gpuE6ELNS1_3repE0EEENS1_30default_config_static_selectorELNS0_4arch9wavefront6targetE1EEEvT1_,comdat
	.protected	_ZN7rocprim17ROCPRIM_400000_NS6detail17trampoline_kernelINS0_14default_configENS1_25transform_config_selectorIaLb0EEEZNS1_14transform_implILb0ES3_S5_NS0_18transform_iteratorINS0_17counting_iteratorImlEEZNS1_24adjacent_difference_implIS3_Lb1ELb0EPKaPaN6thrust23THRUST_200600_302600_NS4plusIaEEEE10hipError_tPvRmT2_T3_mT4_P12ihipStream_tbEUlmE_aEESD_NS0_8identityIvEEEESI_SL_SM_mSN_SP_bEUlT_E_NS1_11comp_targetILNS1_3genE2ELNS1_11target_archE906ELNS1_3gpuE6ELNS1_3repE0EEENS1_30default_config_static_selectorELNS0_4arch9wavefront6targetE1EEEvT1_ ; -- Begin function _ZN7rocprim17ROCPRIM_400000_NS6detail17trampoline_kernelINS0_14default_configENS1_25transform_config_selectorIaLb0EEEZNS1_14transform_implILb0ES3_S5_NS0_18transform_iteratorINS0_17counting_iteratorImlEEZNS1_24adjacent_difference_implIS3_Lb1ELb0EPKaPaN6thrust23THRUST_200600_302600_NS4plusIaEEEE10hipError_tPvRmT2_T3_mT4_P12ihipStream_tbEUlmE_aEESD_NS0_8identityIvEEEESI_SL_SM_mSN_SP_bEUlT_E_NS1_11comp_targetILNS1_3genE2ELNS1_11target_archE906ELNS1_3gpuE6ELNS1_3repE0EEENS1_30default_config_static_selectorELNS0_4arch9wavefront6targetE1EEEvT1_
	.globl	_ZN7rocprim17ROCPRIM_400000_NS6detail17trampoline_kernelINS0_14default_configENS1_25transform_config_selectorIaLb0EEEZNS1_14transform_implILb0ES3_S5_NS0_18transform_iteratorINS0_17counting_iteratorImlEEZNS1_24adjacent_difference_implIS3_Lb1ELb0EPKaPaN6thrust23THRUST_200600_302600_NS4plusIaEEEE10hipError_tPvRmT2_T3_mT4_P12ihipStream_tbEUlmE_aEESD_NS0_8identityIvEEEESI_SL_SM_mSN_SP_bEUlT_E_NS1_11comp_targetILNS1_3genE2ELNS1_11target_archE906ELNS1_3gpuE6ELNS1_3repE0EEENS1_30default_config_static_selectorELNS0_4arch9wavefront6targetE1EEEvT1_
	.p2align	8
	.type	_ZN7rocprim17ROCPRIM_400000_NS6detail17trampoline_kernelINS0_14default_configENS1_25transform_config_selectorIaLb0EEEZNS1_14transform_implILb0ES3_S5_NS0_18transform_iteratorINS0_17counting_iteratorImlEEZNS1_24adjacent_difference_implIS3_Lb1ELb0EPKaPaN6thrust23THRUST_200600_302600_NS4plusIaEEEE10hipError_tPvRmT2_T3_mT4_P12ihipStream_tbEUlmE_aEESD_NS0_8identityIvEEEESI_SL_SM_mSN_SP_bEUlT_E_NS1_11comp_targetILNS1_3genE2ELNS1_11target_archE906ELNS1_3gpuE6ELNS1_3repE0EEENS1_30default_config_static_selectorELNS0_4arch9wavefront6targetE1EEEvT1_,@function
_ZN7rocprim17ROCPRIM_400000_NS6detail17trampoline_kernelINS0_14default_configENS1_25transform_config_selectorIaLb0EEEZNS1_14transform_implILb0ES3_S5_NS0_18transform_iteratorINS0_17counting_iteratorImlEEZNS1_24adjacent_difference_implIS3_Lb1ELb0EPKaPaN6thrust23THRUST_200600_302600_NS4plusIaEEEE10hipError_tPvRmT2_T3_mT4_P12ihipStream_tbEUlmE_aEESD_NS0_8identityIvEEEESI_SL_SM_mSN_SP_bEUlT_E_NS1_11comp_targetILNS1_3genE2ELNS1_11target_archE906ELNS1_3gpuE6ELNS1_3repE0EEENS1_30default_config_static_selectorELNS0_4arch9wavefront6targetE1EEEvT1_: ; @_ZN7rocprim17ROCPRIM_400000_NS6detail17trampoline_kernelINS0_14default_configENS1_25transform_config_selectorIaLb0EEEZNS1_14transform_implILb0ES3_S5_NS0_18transform_iteratorINS0_17counting_iteratorImlEEZNS1_24adjacent_difference_implIS3_Lb1ELb0EPKaPaN6thrust23THRUST_200600_302600_NS4plusIaEEEE10hipError_tPvRmT2_T3_mT4_P12ihipStream_tbEUlmE_aEESD_NS0_8identityIvEEEESI_SL_SM_mSN_SP_bEUlT_E_NS1_11comp_targetILNS1_3genE2ELNS1_11target_archE906ELNS1_3gpuE6ELNS1_3repE0EEENS1_30default_config_static_selectorELNS0_4arch9wavefront6targetE1EEEvT1_
; %bb.0:
	.section	.rodata,"a",@progbits
	.p2align	6, 0x0
	.amdhsa_kernel _ZN7rocprim17ROCPRIM_400000_NS6detail17trampoline_kernelINS0_14default_configENS1_25transform_config_selectorIaLb0EEEZNS1_14transform_implILb0ES3_S5_NS0_18transform_iteratorINS0_17counting_iteratorImlEEZNS1_24adjacent_difference_implIS3_Lb1ELb0EPKaPaN6thrust23THRUST_200600_302600_NS4plusIaEEEE10hipError_tPvRmT2_T3_mT4_P12ihipStream_tbEUlmE_aEESD_NS0_8identityIvEEEESI_SL_SM_mSN_SP_bEUlT_E_NS1_11comp_targetILNS1_3genE2ELNS1_11target_archE906ELNS1_3gpuE6ELNS1_3repE0EEENS1_30default_config_static_selectorELNS0_4arch9wavefront6targetE1EEEvT1_
		.amdhsa_group_segment_fixed_size 0
		.amdhsa_private_segment_fixed_size 0
		.amdhsa_kernarg_size 56
		.amdhsa_user_sgpr_count 2
		.amdhsa_user_sgpr_dispatch_ptr 0
		.amdhsa_user_sgpr_queue_ptr 0
		.amdhsa_user_sgpr_kernarg_segment_ptr 1
		.amdhsa_user_sgpr_dispatch_id 0
		.amdhsa_user_sgpr_kernarg_preload_length 0
		.amdhsa_user_sgpr_kernarg_preload_offset 0
		.amdhsa_user_sgpr_private_segment_size 0
		.amdhsa_uses_dynamic_stack 0
		.amdhsa_enable_private_segment 0
		.amdhsa_system_sgpr_workgroup_id_x 1
		.amdhsa_system_sgpr_workgroup_id_y 0
		.amdhsa_system_sgpr_workgroup_id_z 0
		.amdhsa_system_sgpr_workgroup_info 0
		.amdhsa_system_vgpr_workitem_id 0
		.amdhsa_next_free_vgpr 1
		.amdhsa_next_free_sgpr 0
		.amdhsa_accum_offset 4
		.amdhsa_reserve_vcc 0
		.amdhsa_float_round_mode_32 0
		.amdhsa_float_round_mode_16_64 0
		.amdhsa_float_denorm_mode_32 3
		.amdhsa_float_denorm_mode_16_64 3
		.amdhsa_dx10_clamp 1
		.amdhsa_ieee_mode 1
		.amdhsa_fp16_overflow 0
		.amdhsa_tg_split 0
		.amdhsa_exception_fp_ieee_invalid_op 0
		.amdhsa_exception_fp_denorm_src 0
		.amdhsa_exception_fp_ieee_div_zero 0
		.amdhsa_exception_fp_ieee_overflow 0
		.amdhsa_exception_fp_ieee_underflow 0
		.amdhsa_exception_fp_ieee_inexact 0
		.amdhsa_exception_int_div_zero 0
	.end_amdhsa_kernel
	.section	.text._ZN7rocprim17ROCPRIM_400000_NS6detail17trampoline_kernelINS0_14default_configENS1_25transform_config_selectorIaLb0EEEZNS1_14transform_implILb0ES3_S5_NS0_18transform_iteratorINS0_17counting_iteratorImlEEZNS1_24adjacent_difference_implIS3_Lb1ELb0EPKaPaN6thrust23THRUST_200600_302600_NS4plusIaEEEE10hipError_tPvRmT2_T3_mT4_P12ihipStream_tbEUlmE_aEESD_NS0_8identityIvEEEESI_SL_SM_mSN_SP_bEUlT_E_NS1_11comp_targetILNS1_3genE2ELNS1_11target_archE906ELNS1_3gpuE6ELNS1_3repE0EEENS1_30default_config_static_selectorELNS0_4arch9wavefront6targetE1EEEvT1_,"axG",@progbits,_ZN7rocprim17ROCPRIM_400000_NS6detail17trampoline_kernelINS0_14default_configENS1_25transform_config_selectorIaLb0EEEZNS1_14transform_implILb0ES3_S5_NS0_18transform_iteratorINS0_17counting_iteratorImlEEZNS1_24adjacent_difference_implIS3_Lb1ELb0EPKaPaN6thrust23THRUST_200600_302600_NS4plusIaEEEE10hipError_tPvRmT2_T3_mT4_P12ihipStream_tbEUlmE_aEESD_NS0_8identityIvEEEESI_SL_SM_mSN_SP_bEUlT_E_NS1_11comp_targetILNS1_3genE2ELNS1_11target_archE906ELNS1_3gpuE6ELNS1_3repE0EEENS1_30default_config_static_selectorELNS0_4arch9wavefront6targetE1EEEvT1_,comdat
.Lfunc_end478:
	.size	_ZN7rocprim17ROCPRIM_400000_NS6detail17trampoline_kernelINS0_14default_configENS1_25transform_config_selectorIaLb0EEEZNS1_14transform_implILb0ES3_S5_NS0_18transform_iteratorINS0_17counting_iteratorImlEEZNS1_24adjacent_difference_implIS3_Lb1ELb0EPKaPaN6thrust23THRUST_200600_302600_NS4plusIaEEEE10hipError_tPvRmT2_T3_mT4_P12ihipStream_tbEUlmE_aEESD_NS0_8identityIvEEEESI_SL_SM_mSN_SP_bEUlT_E_NS1_11comp_targetILNS1_3genE2ELNS1_11target_archE906ELNS1_3gpuE6ELNS1_3repE0EEENS1_30default_config_static_selectorELNS0_4arch9wavefront6targetE1EEEvT1_, .Lfunc_end478-_ZN7rocprim17ROCPRIM_400000_NS6detail17trampoline_kernelINS0_14default_configENS1_25transform_config_selectorIaLb0EEEZNS1_14transform_implILb0ES3_S5_NS0_18transform_iteratorINS0_17counting_iteratorImlEEZNS1_24adjacent_difference_implIS3_Lb1ELb0EPKaPaN6thrust23THRUST_200600_302600_NS4plusIaEEEE10hipError_tPvRmT2_T3_mT4_P12ihipStream_tbEUlmE_aEESD_NS0_8identityIvEEEESI_SL_SM_mSN_SP_bEUlT_E_NS1_11comp_targetILNS1_3genE2ELNS1_11target_archE906ELNS1_3gpuE6ELNS1_3repE0EEENS1_30default_config_static_selectorELNS0_4arch9wavefront6targetE1EEEvT1_
                                        ; -- End function
	.section	.AMDGPU.csdata,"",@progbits
; Kernel info:
; codeLenInByte = 0
; NumSgprs: 6
; NumVgprs: 0
; NumAgprs: 0
; TotalNumVgprs: 0
; ScratchSize: 0
; MemoryBound: 0
; FloatMode: 240
; IeeeMode: 1
; LDSByteSize: 0 bytes/workgroup (compile time only)
; SGPRBlocks: 0
; VGPRBlocks: 0
; NumSGPRsForWavesPerEU: 6
; NumVGPRsForWavesPerEU: 1
; AccumOffset: 4
; Occupancy: 8
; WaveLimiterHint : 0
; COMPUTE_PGM_RSRC2:SCRATCH_EN: 0
; COMPUTE_PGM_RSRC2:USER_SGPR: 2
; COMPUTE_PGM_RSRC2:TRAP_HANDLER: 0
; COMPUTE_PGM_RSRC2:TGID_X_EN: 1
; COMPUTE_PGM_RSRC2:TGID_Y_EN: 0
; COMPUTE_PGM_RSRC2:TGID_Z_EN: 0
; COMPUTE_PGM_RSRC2:TIDIG_COMP_CNT: 0
; COMPUTE_PGM_RSRC3_GFX90A:ACCUM_OFFSET: 0
; COMPUTE_PGM_RSRC3_GFX90A:TG_SPLIT: 0
	.section	.text._ZN7rocprim17ROCPRIM_400000_NS6detail17trampoline_kernelINS0_14default_configENS1_25transform_config_selectorIaLb0EEEZNS1_14transform_implILb0ES3_S5_NS0_18transform_iteratorINS0_17counting_iteratorImlEEZNS1_24adjacent_difference_implIS3_Lb1ELb0EPKaPaN6thrust23THRUST_200600_302600_NS4plusIaEEEE10hipError_tPvRmT2_T3_mT4_P12ihipStream_tbEUlmE_aEESD_NS0_8identityIvEEEESI_SL_SM_mSN_SP_bEUlT_E_NS1_11comp_targetILNS1_3genE10ELNS1_11target_archE1201ELNS1_3gpuE5ELNS1_3repE0EEENS1_30default_config_static_selectorELNS0_4arch9wavefront6targetE1EEEvT1_,"axG",@progbits,_ZN7rocprim17ROCPRIM_400000_NS6detail17trampoline_kernelINS0_14default_configENS1_25transform_config_selectorIaLb0EEEZNS1_14transform_implILb0ES3_S5_NS0_18transform_iteratorINS0_17counting_iteratorImlEEZNS1_24adjacent_difference_implIS3_Lb1ELb0EPKaPaN6thrust23THRUST_200600_302600_NS4plusIaEEEE10hipError_tPvRmT2_T3_mT4_P12ihipStream_tbEUlmE_aEESD_NS0_8identityIvEEEESI_SL_SM_mSN_SP_bEUlT_E_NS1_11comp_targetILNS1_3genE10ELNS1_11target_archE1201ELNS1_3gpuE5ELNS1_3repE0EEENS1_30default_config_static_selectorELNS0_4arch9wavefront6targetE1EEEvT1_,comdat
	.protected	_ZN7rocprim17ROCPRIM_400000_NS6detail17trampoline_kernelINS0_14default_configENS1_25transform_config_selectorIaLb0EEEZNS1_14transform_implILb0ES3_S5_NS0_18transform_iteratorINS0_17counting_iteratorImlEEZNS1_24adjacent_difference_implIS3_Lb1ELb0EPKaPaN6thrust23THRUST_200600_302600_NS4plusIaEEEE10hipError_tPvRmT2_T3_mT4_P12ihipStream_tbEUlmE_aEESD_NS0_8identityIvEEEESI_SL_SM_mSN_SP_bEUlT_E_NS1_11comp_targetILNS1_3genE10ELNS1_11target_archE1201ELNS1_3gpuE5ELNS1_3repE0EEENS1_30default_config_static_selectorELNS0_4arch9wavefront6targetE1EEEvT1_ ; -- Begin function _ZN7rocprim17ROCPRIM_400000_NS6detail17trampoline_kernelINS0_14default_configENS1_25transform_config_selectorIaLb0EEEZNS1_14transform_implILb0ES3_S5_NS0_18transform_iteratorINS0_17counting_iteratorImlEEZNS1_24adjacent_difference_implIS3_Lb1ELb0EPKaPaN6thrust23THRUST_200600_302600_NS4plusIaEEEE10hipError_tPvRmT2_T3_mT4_P12ihipStream_tbEUlmE_aEESD_NS0_8identityIvEEEESI_SL_SM_mSN_SP_bEUlT_E_NS1_11comp_targetILNS1_3genE10ELNS1_11target_archE1201ELNS1_3gpuE5ELNS1_3repE0EEENS1_30default_config_static_selectorELNS0_4arch9wavefront6targetE1EEEvT1_
	.globl	_ZN7rocprim17ROCPRIM_400000_NS6detail17trampoline_kernelINS0_14default_configENS1_25transform_config_selectorIaLb0EEEZNS1_14transform_implILb0ES3_S5_NS0_18transform_iteratorINS0_17counting_iteratorImlEEZNS1_24adjacent_difference_implIS3_Lb1ELb0EPKaPaN6thrust23THRUST_200600_302600_NS4plusIaEEEE10hipError_tPvRmT2_T3_mT4_P12ihipStream_tbEUlmE_aEESD_NS0_8identityIvEEEESI_SL_SM_mSN_SP_bEUlT_E_NS1_11comp_targetILNS1_3genE10ELNS1_11target_archE1201ELNS1_3gpuE5ELNS1_3repE0EEENS1_30default_config_static_selectorELNS0_4arch9wavefront6targetE1EEEvT1_
	.p2align	8
	.type	_ZN7rocprim17ROCPRIM_400000_NS6detail17trampoline_kernelINS0_14default_configENS1_25transform_config_selectorIaLb0EEEZNS1_14transform_implILb0ES3_S5_NS0_18transform_iteratorINS0_17counting_iteratorImlEEZNS1_24adjacent_difference_implIS3_Lb1ELb0EPKaPaN6thrust23THRUST_200600_302600_NS4plusIaEEEE10hipError_tPvRmT2_T3_mT4_P12ihipStream_tbEUlmE_aEESD_NS0_8identityIvEEEESI_SL_SM_mSN_SP_bEUlT_E_NS1_11comp_targetILNS1_3genE10ELNS1_11target_archE1201ELNS1_3gpuE5ELNS1_3repE0EEENS1_30default_config_static_selectorELNS0_4arch9wavefront6targetE1EEEvT1_,@function
_ZN7rocprim17ROCPRIM_400000_NS6detail17trampoline_kernelINS0_14default_configENS1_25transform_config_selectorIaLb0EEEZNS1_14transform_implILb0ES3_S5_NS0_18transform_iteratorINS0_17counting_iteratorImlEEZNS1_24adjacent_difference_implIS3_Lb1ELb0EPKaPaN6thrust23THRUST_200600_302600_NS4plusIaEEEE10hipError_tPvRmT2_T3_mT4_P12ihipStream_tbEUlmE_aEESD_NS0_8identityIvEEEESI_SL_SM_mSN_SP_bEUlT_E_NS1_11comp_targetILNS1_3genE10ELNS1_11target_archE1201ELNS1_3gpuE5ELNS1_3repE0EEENS1_30default_config_static_selectorELNS0_4arch9wavefront6targetE1EEEvT1_: ; @_ZN7rocprim17ROCPRIM_400000_NS6detail17trampoline_kernelINS0_14default_configENS1_25transform_config_selectorIaLb0EEEZNS1_14transform_implILb0ES3_S5_NS0_18transform_iteratorINS0_17counting_iteratorImlEEZNS1_24adjacent_difference_implIS3_Lb1ELb0EPKaPaN6thrust23THRUST_200600_302600_NS4plusIaEEEE10hipError_tPvRmT2_T3_mT4_P12ihipStream_tbEUlmE_aEESD_NS0_8identityIvEEEESI_SL_SM_mSN_SP_bEUlT_E_NS1_11comp_targetILNS1_3genE10ELNS1_11target_archE1201ELNS1_3gpuE5ELNS1_3repE0EEENS1_30default_config_static_selectorELNS0_4arch9wavefront6targetE1EEEvT1_
; %bb.0:
	.section	.rodata,"a",@progbits
	.p2align	6, 0x0
	.amdhsa_kernel _ZN7rocprim17ROCPRIM_400000_NS6detail17trampoline_kernelINS0_14default_configENS1_25transform_config_selectorIaLb0EEEZNS1_14transform_implILb0ES3_S5_NS0_18transform_iteratorINS0_17counting_iteratorImlEEZNS1_24adjacent_difference_implIS3_Lb1ELb0EPKaPaN6thrust23THRUST_200600_302600_NS4plusIaEEEE10hipError_tPvRmT2_T3_mT4_P12ihipStream_tbEUlmE_aEESD_NS0_8identityIvEEEESI_SL_SM_mSN_SP_bEUlT_E_NS1_11comp_targetILNS1_3genE10ELNS1_11target_archE1201ELNS1_3gpuE5ELNS1_3repE0EEENS1_30default_config_static_selectorELNS0_4arch9wavefront6targetE1EEEvT1_
		.amdhsa_group_segment_fixed_size 0
		.amdhsa_private_segment_fixed_size 0
		.amdhsa_kernarg_size 56
		.amdhsa_user_sgpr_count 2
		.amdhsa_user_sgpr_dispatch_ptr 0
		.amdhsa_user_sgpr_queue_ptr 0
		.amdhsa_user_sgpr_kernarg_segment_ptr 1
		.amdhsa_user_sgpr_dispatch_id 0
		.amdhsa_user_sgpr_kernarg_preload_length 0
		.amdhsa_user_sgpr_kernarg_preload_offset 0
		.amdhsa_user_sgpr_private_segment_size 0
		.amdhsa_uses_dynamic_stack 0
		.amdhsa_enable_private_segment 0
		.amdhsa_system_sgpr_workgroup_id_x 1
		.amdhsa_system_sgpr_workgroup_id_y 0
		.amdhsa_system_sgpr_workgroup_id_z 0
		.amdhsa_system_sgpr_workgroup_info 0
		.amdhsa_system_vgpr_workitem_id 0
		.amdhsa_next_free_vgpr 1
		.amdhsa_next_free_sgpr 0
		.amdhsa_accum_offset 4
		.amdhsa_reserve_vcc 0
		.amdhsa_float_round_mode_32 0
		.amdhsa_float_round_mode_16_64 0
		.amdhsa_float_denorm_mode_32 3
		.amdhsa_float_denorm_mode_16_64 3
		.amdhsa_dx10_clamp 1
		.amdhsa_ieee_mode 1
		.amdhsa_fp16_overflow 0
		.amdhsa_tg_split 0
		.amdhsa_exception_fp_ieee_invalid_op 0
		.amdhsa_exception_fp_denorm_src 0
		.amdhsa_exception_fp_ieee_div_zero 0
		.amdhsa_exception_fp_ieee_overflow 0
		.amdhsa_exception_fp_ieee_underflow 0
		.amdhsa_exception_fp_ieee_inexact 0
		.amdhsa_exception_int_div_zero 0
	.end_amdhsa_kernel
	.section	.text._ZN7rocprim17ROCPRIM_400000_NS6detail17trampoline_kernelINS0_14default_configENS1_25transform_config_selectorIaLb0EEEZNS1_14transform_implILb0ES3_S5_NS0_18transform_iteratorINS0_17counting_iteratorImlEEZNS1_24adjacent_difference_implIS3_Lb1ELb0EPKaPaN6thrust23THRUST_200600_302600_NS4plusIaEEEE10hipError_tPvRmT2_T3_mT4_P12ihipStream_tbEUlmE_aEESD_NS0_8identityIvEEEESI_SL_SM_mSN_SP_bEUlT_E_NS1_11comp_targetILNS1_3genE10ELNS1_11target_archE1201ELNS1_3gpuE5ELNS1_3repE0EEENS1_30default_config_static_selectorELNS0_4arch9wavefront6targetE1EEEvT1_,"axG",@progbits,_ZN7rocprim17ROCPRIM_400000_NS6detail17trampoline_kernelINS0_14default_configENS1_25transform_config_selectorIaLb0EEEZNS1_14transform_implILb0ES3_S5_NS0_18transform_iteratorINS0_17counting_iteratorImlEEZNS1_24adjacent_difference_implIS3_Lb1ELb0EPKaPaN6thrust23THRUST_200600_302600_NS4plusIaEEEE10hipError_tPvRmT2_T3_mT4_P12ihipStream_tbEUlmE_aEESD_NS0_8identityIvEEEESI_SL_SM_mSN_SP_bEUlT_E_NS1_11comp_targetILNS1_3genE10ELNS1_11target_archE1201ELNS1_3gpuE5ELNS1_3repE0EEENS1_30default_config_static_selectorELNS0_4arch9wavefront6targetE1EEEvT1_,comdat
.Lfunc_end479:
	.size	_ZN7rocprim17ROCPRIM_400000_NS6detail17trampoline_kernelINS0_14default_configENS1_25transform_config_selectorIaLb0EEEZNS1_14transform_implILb0ES3_S5_NS0_18transform_iteratorINS0_17counting_iteratorImlEEZNS1_24adjacent_difference_implIS3_Lb1ELb0EPKaPaN6thrust23THRUST_200600_302600_NS4plusIaEEEE10hipError_tPvRmT2_T3_mT4_P12ihipStream_tbEUlmE_aEESD_NS0_8identityIvEEEESI_SL_SM_mSN_SP_bEUlT_E_NS1_11comp_targetILNS1_3genE10ELNS1_11target_archE1201ELNS1_3gpuE5ELNS1_3repE0EEENS1_30default_config_static_selectorELNS0_4arch9wavefront6targetE1EEEvT1_, .Lfunc_end479-_ZN7rocprim17ROCPRIM_400000_NS6detail17trampoline_kernelINS0_14default_configENS1_25transform_config_selectorIaLb0EEEZNS1_14transform_implILb0ES3_S5_NS0_18transform_iteratorINS0_17counting_iteratorImlEEZNS1_24adjacent_difference_implIS3_Lb1ELb0EPKaPaN6thrust23THRUST_200600_302600_NS4plusIaEEEE10hipError_tPvRmT2_T3_mT4_P12ihipStream_tbEUlmE_aEESD_NS0_8identityIvEEEESI_SL_SM_mSN_SP_bEUlT_E_NS1_11comp_targetILNS1_3genE10ELNS1_11target_archE1201ELNS1_3gpuE5ELNS1_3repE0EEENS1_30default_config_static_selectorELNS0_4arch9wavefront6targetE1EEEvT1_
                                        ; -- End function
	.section	.AMDGPU.csdata,"",@progbits
; Kernel info:
; codeLenInByte = 0
; NumSgprs: 6
; NumVgprs: 0
; NumAgprs: 0
; TotalNumVgprs: 0
; ScratchSize: 0
; MemoryBound: 0
; FloatMode: 240
; IeeeMode: 1
; LDSByteSize: 0 bytes/workgroup (compile time only)
; SGPRBlocks: 0
; VGPRBlocks: 0
; NumSGPRsForWavesPerEU: 6
; NumVGPRsForWavesPerEU: 1
; AccumOffset: 4
; Occupancy: 8
; WaveLimiterHint : 0
; COMPUTE_PGM_RSRC2:SCRATCH_EN: 0
; COMPUTE_PGM_RSRC2:USER_SGPR: 2
; COMPUTE_PGM_RSRC2:TRAP_HANDLER: 0
; COMPUTE_PGM_RSRC2:TGID_X_EN: 1
; COMPUTE_PGM_RSRC2:TGID_Y_EN: 0
; COMPUTE_PGM_RSRC2:TGID_Z_EN: 0
; COMPUTE_PGM_RSRC2:TIDIG_COMP_CNT: 0
; COMPUTE_PGM_RSRC3_GFX90A:ACCUM_OFFSET: 0
; COMPUTE_PGM_RSRC3_GFX90A:TG_SPLIT: 0
	.section	.text._ZN7rocprim17ROCPRIM_400000_NS6detail17trampoline_kernelINS0_14default_configENS1_25transform_config_selectorIaLb0EEEZNS1_14transform_implILb0ES3_S5_NS0_18transform_iteratorINS0_17counting_iteratorImlEEZNS1_24adjacent_difference_implIS3_Lb1ELb0EPKaPaN6thrust23THRUST_200600_302600_NS4plusIaEEEE10hipError_tPvRmT2_T3_mT4_P12ihipStream_tbEUlmE_aEESD_NS0_8identityIvEEEESI_SL_SM_mSN_SP_bEUlT_E_NS1_11comp_targetILNS1_3genE10ELNS1_11target_archE1200ELNS1_3gpuE4ELNS1_3repE0EEENS1_30default_config_static_selectorELNS0_4arch9wavefront6targetE1EEEvT1_,"axG",@progbits,_ZN7rocprim17ROCPRIM_400000_NS6detail17trampoline_kernelINS0_14default_configENS1_25transform_config_selectorIaLb0EEEZNS1_14transform_implILb0ES3_S5_NS0_18transform_iteratorINS0_17counting_iteratorImlEEZNS1_24adjacent_difference_implIS3_Lb1ELb0EPKaPaN6thrust23THRUST_200600_302600_NS4plusIaEEEE10hipError_tPvRmT2_T3_mT4_P12ihipStream_tbEUlmE_aEESD_NS0_8identityIvEEEESI_SL_SM_mSN_SP_bEUlT_E_NS1_11comp_targetILNS1_3genE10ELNS1_11target_archE1200ELNS1_3gpuE4ELNS1_3repE0EEENS1_30default_config_static_selectorELNS0_4arch9wavefront6targetE1EEEvT1_,comdat
	.protected	_ZN7rocprim17ROCPRIM_400000_NS6detail17trampoline_kernelINS0_14default_configENS1_25transform_config_selectorIaLb0EEEZNS1_14transform_implILb0ES3_S5_NS0_18transform_iteratorINS0_17counting_iteratorImlEEZNS1_24adjacent_difference_implIS3_Lb1ELb0EPKaPaN6thrust23THRUST_200600_302600_NS4plusIaEEEE10hipError_tPvRmT2_T3_mT4_P12ihipStream_tbEUlmE_aEESD_NS0_8identityIvEEEESI_SL_SM_mSN_SP_bEUlT_E_NS1_11comp_targetILNS1_3genE10ELNS1_11target_archE1200ELNS1_3gpuE4ELNS1_3repE0EEENS1_30default_config_static_selectorELNS0_4arch9wavefront6targetE1EEEvT1_ ; -- Begin function _ZN7rocprim17ROCPRIM_400000_NS6detail17trampoline_kernelINS0_14default_configENS1_25transform_config_selectorIaLb0EEEZNS1_14transform_implILb0ES3_S5_NS0_18transform_iteratorINS0_17counting_iteratorImlEEZNS1_24adjacent_difference_implIS3_Lb1ELb0EPKaPaN6thrust23THRUST_200600_302600_NS4plusIaEEEE10hipError_tPvRmT2_T3_mT4_P12ihipStream_tbEUlmE_aEESD_NS0_8identityIvEEEESI_SL_SM_mSN_SP_bEUlT_E_NS1_11comp_targetILNS1_3genE10ELNS1_11target_archE1200ELNS1_3gpuE4ELNS1_3repE0EEENS1_30default_config_static_selectorELNS0_4arch9wavefront6targetE1EEEvT1_
	.globl	_ZN7rocprim17ROCPRIM_400000_NS6detail17trampoline_kernelINS0_14default_configENS1_25transform_config_selectorIaLb0EEEZNS1_14transform_implILb0ES3_S5_NS0_18transform_iteratorINS0_17counting_iteratorImlEEZNS1_24adjacent_difference_implIS3_Lb1ELb0EPKaPaN6thrust23THRUST_200600_302600_NS4plusIaEEEE10hipError_tPvRmT2_T3_mT4_P12ihipStream_tbEUlmE_aEESD_NS0_8identityIvEEEESI_SL_SM_mSN_SP_bEUlT_E_NS1_11comp_targetILNS1_3genE10ELNS1_11target_archE1200ELNS1_3gpuE4ELNS1_3repE0EEENS1_30default_config_static_selectorELNS0_4arch9wavefront6targetE1EEEvT1_
	.p2align	8
	.type	_ZN7rocprim17ROCPRIM_400000_NS6detail17trampoline_kernelINS0_14default_configENS1_25transform_config_selectorIaLb0EEEZNS1_14transform_implILb0ES3_S5_NS0_18transform_iteratorINS0_17counting_iteratorImlEEZNS1_24adjacent_difference_implIS3_Lb1ELb0EPKaPaN6thrust23THRUST_200600_302600_NS4plusIaEEEE10hipError_tPvRmT2_T3_mT4_P12ihipStream_tbEUlmE_aEESD_NS0_8identityIvEEEESI_SL_SM_mSN_SP_bEUlT_E_NS1_11comp_targetILNS1_3genE10ELNS1_11target_archE1200ELNS1_3gpuE4ELNS1_3repE0EEENS1_30default_config_static_selectorELNS0_4arch9wavefront6targetE1EEEvT1_,@function
_ZN7rocprim17ROCPRIM_400000_NS6detail17trampoline_kernelINS0_14default_configENS1_25transform_config_selectorIaLb0EEEZNS1_14transform_implILb0ES3_S5_NS0_18transform_iteratorINS0_17counting_iteratorImlEEZNS1_24adjacent_difference_implIS3_Lb1ELb0EPKaPaN6thrust23THRUST_200600_302600_NS4plusIaEEEE10hipError_tPvRmT2_T3_mT4_P12ihipStream_tbEUlmE_aEESD_NS0_8identityIvEEEESI_SL_SM_mSN_SP_bEUlT_E_NS1_11comp_targetILNS1_3genE10ELNS1_11target_archE1200ELNS1_3gpuE4ELNS1_3repE0EEENS1_30default_config_static_selectorELNS0_4arch9wavefront6targetE1EEEvT1_: ; @_ZN7rocprim17ROCPRIM_400000_NS6detail17trampoline_kernelINS0_14default_configENS1_25transform_config_selectorIaLb0EEEZNS1_14transform_implILb0ES3_S5_NS0_18transform_iteratorINS0_17counting_iteratorImlEEZNS1_24adjacent_difference_implIS3_Lb1ELb0EPKaPaN6thrust23THRUST_200600_302600_NS4plusIaEEEE10hipError_tPvRmT2_T3_mT4_P12ihipStream_tbEUlmE_aEESD_NS0_8identityIvEEEESI_SL_SM_mSN_SP_bEUlT_E_NS1_11comp_targetILNS1_3genE10ELNS1_11target_archE1200ELNS1_3gpuE4ELNS1_3repE0EEENS1_30default_config_static_selectorELNS0_4arch9wavefront6targetE1EEEvT1_
; %bb.0:
	.section	.rodata,"a",@progbits
	.p2align	6, 0x0
	.amdhsa_kernel _ZN7rocprim17ROCPRIM_400000_NS6detail17trampoline_kernelINS0_14default_configENS1_25transform_config_selectorIaLb0EEEZNS1_14transform_implILb0ES3_S5_NS0_18transform_iteratorINS0_17counting_iteratorImlEEZNS1_24adjacent_difference_implIS3_Lb1ELb0EPKaPaN6thrust23THRUST_200600_302600_NS4plusIaEEEE10hipError_tPvRmT2_T3_mT4_P12ihipStream_tbEUlmE_aEESD_NS0_8identityIvEEEESI_SL_SM_mSN_SP_bEUlT_E_NS1_11comp_targetILNS1_3genE10ELNS1_11target_archE1200ELNS1_3gpuE4ELNS1_3repE0EEENS1_30default_config_static_selectorELNS0_4arch9wavefront6targetE1EEEvT1_
		.amdhsa_group_segment_fixed_size 0
		.amdhsa_private_segment_fixed_size 0
		.amdhsa_kernarg_size 56
		.amdhsa_user_sgpr_count 2
		.amdhsa_user_sgpr_dispatch_ptr 0
		.amdhsa_user_sgpr_queue_ptr 0
		.amdhsa_user_sgpr_kernarg_segment_ptr 1
		.amdhsa_user_sgpr_dispatch_id 0
		.amdhsa_user_sgpr_kernarg_preload_length 0
		.amdhsa_user_sgpr_kernarg_preload_offset 0
		.amdhsa_user_sgpr_private_segment_size 0
		.amdhsa_uses_dynamic_stack 0
		.amdhsa_enable_private_segment 0
		.amdhsa_system_sgpr_workgroup_id_x 1
		.amdhsa_system_sgpr_workgroup_id_y 0
		.amdhsa_system_sgpr_workgroup_id_z 0
		.amdhsa_system_sgpr_workgroup_info 0
		.amdhsa_system_vgpr_workitem_id 0
		.amdhsa_next_free_vgpr 1
		.amdhsa_next_free_sgpr 0
		.amdhsa_accum_offset 4
		.amdhsa_reserve_vcc 0
		.amdhsa_float_round_mode_32 0
		.amdhsa_float_round_mode_16_64 0
		.amdhsa_float_denorm_mode_32 3
		.amdhsa_float_denorm_mode_16_64 3
		.amdhsa_dx10_clamp 1
		.amdhsa_ieee_mode 1
		.amdhsa_fp16_overflow 0
		.amdhsa_tg_split 0
		.amdhsa_exception_fp_ieee_invalid_op 0
		.amdhsa_exception_fp_denorm_src 0
		.amdhsa_exception_fp_ieee_div_zero 0
		.amdhsa_exception_fp_ieee_overflow 0
		.amdhsa_exception_fp_ieee_underflow 0
		.amdhsa_exception_fp_ieee_inexact 0
		.amdhsa_exception_int_div_zero 0
	.end_amdhsa_kernel
	.section	.text._ZN7rocprim17ROCPRIM_400000_NS6detail17trampoline_kernelINS0_14default_configENS1_25transform_config_selectorIaLb0EEEZNS1_14transform_implILb0ES3_S5_NS0_18transform_iteratorINS0_17counting_iteratorImlEEZNS1_24adjacent_difference_implIS3_Lb1ELb0EPKaPaN6thrust23THRUST_200600_302600_NS4plusIaEEEE10hipError_tPvRmT2_T3_mT4_P12ihipStream_tbEUlmE_aEESD_NS0_8identityIvEEEESI_SL_SM_mSN_SP_bEUlT_E_NS1_11comp_targetILNS1_3genE10ELNS1_11target_archE1200ELNS1_3gpuE4ELNS1_3repE0EEENS1_30default_config_static_selectorELNS0_4arch9wavefront6targetE1EEEvT1_,"axG",@progbits,_ZN7rocprim17ROCPRIM_400000_NS6detail17trampoline_kernelINS0_14default_configENS1_25transform_config_selectorIaLb0EEEZNS1_14transform_implILb0ES3_S5_NS0_18transform_iteratorINS0_17counting_iteratorImlEEZNS1_24adjacent_difference_implIS3_Lb1ELb0EPKaPaN6thrust23THRUST_200600_302600_NS4plusIaEEEE10hipError_tPvRmT2_T3_mT4_P12ihipStream_tbEUlmE_aEESD_NS0_8identityIvEEEESI_SL_SM_mSN_SP_bEUlT_E_NS1_11comp_targetILNS1_3genE10ELNS1_11target_archE1200ELNS1_3gpuE4ELNS1_3repE0EEENS1_30default_config_static_selectorELNS0_4arch9wavefront6targetE1EEEvT1_,comdat
.Lfunc_end480:
	.size	_ZN7rocprim17ROCPRIM_400000_NS6detail17trampoline_kernelINS0_14default_configENS1_25transform_config_selectorIaLb0EEEZNS1_14transform_implILb0ES3_S5_NS0_18transform_iteratorINS0_17counting_iteratorImlEEZNS1_24adjacent_difference_implIS3_Lb1ELb0EPKaPaN6thrust23THRUST_200600_302600_NS4plusIaEEEE10hipError_tPvRmT2_T3_mT4_P12ihipStream_tbEUlmE_aEESD_NS0_8identityIvEEEESI_SL_SM_mSN_SP_bEUlT_E_NS1_11comp_targetILNS1_3genE10ELNS1_11target_archE1200ELNS1_3gpuE4ELNS1_3repE0EEENS1_30default_config_static_selectorELNS0_4arch9wavefront6targetE1EEEvT1_, .Lfunc_end480-_ZN7rocprim17ROCPRIM_400000_NS6detail17trampoline_kernelINS0_14default_configENS1_25transform_config_selectorIaLb0EEEZNS1_14transform_implILb0ES3_S5_NS0_18transform_iteratorINS0_17counting_iteratorImlEEZNS1_24adjacent_difference_implIS3_Lb1ELb0EPKaPaN6thrust23THRUST_200600_302600_NS4plusIaEEEE10hipError_tPvRmT2_T3_mT4_P12ihipStream_tbEUlmE_aEESD_NS0_8identityIvEEEESI_SL_SM_mSN_SP_bEUlT_E_NS1_11comp_targetILNS1_3genE10ELNS1_11target_archE1200ELNS1_3gpuE4ELNS1_3repE0EEENS1_30default_config_static_selectorELNS0_4arch9wavefront6targetE1EEEvT1_
                                        ; -- End function
	.section	.AMDGPU.csdata,"",@progbits
; Kernel info:
; codeLenInByte = 0
; NumSgprs: 6
; NumVgprs: 0
; NumAgprs: 0
; TotalNumVgprs: 0
; ScratchSize: 0
; MemoryBound: 0
; FloatMode: 240
; IeeeMode: 1
; LDSByteSize: 0 bytes/workgroup (compile time only)
; SGPRBlocks: 0
; VGPRBlocks: 0
; NumSGPRsForWavesPerEU: 6
; NumVGPRsForWavesPerEU: 1
; AccumOffset: 4
; Occupancy: 8
; WaveLimiterHint : 0
; COMPUTE_PGM_RSRC2:SCRATCH_EN: 0
; COMPUTE_PGM_RSRC2:USER_SGPR: 2
; COMPUTE_PGM_RSRC2:TRAP_HANDLER: 0
; COMPUTE_PGM_RSRC2:TGID_X_EN: 1
; COMPUTE_PGM_RSRC2:TGID_Y_EN: 0
; COMPUTE_PGM_RSRC2:TGID_Z_EN: 0
; COMPUTE_PGM_RSRC2:TIDIG_COMP_CNT: 0
; COMPUTE_PGM_RSRC3_GFX90A:ACCUM_OFFSET: 0
; COMPUTE_PGM_RSRC3_GFX90A:TG_SPLIT: 0
	.section	.text._ZN7rocprim17ROCPRIM_400000_NS6detail17trampoline_kernelINS0_14default_configENS1_25transform_config_selectorIaLb0EEEZNS1_14transform_implILb0ES3_S5_NS0_18transform_iteratorINS0_17counting_iteratorImlEEZNS1_24adjacent_difference_implIS3_Lb1ELb0EPKaPaN6thrust23THRUST_200600_302600_NS4plusIaEEEE10hipError_tPvRmT2_T3_mT4_P12ihipStream_tbEUlmE_aEESD_NS0_8identityIvEEEESI_SL_SM_mSN_SP_bEUlT_E_NS1_11comp_targetILNS1_3genE9ELNS1_11target_archE1100ELNS1_3gpuE3ELNS1_3repE0EEENS1_30default_config_static_selectorELNS0_4arch9wavefront6targetE1EEEvT1_,"axG",@progbits,_ZN7rocprim17ROCPRIM_400000_NS6detail17trampoline_kernelINS0_14default_configENS1_25transform_config_selectorIaLb0EEEZNS1_14transform_implILb0ES3_S5_NS0_18transform_iteratorINS0_17counting_iteratorImlEEZNS1_24adjacent_difference_implIS3_Lb1ELb0EPKaPaN6thrust23THRUST_200600_302600_NS4plusIaEEEE10hipError_tPvRmT2_T3_mT4_P12ihipStream_tbEUlmE_aEESD_NS0_8identityIvEEEESI_SL_SM_mSN_SP_bEUlT_E_NS1_11comp_targetILNS1_3genE9ELNS1_11target_archE1100ELNS1_3gpuE3ELNS1_3repE0EEENS1_30default_config_static_selectorELNS0_4arch9wavefront6targetE1EEEvT1_,comdat
	.protected	_ZN7rocprim17ROCPRIM_400000_NS6detail17trampoline_kernelINS0_14default_configENS1_25transform_config_selectorIaLb0EEEZNS1_14transform_implILb0ES3_S5_NS0_18transform_iteratorINS0_17counting_iteratorImlEEZNS1_24adjacent_difference_implIS3_Lb1ELb0EPKaPaN6thrust23THRUST_200600_302600_NS4plusIaEEEE10hipError_tPvRmT2_T3_mT4_P12ihipStream_tbEUlmE_aEESD_NS0_8identityIvEEEESI_SL_SM_mSN_SP_bEUlT_E_NS1_11comp_targetILNS1_3genE9ELNS1_11target_archE1100ELNS1_3gpuE3ELNS1_3repE0EEENS1_30default_config_static_selectorELNS0_4arch9wavefront6targetE1EEEvT1_ ; -- Begin function _ZN7rocprim17ROCPRIM_400000_NS6detail17trampoline_kernelINS0_14default_configENS1_25transform_config_selectorIaLb0EEEZNS1_14transform_implILb0ES3_S5_NS0_18transform_iteratorINS0_17counting_iteratorImlEEZNS1_24adjacent_difference_implIS3_Lb1ELb0EPKaPaN6thrust23THRUST_200600_302600_NS4plusIaEEEE10hipError_tPvRmT2_T3_mT4_P12ihipStream_tbEUlmE_aEESD_NS0_8identityIvEEEESI_SL_SM_mSN_SP_bEUlT_E_NS1_11comp_targetILNS1_3genE9ELNS1_11target_archE1100ELNS1_3gpuE3ELNS1_3repE0EEENS1_30default_config_static_selectorELNS0_4arch9wavefront6targetE1EEEvT1_
	.globl	_ZN7rocprim17ROCPRIM_400000_NS6detail17trampoline_kernelINS0_14default_configENS1_25transform_config_selectorIaLb0EEEZNS1_14transform_implILb0ES3_S5_NS0_18transform_iteratorINS0_17counting_iteratorImlEEZNS1_24adjacent_difference_implIS3_Lb1ELb0EPKaPaN6thrust23THRUST_200600_302600_NS4plusIaEEEE10hipError_tPvRmT2_T3_mT4_P12ihipStream_tbEUlmE_aEESD_NS0_8identityIvEEEESI_SL_SM_mSN_SP_bEUlT_E_NS1_11comp_targetILNS1_3genE9ELNS1_11target_archE1100ELNS1_3gpuE3ELNS1_3repE0EEENS1_30default_config_static_selectorELNS0_4arch9wavefront6targetE1EEEvT1_
	.p2align	8
	.type	_ZN7rocprim17ROCPRIM_400000_NS6detail17trampoline_kernelINS0_14default_configENS1_25transform_config_selectorIaLb0EEEZNS1_14transform_implILb0ES3_S5_NS0_18transform_iteratorINS0_17counting_iteratorImlEEZNS1_24adjacent_difference_implIS3_Lb1ELb0EPKaPaN6thrust23THRUST_200600_302600_NS4plusIaEEEE10hipError_tPvRmT2_T3_mT4_P12ihipStream_tbEUlmE_aEESD_NS0_8identityIvEEEESI_SL_SM_mSN_SP_bEUlT_E_NS1_11comp_targetILNS1_3genE9ELNS1_11target_archE1100ELNS1_3gpuE3ELNS1_3repE0EEENS1_30default_config_static_selectorELNS0_4arch9wavefront6targetE1EEEvT1_,@function
_ZN7rocprim17ROCPRIM_400000_NS6detail17trampoline_kernelINS0_14default_configENS1_25transform_config_selectorIaLb0EEEZNS1_14transform_implILb0ES3_S5_NS0_18transform_iteratorINS0_17counting_iteratorImlEEZNS1_24adjacent_difference_implIS3_Lb1ELb0EPKaPaN6thrust23THRUST_200600_302600_NS4plusIaEEEE10hipError_tPvRmT2_T3_mT4_P12ihipStream_tbEUlmE_aEESD_NS0_8identityIvEEEESI_SL_SM_mSN_SP_bEUlT_E_NS1_11comp_targetILNS1_3genE9ELNS1_11target_archE1100ELNS1_3gpuE3ELNS1_3repE0EEENS1_30default_config_static_selectorELNS0_4arch9wavefront6targetE1EEEvT1_: ; @_ZN7rocprim17ROCPRIM_400000_NS6detail17trampoline_kernelINS0_14default_configENS1_25transform_config_selectorIaLb0EEEZNS1_14transform_implILb0ES3_S5_NS0_18transform_iteratorINS0_17counting_iteratorImlEEZNS1_24adjacent_difference_implIS3_Lb1ELb0EPKaPaN6thrust23THRUST_200600_302600_NS4plusIaEEEE10hipError_tPvRmT2_T3_mT4_P12ihipStream_tbEUlmE_aEESD_NS0_8identityIvEEEESI_SL_SM_mSN_SP_bEUlT_E_NS1_11comp_targetILNS1_3genE9ELNS1_11target_archE1100ELNS1_3gpuE3ELNS1_3repE0EEENS1_30default_config_static_selectorELNS0_4arch9wavefront6targetE1EEEvT1_
; %bb.0:
	.section	.rodata,"a",@progbits
	.p2align	6, 0x0
	.amdhsa_kernel _ZN7rocprim17ROCPRIM_400000_NS6detail17trampoline_kernelINS0_14default_configENS1_25transform_config_selectorIaLb0EEEZNS1_14transform_implILb0ES3_S5_NS0_18transform_iteratorINS0_17counting_iteratorImlEEZNS1_24adjacent_difference_implIS3_Lb1ELb0EPKaPaN6thrust23THRUST_200600_302600_NS4plusIaEEEE10hipError_tPvRmT2_T3_mT4_P12ihipStream_tbEUlmE_aEESD_NS0_8identityIvEEEESI_SL_SM_mSN_SP_bEUlT_E_NS1_11comp_targetILNS1_3genE9ELNS1_11target_archE1100ELNS1_3gpuE3ELNS1_3repE0EEENS1_30default_config_static_selectorELNS0_4arch9wavefront6targetE1EEEvT1_
		.amdhsa_group_segment_fixed_size 0
		.amdhsa_private_segment_fixed_size 0
		.amdhsa_kernarg_size 56
		.amdhsa_user_sgpr_count 2
		.amdhsa_user_sgpr_dispatch_ptr 0
		.amdhsa_user_sgpr_queue_ptr 0
		.amdhsa_user_sgpr_kernarg_segment_ptr 1
		.amdhsa_user_sgpr_dispatch_id 0
		.amdhsa_user_sgpr_kernarg_preload_length 0
		.amdhsa_user_sgpr_kernarg_preload_offset 0
		.amdhsa_user_sgpr_private_segment_size 0
		.amdhsa_uses_dynamic_stack 0
		.amdhsa_enable_private_segment 0
		.amdhsa_system_sgpr_workgroup_id_x 1
		.amdhsa_system_sgpr_workgroup_id_y 0
		.amdhsa_system_sgpr_workgroup_id_z 0
		.amdhsa_system_sgpr_workgroup_info 0
		.amdhsa_system_vgpr_workitem_id 0
		.amdhsa_next_free_vgpr 1
		.amdhsa_next_free_sgpr 0
		.amdhsa_accum_offset 4
		.amdhsa_reserve_vcc 0
		.amdhsa_float_round_mode_32 0
		.amdhsa_float_round_mode_16_64 0
		.amdhsa_float_denorm_mode_32 3
		.amdhsa_float_denorm_mode_16_64 3
		.amdhsa_dx10_clamp 1
		.amdhsa_ieee_mode 1
		.amdhsa_fp16_overflow 0
		.amdhsa_tg_split 0
		.amdhsa_exception_fp_ieee_invalid_op 0
		.amdhsa_exception_fp_denorm_src 0
		.amdhsa_exception_fp_ieee_div_zero 0
		.amdhsa_exception_fp_ieee_overflow 0
		.amdhsa_exception_fp_ieee_underflow 0
		.amdhsa_exception_fp_ieee_inexact 0
		.amdhsa_exception_int_div_zero 0
	.end_amdhsa_kernel
	.section	.text._ZN7rocprim17ROCPRIM_400000_NS6detail17trampoline_kernelINS0_14default_configENS1_25transform_config_selectorIaLb0EEEZNS1_14transform_implILb0ES3_S5_NS0_18transform_iteratorINS0_17counting_iteratorImlEEZNS1_24adjacent_difference_implIS3_Lb1ELb0EPKaPaN6thrust23THRUST_200600_302600_NS4plusIaEEEE10hipError_tPvRmT2_T3_mT4_P12ihipStream_tbEUlmE_aEESD_NS0_8identityIvEEEESI_SL_SM_mSN_SP_bEUlT_E_NS1_11comp_targetILNS1_3genE9ELNS1_11target_archE1100ELNS1_3gpuE3ELNS1_3repE0EEENS1_30default_config_static_selectorELNS0_4arch9wavefront6targetE1EEEvT1_,"axG",@progbits,_ZN7rocprim17ROCPRIM_400000_NS6detail17trampoline_kernelINS0_14default_configENS1_25transform_config_selectorIaLb0EEEZNS1_14transform_implILb0ES3_S5_NS0_18transform_iteratorINS0_17counting_iteratorImlEEZNS1_24adjacent_difference_implIS3_Lb1ELb0EPKaPaN6thrust23THRUST_200600_302600_NS4plusIaEEEE10hipError_tPvRmT2_T3_mT4_P12ihipStream_tbEUlmE_aEESD_NS0_8identityIvEEEESI_SL_SM_mSN_SP_bEUlT_E_NS1_11comp_targetILNS1_3genE9ELNS1_11target_archE1100ELNS1_3gpuE3ELNS1_3repE0EEENS1_30default_config_static_selectorELNS0_4arch9wavefront6targetE1EEEvT1_,comdat
.Lfunc_end481:
	.size	_ZN7rocprim17ROCPRIM_400000_NS6detail17trampoline_kernelINS0_14default_configENS1_25transform_config_selectorIaLb0EEEZNS1_14transform_implILb0ES3_S5_NS0_18transform_iteratorINS0_17counting_iteratorImlEEZNS1_24adjacent_difference_implIS3_Lb1ELb0EPKaPaN6thrust23THRUST_200600_302600_NS4plusIaEEEE10hipError_tPvRmT2_T3_mT4_P12ihipStream_tbEUlmE_aEESD_NS0_8identityIvEEEESI_SL_SM_mSN_SP_bEUlT_E_NS1_11comp_targetILNS1_3genE9ELNS1_11target_archE1100ELNS1_3gpuE3ELNS1_3repE0EEENS1_30default_config_static_selectorELNS0_4arch9wavefront6targetE1EEEvT1_, .Lfunc_end481-_ZN7rocprim17ROCPRIM_400000_NS6detail17trampoline_kernelINS0_14default_configENS1_25transform_config_selectorIaLb0EEEZNS1_14transform_implILb0ES3_S5_NS0_18transform_iteratorINS0_17counting_iteratorImlEEZNS1_24adjacent_difference_implIS3_Lb1ELb0EPKaPaN6thrust23THRUST_200600_302600_NS4plusIaEEEE10hipError_tPvRmT2_T3_mT4_P12ihipStream_tbEUlmE_aEESD_NS0_8identityIvEEEESI_SL_SM_mSN_SP_bEUlT_E_NS1_11comp_targetILNS1_3genE9ELNS1_11target_archE1100ELNS1_3gpuE3ELNS1_3repE0EEENS1_30default_config_static_selectorELNS0_4arch9wavefront6targetE1EEEvT1_
                                        ; -- End function
	.section	.AMDGPU.csdata,"",@progbits
; Kernel info:
; codeLenInByte = 0
; NumSgprs: 6
; NumVgprs: 0
; NumAgprs: 0
; TotalNumVgprs: 0
; ScratchSize: 0
; MemoryBound: 0
; FloatMode: 240
; IeeeMode: 1
; LDSByteSize: 0 bytes/workgroup (compile time only)
; SGPRBlocks: 0
; VGPRBlocks: 0
; NumSGPRsForWavesPerEU: 6
; NumVGPRsForWavesPerEU: 1
; AccumOffset: 4
; Occupancy: 8
; WaveLimiterHint : 0
; COMPUTE_PGM_RSRC2:SCRATCH_EN: 0
; COMPUTE_PGM_RSRC2:USER_SGPR: 2
; COMPUTE_PGM_RSRC2:TRAP_HANDLER: 0
; COMPUTE_PGM_RSRC2:TGID_X_EN: 1
; COMPUTE_PGM_RSRC2:TGID_Y_EN: 0
; COMPUTE_PGM_RSRC2:TGID_Z_EN: 0
; COMPUTE_PGM_RSRC2:TIDIG_COMP_CNT: 0
; COMPUTE_PGM_RSRC3_GFX90A:ACCUM_OFFSET: 0
; COMPUTE_PGM_RSRC3_GFX90A:TG_SPLIT: 0
	.section	.text._ZN7rocprim17ROCPRIM_400000_NS6detail17trampoline_kernelINS0_14default_configENS1_25transform_config_selectorIaLb0EEEZNS1_14transform_implILb0ES3_S5_NS0_18transform_iteratorINS0_17counting_iteratorImlEEZNS1_24adjacent_difference_implIS3_Lb1ELb0EPKaPaN6thrust23THRUST_200600_302600_NS4plusIaEEEE10hipError_tPvRmT2_T3_mT4_P12ihipStream_tbEUlmE_aEESD_NS0_8identityIvEEEESI_SL_SM_mSN_SP_bEUlT_E_NS1_11comp_targetILNS1_3genE8ELNS1_11target_archE1030ELNS1_3gpuE2ELNS1_3repE0EEENS1_30default_config_static_selectorELNS0_4arch9wavefront6targetE1EEEvT1_,"axG",@progbits,_ZN7rocprim17ROCPRIM_400000_NS6detail17trampoline_kernelINS0_14default_configENS1_25transform_config_selectorIaLb0EEEZNS1_14transform_implILb0ES3_S5_NS0_18transform_iteratorINS0_17counting_iteratorImlEEZNS1_24adjacent_difference_implIS3_Lb1ELb0EPKaPaN6thrust23THRUST_200600_302600_NS4plusIaEEEE10hipError_tPvRmT2_T3_mT4_P12ihipStream_tbEUlmE_aEESD_NS0_8identityIvEEEESI_SL_SM_mSN_SP_bEUlT_E_NS1_11comp_targetILNS1_3genE8ELNS1_11target_archE1030ELNS1_3gpuE2ELNS1_3repE0EEENS1_30default_config_static_selectorELNS0_4arch9wavefront6targetE1EEEvT1_,comdat
	.protected	_ZN7rocprim17ROCPRIM_400000_NS6detail17trampoline_kernelINS0_14default_configENS1_25transform_config_selectorIaLb0EEEZNS1_14transform_implILb0ES3_S5_NS0_18transform_iteratorINS0_17counting_iteratorImlEEZNS1_24adjacent_difference_implIS3_Lb1ELb0EPKaPaN6thrust23THRUST_200600_302600_NS4plusIaEEEE10hipError_tPvRmT2_T3_mT4_P12ihipStream_tbEUlmE_aEESD_NS0_8identityIvEEEESI_SL_SM_mSN_SP_bEUlT_E_NS1_11comp_targetILNS1_3genE8ELNS1_11target_archE1030ELNS1_3gpuE2ELNS1_3repE0EEENS1_30default_config_static_selectorELNS0_4arch9wavefront6targetE1EEEvT1_ ; -- Begin function _ZN7rocprim17ROCPRIM_400000_NS6detail17trampoline_kernelINS0_14default_configENS1_25transform_config_selectorIaLb0EEEZNS1_14transform_implILb0ES3_S5_NS0_18transform_iteratorINS0_17counting_iteratorImlEEZNS1_24adjacent_difference_implIS3_Lb1ELb0EPKaPaN6thrust23THRUST_200600_302600_NS4plusIaEEEE10hipError_tPvRmT2_T3_mT4_P12ihipStream_tbEUlmE_aEESD_NS0_8identityIvEEEESI_SL_SM_mSN_SP_bEUlT_E_NS1_11comp_targetILNS1_3genE8ELNS1_11target_archE1030ELNS1_3gpuE2ELNS1_3repE0EEENS1_30default_config_static_selectorELNS0_4arch9wavefront6targetE1EEEvT1_
	.globl	_ZN7rocprim17ROCPRIM_400000_NS6detail17trampoline_kernelINS0_14default_configENS1_25transform_config_selectorIaLb0EEEZNS1_14transform_implILb0ES3_S5_NS0_18transform_iteratorINS0_17counting_iteratorImlEEZNS1_24adjacent_difference_implIS3_Lb1ELb0EPKaPaN6thrust23THRUST_200600_302600_NS4plusIaEEEE10hipError_tPvRmT2_T3_mT4_P12ihipStream_tbEUlmE_aEESD_NS0_8identityIvEEEESI_SL_SM_mSN_SP_bEUlT_E_NS1_11comp_targetILNS1_3genE8ELNS1_11target_archE1030ELNS1_3gpuE2ELNS1_3repE0EEENS1_30default_config_static_selectorELNS0_4arch9wavefront6targetE1EEEvT1_
	.p2align	8
	.type	_ZN7rocprim17ROCPRIM_400000_NS6detail17trampoline_kernelINS0_14default_configENS1_25transform_config_selectorIaLb0EEEZNS1_14transform_implILb0ES3_S5_NS0_18transform_iteratorINS0_17counting_iteratorImlEEZNS1_24adjacent_difference_implIS3_Lb1ELb0EPKaPaN6thrust23THRUST_200600_302600_NS4plusIaEEEE10hipError_tPvRmT2_T3_mT4_P12ihipStream_tbEUlmE_aEESD_NS0_8identityIvEEEESI_SL_SM_mSN_SP_bEUlT_E_NS1_11comp_targetILNS1_3genE8ELNS1_11target_archE1030ELNS1_3gpuE2ELNS1_3repE0EEENS1_30default_config_static_selectorELNS0_4arch9wavefront6targetE1EEEvT1_,@function
_ZN7rocprim17ROCPRIM_400000_NS6detail17trampoline_kernelINS0_14default_configENS1_25transform_config_selectorIaLb0EEEZNS1_14transform_implILb0ES3_S5_NS0_18transform_iteratorINS0_17counting_iteratorImlEEZNS1_24adjacent_difference_implIS3_Lb1ELb0EPKaPaN6thrust23THRUST_200600_302600_NS4plusIaEEEE10hipError_tPvRmT2_T3_mT4_P12ihipStream_tbEUlmE_aEESD_NS0_8identityIvEEEESI_SL_SM_mSN_SP_bEUlT_E_NS1_11comp_targetILNS1_3genE8ELNS1_11target_archE1030ELNS1_3gpuE2ELNS1_3repE0EEENS1_30default_config_static_selectorELNS0_4arch9wavefront6targetE1EEEvT1_: ; @_ZN7rocprim17ROCPRIM_400000_NS6detail17trampoline_kernelINS0_14default_configENS1_25transform_config_selectorIaLb0EEEZNS1_14transform_implILb0ES3_S5_NS0_18transform_iteratorINS0_17counting_iteratorImlEEZNS1_24adjacent_difference_implIS3_Lb1ELb0EPKaPaN6thrust23THRUST_200600_302600_NS4plusIaEEEE10hipError_tPvRmT2_T3_mT4_P12ihipStream_tbEUlmE_aEESD_NS0_8identityIvEEEESI_SL_SM_mSN_SP_bEUlT_E_NS1_11comp_targetILNS1_3genE8ELNS1_11target_archE1030ELNS1_3gpuE2ELNS1_3repE0EEENS1_30default_config_static_selectorELNS0_4arch9wavefront6targetE1EEEvT1_
; %bb.0:
	.section	.rodata,"a",@progbits
	.p2align	6, 0x0
	.amdhsa_kernel _ZN7rocprim17ROCPRIM_400000_NS6detail17trampoline_kernelINS0_14default_configENS1_25transform_config_selectorIaLb0EEEZNS1_14transform_implILb0ES3_S5_NS0_18transform_iteratorINS0_17counting_iteratorImlEEZNS1_24adjacent_difference_implIS3_Lb1ELb0EPKaPaN6thrust23THRUST_200600_302600_NS4plusIaEEEE10hipError_tPvRmT2_T3_mT4_P12ihipStream_tbEUlmE_aEESD_NS0_8identityIvEEEESI_SL_SM_mSN_SP_bEUlT_E_NS1_11comp_targetILNS1_3genE8ELNS1_11target_archE1030ELNS1_3gpuE2ELNS1_3repE0EEENS1_30default_config_static_selectorELNS0_4arch9wavefront6targetE1EEEvT1_
		.amdhsa_group_segment_fixed_size 0
		.amdhsa_private_segment_fixed_size 0
		.amdhsa_kernarg_size 56
		.amdhsa_user_sgpr_count 2
		.amdhsa_user_sgpr_dispatch_ptr 0
		.amdhsa_user_sgpr_queue_ptr 0
		.amdhsa_user_sgpr_kernarg_segment_ptr 1
		.amdhsa_user_sgpr_dispatch_id 0
		.amdhsa_user_sgpr_kernarg_preload_length 0
		.amdhsa_user_sgpr_kernarg_preload_offset 0
		.amdhsa_user_sgpr_private_segment_size 0
		.amdhsa_uses_dynamic_stack 0
		.amdhsa_enable_private_segment 0
		.amdhsa_system_sgpr_workgroup_id_x 1
		.amdhsa_system_sgpr_workgroup_id_y 0
		.amdhsa_system_sgpr_workgroup_id_z 0
		.amdhsa_system_sgpr_workgroup_info 0
		.amdhsa_system_vgpr_workitem_id 0
		.amdhsa_next_free_vgpr 1
		.amdhsa_next_free_sgpr 0
		.amdhsa_accum_offset 4
		.amdhsa_reserve_vcc 0
		.amdhsa_float_round_mode_32 0
		.amdhsa_float_round_mode_16_64 0
		.amdhsa_float_denorm_mode_32 3
		.amdhsa_float_denorm_mode_16_64 3
		.amdhsa_dx10_clamp 1
		.amdhsa_ieee_mode 1
		.amdhsa_fp16_overflow 0
		.amdhsa_tg_split 0
		.amdhsa_exception_fp_ieee_invalid_op 0
		.amdhsa_exception_fp_denorm_src 0
		.amdhsa_exception_fp_ieee_div_zero 0
		.amdhsa_exception_fp_ieee_overflow 0
		.amdhsa_exception_fp_ieee_underflow 0
		.amdhsa_exception_fp_ieee_inexact 0
		.amdhsa_exception_int_div_zero 0
	.end_amdhsa_kernel
	.section	.text._ZN7rocprim17ROCPRIM_400000_NS6detail17trampoline_kernelINS0_14default_configENS1_25transform_config_selectorIaLb0EEEZNS1_14transform_implILb0ES3_S5_NS0_18transform_iteratorINS0_17counting_iteratorImlEEZNS1_24adjacent_difference_implIS3_Lb1ELb0EPKaPaN6thrust23THRUST_200600_302600_NS4plusIaEEEE10hipError_tPvRmT2_T3_mT4_P12ihipStream_tbEUlmE_aEESD_NS0_8identityIvEEEESI_SL_SM_mSN_SP_bEUlT_E_NS1_11comp_targetILNS1_3genE8ELNS1_11target_archE1030ELNS1_3gpuE2ELNS1_3repE0EEENS1_30default_config_static_selectorELNS0_4arch9wavefront6targetE1EEEvT1_,"axG",@progbits,_ZN7rocprim17ROCPRIM_400000_NS6detail17trampoline_kernelINS0_14default_configENS1_25transform_config_selectorIaLb0EEEZNS1_14transform_implILb0ES3_S5_NS0_18transform_iteratorINS0_17counting_iteratorImlEEZNS1_24adjacent_difference_implIS3_Lb1ELb0EPKaPaN6thrust23THRUST_200600_302600_NS4plusIaEEEE10hipError_tPvRmT2_T3_mT4_P12ihipStream_tbEUlmE_aEESD_NS0_8identityIvEEEESI_SL_SM_mSN_SP_bEUlT_E_NS1_11comp_targetILNS1_3genE8ELNS1_11target_archE1030ELNS1_3gpuE2ELNS1_3repE0EEENS1_30default_config_static_selectorELNS0_4arch9wavefront6targetE1EEEvT1_,comdat
.Lfunc_end482:
	.size	_ZN7rocprim17ROCPRIM_400000_NS6detail17trampoline_kernelINS0_14default_configENS1_25transform_config_selectorIaLb0EEEZNS1_14transform_implILb0ES3_S5_NS0_18transform_iteratorINS0_17counting_iteratorImlEEZNS1_24adjacent_difference_implIS3_Lb1ELb0EPKaPaN6thrust23THRUST_200600_302600_NS4plusIaEEEE10hipError_tPvRmT2_T3_mT4_P12ihipStream_tbEUlmE_aEESD_NS0_8identityIvEEEESI_SL_SM_mSN_SP_bEUlT_E_NS1_11comp_targetILNS1_3genE8ELNS1_11target_archE1030ELNS1_3gpuE2ELNS1_3repE0EEENS1_30default_config_static_selectorELNS0_4arch9wavefront6targetE1EEEvT1_, .Lfunc_end482-_ZN7rocprim17ROCPRIM_400000_NS6detail17trampoline_kernelINS0_14default_configENS1_25transform_config_selectorIaLb0EEEZNS1_14transform_implILb0ES3_S5_NS0_18transform_iteratorINS0_17counting_iteratorImlEEZNS1_24adjacent_difference_implIS3_Lb1ELb0EPKaPaN6thrust23THRUST_200600_302600_NS4plusIaEEEE10hipError_tPvRmT2_T3_mT4_P12ihipStream_tbEUlmE_aEESD_NS0_8identityIvEEEESI_SL_SM_mSN_SP_bEUlT_E_NS1_11comp_targetILNS1_3genE8ELNS1_11target_archE1030ELNS1_3gpuE2ELNS1_3repE0EEENS1_30default_config_static_selectorELNS0_4arch9wavefront6targetE1EEEvT1_
                                        ; -- End function
	.section	.AMDGPU.csdata,"",@progbits
; Kernel info:
; codeLenInByte = 0
; NumSgprs: 6
; NumVgprs: 0
; NumAgprs: 0
; TotalNumVgprs: 0
; ScratchSize: 0
; MemoryBound: 0
; FloatMode: 240
; IeeeMode: 1
; LDSByteSize: 0 bytes/workgroup (compile time only)
; SGPRBlocks: 0
; VGPRBlocks: 0
; NumSGPRsForWavesPerEU: 6
; NumVGPRsForWavesPerEU: 1
; AccumOffset: 4
; Occupancy: 8
; WaveLimiterHint : 0
; COMPUTE_PGM_RSRC2:SCRATCH_EN: 0
; COMPUTE_PGM_RSRC2:USER_SGPR: 2
; COMPUTE_PGM_RSRC2:TRAP_HANDLER: 0
; COMPUTE_PGM_RSRC2:TGID_X_EN: 1
; COMPUTE_PGM_RSRC2:TGID_Y_EN: 0
; COMPUTE_PGM_RSRC2:TGID_Z_EN: 0
; COMPUTE_PGM_RSRC2:TIDIG_COMP_CNT: 0
; COMPUTE_PGM_RSRC3_GFX90A:ACCUM_OFFSET: 0
; COMPUTE_PGM_RSRC3_GFX90A:TG_SPLIT: 0
	.section	.text._ZN7rocprim17ROCPRIM_400000_NS6detail17trampoline_kernelINS0_14default_configENS1_35adjacent_difference_config_selectorILb1EaEEZNS1_24adjacent_difference_implIS3_Lb1ELb0EPKaPaN6thrust23THRUST_200600_302600_NS4plusIaEEEE10hipError_tPvRmT2_T3_mT4_P12ihipStream_tbEUlT_E_NS1_11comp_targetILNS1_3genE0ELNS1_11target_archE4294967295ELNS1_3gpuE0ELNS1_3repE0EEENS1_30default_config_static_selectorELNS0_4arch9wavefront6targetE1EEEvT1_,"axG",@progbits,_ZN7rocprim17ROCPRIM_400000_NS6detail17trampoline_kernelINS0_14default_configENS1_35adjacent_difference_config_selectorILb1EaEEZNS1_24adjacent_difference_implIS3_Lb1ELb0EPKaPaN6thrust23THRUST_200600_302600_NS4plusIaEEEE10hipError_tPvRmT2_T3_mT4_P12ihipStream_tbEUlT_E_NS1_11comp_targetILNS1_3genE0ELNS1_11target_archE4294967295ELNS1_3gpuE0ELNS1_3repE0EEENS1_30default_config_static_selectorELNS0_4arch9wavefront6targetE1EEEvT1_,comdat
	.protected	_ZN7rocprim17ROCPRIM_400000_NS6detail17trampoline_kernelINS0_14default_configENS1_35adjacent_difference_config_selectorILb1EaEEZNS1_24adjacent_difference_implIS3_Lb1ELb0EPKaPaN6thrust23THRUST_200600_302600_NS4plusIaEEEE10hipError_tPvRmT2_T3_mT4_P12ihipStream_tbEUlT_E_NS1_11comp_targetILNS1_3genE0ELNS1_11target_archE4294967295ELNS1_3gpuE0ELNS1_3repE0EEENS1_30default_config_static_selectorELNS0_4arch9wavefront6targetE1EEEvT1_ ; -- Begin function _ZN7rocprim17ROCPRIM_400000_NS6detail17trampoline_kernelINS0_14default_configENS1_35adjacent_difference_config_selectorILb1EaEEZNS1_24adjacent_difference_implIS3_Lb1ELb0EPKaPaN6thrust23THRUST_200600_302600_NS4plusIaEEEE10hipError_tPvRmT2_T3_mT4_P12ihipStream_tbEUlT_E_NS1_11comp_targetILNS1_3genE0ELNS1_11target_archE4294967295ELNS1_3gpuE0ELNS1_3repE0EEENS1_30default_config_static_selectorELNS0_4arch9wavefront6targetE1EEEvT1_
	.globl	_ZN7rocprim17ROCPRIM_400000_NS6detail17trampoline_kernelINS0_14default_configENS1_35adjacent_difference_config_selectorILb1EaEEZNS1_24adjacent_difference_implIS3_Lb1ELb0EPKaPaN6thrust23THRUST_200600_302600_NS4plusIaEEEE10hipError_tPvRmT2_T3_mT4_P12ihipStream_tbEUlT_E_NS1_11comp_targetILNS1_3genE0ELNS1_11target_archE4294967295ELNS1_3gpuE0ELNS1_3repE0EEENS1_30default_config_static_selectorELNS0_4arch9wavefront6targetE1EEEvT1_
	.p2align	8
	.type	_ZN7rocprim17ROCPRIM_400000_NS6detail17trampoline_kernelINS0_14default_configENS1_35adjacent_difference_config_selectorILb1EaEEZNS1_24adjacent_difference_implIS3_Lb1ELb0EPKaPaN6thrust23THRUST_200600_302600_NS4plusIaEEEE10hipError_tPvRmT2_T3_mT4_P12ihipStream_tbEUlT_E_NS1_11comp_targetILNS1_3genE0ELNS1_11target_archE4294967295ELNS1_3gpuE0ELNS1_3repE0EEENS1_30default_config_static_selectorELNS0_4arch9wavefront6targetE1EEEvT1_,@function
_ZN7rocprim17ROCPRIM_400000_NS6detail17trampoline_kernelINS0_14default_configENS1_35adjacent_difference_config_selectorILb1EaEEZNS1_24adjacent_difference_implIS3_Lb1ELb0EPKaPaN6thrust23THRUST_200600_302600_NS4plusIaEEEE10hipError_tPvRmT2_T3_mT4_P12ihipStream_tbEUlT_E_NS1_11comp_targetILNS1_3genE0ELNS1_11target_archE4294967295ELNS1_3gpuE0ELNS1_3repE0EEENS1_30default_config_static_selectorELNS0_4arch9wavefront6targetE1EEEvT1_: ; @_ZN7rocprim17ROCPRIM_400000_NS6detail17trampoline_kernelINS0_14default_configENS1_35adjacent_difference_config_selectorILb1EaEEZNS1_24adjacent_difference_implIS3_Lb1ELb0EPKaPaN6thrust23THRUST_200600_302600_NS4plusIaEEEE10hipError_tPvRmT2_T3_mT4_P12ihipStream_tbEUlT_E_NS1_11comp_targetILNS1_3genE0ELNS1_11target_archE4294967295ELNS1_3gpuE0ELNS1_3repE0EEENS1_30default_config_static_selectorELNS0_4arch9wavefront6targetE1EEEvT1_
; %bb.0:
	.section	.rodata,"a",@progbits
	.p2align	6, 0x0
	.amdhsa_kernel _ZN7rocprim17ROCPRIM_400000_NS6detail17trampoline_kernelINS0_14default_configENS1_35adjacent_difference_config_selectorILb1EaEEZNS1_24adjacent_difference_implIS3_Lb1ELb0EPKaPaN6thrust23THRUST_200600_302600_NS4plusIaEEEE10hipError_tPvRmT2_T3_mT4_P12ihipStream_tbEUlT_E_NS1_11comp_targetILNS1_3genE0ELNS1_11target_archE4294967295ELNS1_3gpuE0ELNS1_3repE0EEENS1_30default_config_static_selectorELNS0_4arch9wavefront6targetE1EEEvT1_
		.amdhsa_group_segment_fixed_size 0
		.amdhsa_private_segment_fixed_size 0
		.amdhsa_kernarg_size 56
		.amdhsa_user_sgpr_count 2
		.amdhsa_user_sgpr_dispatch_ptr 0
		.amdhsa_user_sgpr_queue_ptr 0
		.amdhsa_user_sgpr_kernarg_segment_ptr 1
		.amdhsa_user_sgpr_dispatch_id 0
		.amdhsa_user_sgpr_kernarg_preload_length 0
		.amdhsa_user_sgpr_kernarg_preload_offset 0
		.amdhsa_user_sgpr_private_segment_size 0
		.amdhsa_uses_dynamic_stack 0
		.amdhsa_enable_private_segment 0
		.amdhsa_system_sgpr_workgroup_id_x 1
		.amdhsa_system_sgpr_workgroup_id_y 0
		.amdhsa_system_sgpr_workgroup_id_z 0
		.amdhsa_system_sgpr_workgroup_info 0
		.amdhsa_system_vgpr_workitem_id 0
		.amdhsa_next_free_vgpr 1
		.amdhsa_next_free_sgpr 0
		.amdhsa_accum_offset 4
		.amdhsa_reserve_vcc 0
		.amdhsa_float_round_mode_32 0
		.amdhsa_float_round_mode_16_64 0
		.amdhsa_float_denorm_mode_32 3
		.amdhsa_float_denorm_mode_16_64 3
		.amdhsa_dx10_clamp 1
		.amdhsa_ieee_mode 1
		.amdhsa_fp16_overflow 0
		.amdhsa_tg_split 0
		.amdhsa_exception_fp_ieee_invalid_op 0
		.amdhsa_exception_fp_denorm_src 0
		.amdhsa_exception_fp_ieee_div_zero 0
		.amdhsa_exception_fp_ieee_overflow 0
		.amdhsa_exception_fp_ieee_underflow 0
		.amdhsa_exception_fp_ieee_inexact 0
		.amdhsa_exception_int_div_zero 0
	.end_amdhsa_kernel
	.section	.text._ZN7rocprim17ROCPRIM_400000_NS6detail17trampoline_kernelINS0_14default_configENS1_35adjacent_difference_config_selectorILb1EaEEZNS1_24adjacent_difference_implIS3_Lb1ELb0EPKaPaN6thrust23THRUST_200600_302600_NS4plusIaEEEE10hipError_tPvRmT2_T3_mT4_P12ihipStream_tbEUlT_E_NS1_11comp_targetILNS1_3genE0ELNS1_11target_archE4294967295ELNS1_3gpuE0ELNS1_3repE0EEENS1_30default_config_static_selectorELNS0_4arch9wavefront6targetE1EEEvT1_,"axG",@progbits,_ZN7rocprim17ROCPRIM_400000_NS6detail17trampoline_kernelINS0_14default_configENS1_35adjacent_difference_config_selectorILb1EaEEZNS1_24adjacent_difference_implIS3_Lb1ELb0EPKaPaN6thrust23THRUST_200600_302600_NS4plusIaEEEE10hipError_tPvRmT2_T3_mT4_P12ihipStream_tbEUlT_E_NS1_11comp_targetILNS1_3genE0ELNS1_11target_archE4294967295ELNS1_3gpuE0ELNS1_3repE0EEENS1_30default_config_static_selectorELNS0_4arch9wavefront6targetE1EEEvT1_,comdat
.Lfunc_end483:
	.size	_ZN7rocprim17ROCPRIM_400000_NS6detail17trampoline_kernelINS0_14default_configENS1_35adjacent_difference_config_selectorILb1EaEEZNS1_24adjacent_difference_implIS3_Lb1ELb0EPKaPaN6thrust23THRUST_200600_302600_NS4plusIaEEEE10hipError_tPvRmT2_T3_mT4_P12ihipStream_tbEUlT_E_NS1_11comp_targetILNS1_3genE0ELNS1_11target_archE4294967295ELNS1_3gpuE0ELNS1_3repE0EEENS1_30default_config_static_selectorELNS0_4arch9wavefront6targetE1EEEvT1_, .Lfunc_end483-_ZN7rocprim17ROCPRIM_400000_NS6detail17trampoline_kernelINS0_14default_configENS1_35adjacent_difference_config_selectorILb1EaEEZNS1_24adjacent_difference_implIS3_Lb1ELb0EPKaPaN6thrust23THRUST_200600_302600_NS4plusIaEEEE10hipError_tPvRmT2_T3_mT4_P12ihipStream_tbEUlT_E_NS1_11comp_targetILNS1_3genE0ELNS1_11target_archE4294967295ELNS1_3gpuE0ELNS1_3repE0EEENS1_30default_config_static_selectorELNS0_4arch9wavefront6targetE1EEEvT1_
                                        ; -- End function
	.section	.AMDGPU.csdata,"",@progbits
; Kernel info:
; codeLenInByte = 0
; NumSgprs: 6
; NumVgprs: 0
; NumAgprs: 0
; TotalNumVgprs: 0
; ScratchSize: 0
; MemoryBound: 0
; FloatMode: 240
; IeeeMode: 1
; LDSByteSize: 0 bytes/workgroup (compile time only)
; SGPRBlocks: 0
; VGPRBlocks: 0
; NumSGPRsForWavesPerEU: 6
; NumVGPRsForWavesPerEU: 1
; AccumOffset: 4
; Occupancy: 8
; WaveLimiterHint : 0
; COMPUTE_PGM_RSRC2:SCRATCH_EN: 0
; COMPUTE_PGM_RSRC2:USER_SGPR: 2
; COMPUTE_PGM_RSRC2:TRAP_HANDLER: 0
; COMPUTE_PGM_RSRC2:TGID_X_EN: 1
; COMPUTE_PGM_RSRC2:TGID_Y_EN: 0
; COMPUTE_PGM_RSRC2:TGID_Z_EN: 0
; COMPUTE_PGM_RSRC2:TIDIG_COMP_CNT: 0
; COMPUTE_PGM_RSRC3_GFX90A:ACCUM_OFFSET: 0
; COMPUTE_PGM_RSRC3_GFX90A:TG_SPLIT: 0
	.section	.text._ZN7rocprim17ROCPRIM_400000_NS6detail17trampoline_kernelINS0_14default_configENS1_35adjacent_difference_config_selectorILb1EaEEZNS1_24adjacent_difference_implIS3_Lb1ELb0EPKaPaN6thrust23THRUST_200600_302600_NS4plusIaEEEE10hipError_tPvRmT2_T3_mT4_P12ihipStream_tbEUlT_E_NS1_11comp_targetILNS1_3genE10ELNS1_11target_archE1201ELNS1_3gpuE5ELNS1_3repE0EEENS1_30default_config_static_selectorELNS0_4arch9wavefront6targetE1EEEvT1_,"axG",@progbits,_ZN7rocprim17ROCPRIM_400000_NS6detail17trampoline_kernelINS0_14default_configENS1_35adjacent_difference_config_selectorILb1EaEEZNS1_24adjacent_difference_implIS3_Lb1ELb0EPKaPaN6thrust23THRUST_200600_302600_NS4plusIaEEEE10hipError_tPvRmT2_T3_mT4_P12ihipStream_tbEUlT_E_NS1_11comp_targetILNS1_3genE10ELNS1_11target_archE1201ELNS1_3gpuE5ELNS1_3repE0EEENS1_30default_config_static_selectorELNS0_4arch9wavefront6targetE1EEEvT1_,comdat
	.protected	_ZN7rocprim17ROCPRIM_400000_NS6detail17trampoline_kernelINS0_14default_configENS1_35adjacent_difference_config_selectorILb1EaEEZNS1_24adjacent_difference_implIS3_Lb1ELb0EPKaPaN6thrust23THRUST_200600_302600_NS4plusIaEEEE10hipError_tPvRmT2_T3_mT4_P12ihipStream_tbEUlT_E_NS1_11comp_targetILNS1_3genE10ELNS1_11target_archE1201ELNS1_3gpuE5ELNS1_3repE0EEENS1_30default_config_static_selectorELNS0_4arch9wavefront6targetE1EEEvT1_ ; -- Begin function _ZN7rocprim17ROCPRIM_400000_NS6detail17trampoline_kernelINS0_14default_configENS1_35adjacent_difference_config_selectorILb1EaEEZNS1_24adjacent_difference_implIS3_Lb1ELb0EPKaPaN6thrust23THRUST_200600_302600_NS4plusIaEEEE10hipError_tPvRmT2_T3_mT4_P12ihipStream_tbEUlT_E_NS1_11comp_targetILNS1_3genE10ELNS1_11target_archE1201ELNS1_3gpuE5ELNS1_3repE0EEENS1_30default_config_static_selectorELNS0_4arch9wavefront6targetE1EEEvT1_
	.globl	_ZN7rocprim17ROCPRIM_400000_NS6detail17trampoline_kernelINS0_14default_configENS1_35adjacent_difference_config_selectorILb1EaEEZNS1_24adjacent_difference_implIS3_Lb1ELb0EPKaPaN6thrust23THRUST_200600_302600_NS4plusIaEEEE10hipError_tPvRmT2_T3_mT4_P12ihipStream_tbEUlT_E_NS1_11comp_targetILNS1_3genE10ELNS1_11target_archE1201ELNS1_3gpuE5ELNS1_3repE0EEENS1_30default_config_static_selectorELNS0_4arch9wavefront6targetE1EEEvT1_
	.p2align	8
	.type	_ZN7rocprim17ROCPRIM_400000_NS6detail17trampoline_kernelINS0_14default_configENS1_35adjacent_difference_config_selectorILb1EaEEZNS1_24adjacent_difference_implIS3_Lb1ELb0EPKaPaN6thrust23THRUST_200600_302600_NS4plusIaEEEE10hipError_tPvRmT2_T3_mT4_P12ihipStream_tbEUlT_E_NS1_11comp_targetILNS1_3genE10ELNS1_11target_archE1201ELNS1_3gpuE5ELNS1_3repE0EEENS1_30default_config_static_selectorELNS0_4arch9wavefront6targetE1EEEvT1_,@function
_ZN7rocprim17ROCPRIM_400000_NS6detail17trampoline_kernelINS0_14default_configENS1_35adjacent_difference_config_selectorILb1EaEEZNS1_24adjacent_difference_implIS3_Lb1ELb0EPKaPaN6thrust23THRUST_200600_302600_NS4plusIaEEEE10hipError_tPvRmT2_T3_mT4_P12ihipStream_tbEUlT_E_NS1_11comp_targetILNS1_3genE10ELNS1_11target_archE1201ELNS1_3gpuE5ELNS1_3repE0EEENS1_30default_config_static_selectorELNS0_4arch9wavefront6targetE1EEEvT1_: ; @_ZN7rocprim17ROCPRIM_400000_NS6detail17trampoline_kernelINS0_14default_configENS1_35adjacent_difference_config_selectorILb1EaEEZNS1_24adjacent_difference_implIS3_Lb1ELb0EPKaPaN6thrust23THRUST_200600_302600_NS4plusIaEEEE10hipError_tPvRmT2_T3_mT4_P12ihipStream_tbEUlT_E_NS1_11comp_targetILNS1_3genE10ELNS1_11target_archE1201ELNS1_3gpuE5ELNS1_3repE0EEENS1_30default_config_static_selectorELNS0_4arch9wavefront6targetE1EEEvT1_
; %bb.0:
	.section	.rodata,"a",@progbits
	.p2align	6, 0x0
	.amdhsa_kernel _ZN7rocprim17ROCPRIM_400000_NS6detail17trampoline_kernelINS0_14default_configENS1_35adjacent_difference_config_selectorILb1EaEEZNS1_24adjacent_difference_implIS3_Lb1ELb0EPKaPaN6thrust23THRUST_200600_302600_NS4plusIaEEEE10hipError_tPvRmT2_T3_mT4_P12ihipStream_tbEUlT_E_NS1_11comp_targetILNS1_3genE10ELNS1_11target_archE1201ELNS1_3gpuE5ELNS1_3repE0EEENS1_30default_config_static_selectorELNS0_4arch9wavefront6targetE1EEEvT1_
		.amdhsa_group_segment_fixed_size 0
		.amdhsa_private_segment_fixed_size 0
		.amdhsa_kernarg_size 56
		.amdhsa_user_sgpr_count 2
		.amdhsa_user_sgpr_dispatch_ptr 0
		.amdhsa_user_sgpr_queue_ptr 0
		.amdhsa_user_sgpr_kernarg_segment_ptr 1
		.amdhsa_user_sgpr_dispatch_id 0
		.amdhsa_user_sgpr_kernarg_preload_length 0
		.amdhsa_user_sgpr_kernarg_preload_offset 0
		.amdhsa_user_sgpr_private_segment_size 0
		.amdhsa_uses_dynamic_stack 0
		.amdhsa_enable_private_segment 0
		.amdhsa_system_sgpr_workgroup_id_x 1
		.amdhsa_system_sgpr_workgroup_id_y 0
		.amdhsa_system_sgpr_workgroup_id_z 0
		.amdhsa_system_sgpr_workgroup_info 0
		.amdhsa_system_vgpr_workitem_id 0
		.amdhsa_next_free_vgpr 1
		.amdhsa_next_free_sgpr 0
		.amdhsa_accum_offset 4
		.amdhsa_reserve_vcc 0
		.amdhsa_float_round_mode_32 0
		.amdhsa_float_round_mode_16_64 0
		.amdhsa_float_denorm_mode_32 3
		.amdhsa_float_denorm_mode_16_64 3
		.amdhsa_dx10_clamp 1
		.amdhsa_ieee_mode 1
		.amdhsa_fp16_overflow 0
		.amdhsa_tg_split 0
		.amdhsa_exception_fp_ieee_invalid_op 0
		.amdhsa_exception_fp_denorm_src 0
		.amdhsa_exception_fp_ieee_div_zero 0
		.amdhsa_exception_fp_ieee_overflow 0
		.amdhsa_exception_fp_ieee_underflow 0
		.amdhsa_exception_fp_ieee_inexact 0
		.amdhsa_exception_int_div_zero 0
	.end_amdhsa_kernel
	.section	.text._ZN7rocprim17ROCPRIM_400000_NS6detail17trampoline_kernelINS0_14default_configENS1_35adjacent_difference_config_selectorILb1EaEEZNS1_24adjacent_difference_implIS3_Lb1ELb0EPKaPaN6thrust23THRUST_200600_302600_NS4plusIaEEEE10hipError_tPvRmT2_T3_mT4_P12ihipStream_tbEUlT_E_NS1_11comp_targetILNS1_3genE10ELNS1_11target_archE1201ELNS1_3gpuE5ELNS1_3repE0EEENS1_30default_config_static_selectorELNS0_4arch9wavefront6targetE1EEEvT1_,"axG",@progbits,_ZN7rocprim17ROCPRIM_400000_NS6detail17trampoline_kernelINS0_14default_configENS1_35adjacent_difference_config_selectorILb1EaEEZNS1_24adjacent_difference_implIS3_Lb1ELb0EPKaPaN6thrust23THRUST_200600_302600_NS4plusIaEEEE10hipError_tPvRmT2_T3_mT4_P12ihipStream_tbEUlT_E_NS1_11comp_targetILNS1_3genE10ELNS1_11target_archE1201ELNS1_3gpuE5ELNS1_3repE0EEENS1_30default_config_static_selectorELNS0_4arch9wavefront6targetE1EEEvT1_,comdat
.Lfunc_end484:
	.size	_ZN7rocprim17ROCPRIM_400000_NS6detail17trampoline_kernelINS0_14default_configENS1_35adjacent_difference_config_selectorILb1EaEEZNS1_24adjacent_difference_implIS3_Lb1ELb0EPKaPaN6thrust23THRUST_200600_302600_NS4plusIaEEEE10hipError_tPvRmT2_T3_mT4_P12ihipStream_tbEUlT_E_NS1_11comp_targetILNS1_3genE10ELNS1_11target_archE1201ELNS1_3gpuE5ELNS1_3repE0EEENS1_30default_config_static_selectorELNS0_4arch9wavefront6targetE1EEEvT1_, .Lfunc_end484-_ZN7rocprim17ROCPRIM_400000_NS6detail17trampoline_kernelINS0_14default_configENS1_35adjacent_difference_config_selectorILb1EaEEZNS1_24adjacent_difference_implIS3_Lb1ELb0EPKaPaN6thrust23THRUST_200600_302600_NS4plusIaEEEE10hipError_tPvRmT2_T3_mT4_P12ihipStream_tbEUlT_E_NS1_11comp_targetILNS1_3genE10ELNS1_11target_archE1201ELNS1_3gpuE5ELNS1_3repE0EEENS1_30default_config_static_selectorELNS0_4arch9wavefront6targetE1EEEvT1_
                                        ; -- End function
	.section	.AMDGPU.csdata,"",@progbits
; Kernel info:
; codeLenInByte = 0
; NumSgprs: 6
; NumVgprs: 0
; NumAgprs: 0
; TotalNumVgprs: 0
; ScratchSize: 0
; MemoryBound: 0
; FloatMode: 240
; IeeeMode: 1
; LDSByteSize: 0 bytes/workgroup (compile time only)
; SGPRBlocks: 0
; VGPRBlocks: 0
; NumSGPRsForWavesPerEU: 6
; NumVGPRsForWavesPerEU: 1
; AccumOffset: 4
; Occupancy: 8
; WaveLimiterHint : 0
; COMPUTE_PGM_RSRC2:SCRATCH_EN: 0
; COMPUTE_PGM_RSRC2:USER_SGPR: 2
; COMPUTE_PGM_RSRC2:TRAP_HANDLER: 0
; COMPUTE_PGM_RSRC2:TGID_X_EN: 1
; COMPUTE_PGM_RSRC2:TGID_Y_EN: 0
; COMPUTE_PGM_RSRC2:TGID_Z_EN: 0
; COMPUTE_PGM_RSRC2:TIDIG_COMP_CNT: 0
; COMPUTE_PGM_RSRC3_GFX90A:ACCUM_OFFSET: 0
; COMPUTE_PGM_RSRC3_GFX90A:TG_SPLIT: 0
	.section	.text._ZN7rocprim17ROCPRIM_400000_NS6detail17trampoline_kernelINS0_14default_configENS1_35adjacent_difference_config_selectorILb1EaEEZNS1_24adjacent_difference_implIS3_Lb1ELb0EPKaPaN6thrust23THRUST_200600_302600_NS4plusIaEEEE10hipError_tPvRmT2_T3_mT4_P12ihipStream_tbEUlT_E_NS1_11comp_targetILNS1_3genE5ELNS1_11target_archE942ELNS1_3gpuE9ELNS1_3repE0EEENS1_30default_config_static_selectorELNS0_4arch9wavefront6targetE1EEEvT1_,"axG",@progbits,_ZN7rocprim17ROCPRIM_400000_NS6detail17trampoline_kernelINS0_14default_configENS1_35adjacent_difference_config_selectorILb1EaEEZNS1_24adjacent_difference_implIS3_Lb1ELb0EPKaPaN6thrust23THRUST_200600_302600_NS4plusIaEEEE10hipError_tPvRmT2_T3_mT4_P12ihipStream_tbEUlT_E_NS1_11comp_targetILNS1_3genE5ELNS1_11target_archE942ELNS1_3gpuE9ELNS1_3repE0EEENS1_30default_config_static_selectorELNS0_4arch9wavefront6targetE1EEEvT1_,comdat
	.protected	_ZN7rocprim17ROCPRIM_400000_NS6detail17trampoline_kernelINS0_14default_configENS1_35adjacent_difference_config_selectorILb1EaEEZNS1_24adjacent_difference_implIS3_Lb1ELb0EPKaPaN6thrust23THRUST_200600_302600_NS4plusIaEEEE10hipError_tPvRmT2_T3_mT4_P12ihipStream_tbEUlT_E_NS1_11comp_targetILNS1_3genE5ELNS1_11target_archE942ELNS1_3gpuE9ELNS1_3repE0EEENS1_30default_config_static_selectorELNS0_4arch9wavefront6targetE1EEEvT1_ ; -- Begin function _ZN7rocprim17ROCPRIM_400000_NS6detail17trampoline_kernelINS0_14default_configENS1_35adjacent_difference_config_selectorILb1EaEEZNS1_24adjacent_difference_implIS3_Lb1ELb0EPKaPaN6thrust23THRUST_200600_302600_NS4plusIaEEEE10hipError_tPvRmT2_T3_mT4_P12ihipStream_tbEUlT_E_NS1_11comp_targetILNS1_3genE5ELNS1_11target_archE942ELNS1_3gpuE9ELNS1_3repE0EEENS1_30default_config_static_selectorELNS0_4arch9wavefront6targetE1EEEvT1_
	.globl	_ZN7rocprim17ROCPRIM_400000_NS6detail17trampoline_kernelINS0_14default_configENS1_35adjacent_difference_config_selectorILb1EaEEZNS1_24adjacent_difference_implIS3_Lb1ELb0EPKaPaN6thrust23THRUST_200600_302600_NS4plusIaEEEE10hipError_tPvRmT2_T3_mT4_P12ihipStream_tbEUlT_E_NS1_11comp_targetILNS1_3genE5ELNS1_11target_archE942ELNS1_3gpuE9ELNS1_3repE0EEENS1_30default_config_static_selectorELNS0_4arch9wavefront6targetE1EEEvT1_
	.p2align	8
	.type	_ZN7rocprim17ROCPRIM_400000_NS6detail17trampoline_kernelINS0_14default_configENS1_35adjacent_difference_config_selectorILb1EaEEZNS1_24adjacent_difference_implIS3_Lb1ELb0EPKaPaN6thrust23THRUST_200600_302600_NS4plusIaEEEE10hipError_tPvRmT2_T3_mT4_P12ihipStream_tbEUlT_E_NS1_11comp_targetILNS1_3genE5ELNS1_11target_archE942ELNS1_3gpuE9ELNS1_3repE0EEENS1_30default_config_static_selectorELNS0_4arch9wavefront6targetE1EEEvT1_,@function
_ZN7rocprim17ROCPRIM_400000_NS6detail17trampoline_kernelINS0_14default_configENS1_35adjacent_difference_config_selectorILb1EaEEZNS1_24adjacent_difference_implIS3_Lb1ELb0EPKaPaN6thrust23THRUST_200600_302600_NS4plusIaEEEE10hipError_tPvRmT2_T3_mT4_P12ihipStream_tbEUlT_E_NS1_11comp_targetILNS1_3genE5ELNS1_11target_archE942ELNS1_3gpuE9ELNS1_3repE0EEENS1_30default_config_static_selectorELNS0_4arch9wavefront6targetE1EEEvT1_: ; @_ZN7rocprim17ROCPRIM_400000_NS6detail17trampoline_kernelINS0_14default_configENS1_35adjacent_difference_config_selectorILb1EaEEZNS1_24adjacent_difference_implIS3_Lb1ELb0EPKaPaN6thrust23THRUST_200600_302600_NS4plusIaEEEE10hipError_tPvRmT2_T3_mT4_P12ihipStream_tbEUlT_E_NS1_11comp_targetILNS1_3genE5ELNS1_11target_archE942ELNS1_3gpuE9ELNS1_3repE0EEENS1_30default_config_static_selectorELNS0_4arch9wavefront6targetE1EEEvT1_
; %bb.0:
	s_load_dwordx8 s[48:55], s[0:1], 0x0
	s_load_dwordx4 s[4:7], s[0:1], 0x28
	s_movk_i32 s8, 0xb80
	s_mul_i32 s33, s2, 0xb80
	s_waitcnt lgkmcnt(0)
	s_add_u32 s3, s48, s50
	s_addc_u32 s18, s49, s51
	s_add_u32 s0, 0, 0x590b2000
	s_addc_u32 s1, 0, 0
	s_add_i32 s1, s1, 0x1642c8
	s_mul_hi_u32 s12, s0, 0xfffff480
	s_sub_i32 s12, s12, s0
	s_mul_i32 s13, s1, 0xfffff480
	s_mul_i32 s9, s0, 0xfffff480
	s_add_i32 s12, s12, s13
	s_mul_hi_u32 s10, s1, s9
	s_mul_i32 s11, s1, s9
	s_mul_i32 s14, s0, s12
	s_mul_hi_u32 s9, s0, s9
	s_mul_hi_u32 s13, s0, s12
	s_add_u32 s9, s9, s14
	s_addc_u32 s13, 0, s13
	s_add_u32 s9, s9, s11
	s_mul_hi_u32 s14, s1, s12
	s_addc_u32 s9, s13, s10
	s_addc_u32 s10, s14, 0
	s_mul_i32 s11, s1, s12
	s_add_u32 s9, s9, s11
	v_mov_b32_e32 v1, s9
	s_addc_u32 s10, 0, s10
	v_add_co_u32_e32 v1, vcc, s0, v1
	s_cmp_lg_u64 vcc, 0
	s_addc_u32 s0, s1, s10
	v_readfirstlane_b32 s10, v1
	s_mul_i32 s9, s54, s0
	s_mul_hi_u32 s11, s54, s10
	s_mul_hi_u32 s1, s54, s0
	s_add_u32 s9, s11, s9
	s_addc_u32 s1, 0, s1
	s_mul_hi_u32 s12, s55, s10
	s_mul_i32 s10, s55, s10
	s_add_u32 s9, s9, s10
	s_mul_hi_u32 s11, s55, s0
	s_addc_u32 s1, s1, s12
	s_addc_u32 s9, s11, 0
	s_mul_i32 s0, s55, s0
	s_add_u32 s0, s1, s0
	s_addc_u32 s1, 0, s9
	s_add_u32 s9, s0, 1
	s_addc_u32 s10, s1, 0
	s_add_u32 s11, s0, 2
	s_mul_i32 s13, s1, 0xb80
	s_mul_hi_u32 s14, s0, 0xb80
	s_addc_u32 s12, s1, 0
	s_add_i32 s14, s14, s13
	s_mul_i32 s13, s0, 0xb80
	v_mov_b32_e32 v1, s13
	v_sub_co_u32_e32 v1, vcc, s54, v1
	s_cmp_lg_u64 vcc, 0
	s_subb_u32 s13, s55, s14
	v_subrev_co_u32_e32 v2, vcc, s8, v1
	s_cmp_lg_u64 vcc, 0
	s_subb_u32 s8, s13, 0
	v_readfirstlane_b32 s14, v2
	s_cmpk_gt_u32 s14, 0xb7f
	s_cselect_b32 s14, -1, 0
	s_cmp_eq_u32 s8, 0
	s_cselect_b32 s8, s14, -1
	s_cmp_lg_u32 s8, 0
	s_cselect_b32 s8, s11, s9
	s_cselect_b32 s9, s12, s10
	v_readfirstlane_b32 s10, v1
	s_cmpk_gt_u32 s10, 0xb7f
	s_cselect_b32 s10, -1, 0
	s_cmp_eq_u32 s13, 0
	s_cselect_b32 s10, s10, -1
	s_cmp_lg_u32 s10, 0
	s_cselect_b32 s9, s9, s1
	s_cselect_b32 s8, s8, s0
	s_mul_i32 s0, s9, 0xb80
	s_mul_hi_u32 s1, s8, 0xb80
	s_add_i32 s1, s1, s0
	s_mul_i32 s0, s8, 0xb80
	s_sub_u32 s0, s54, s0
	s_subb_u32 s1, s55, s1
	s_cmp_lg_u64 s[0:1], 0
	s_cselect_b64 s[0:1], -1, 0
	v_cndmask_b32_e64 v1, 0, 1, s[0:1]
	s_mov_b64 s[14:15], -1
	v_readfirstlane_b32 s0, v1
	s_add_u32 s8, s8, s0
	s_addc_u32 s9, s9, 0
	s_add_u32 s10, s6, s2
	s_addc_u32 s11, s7, 0
	s_add_u32 s12, s8, -1
	s_addc_u32 s13, s9, -1
	v_mov_b64_e32 v[2:3], s[12:13]
	v_cmp_ge_u64_e64 s[0:1], s[10:11], v[2:3]
	s_and_b64 vcc, exec, s[0:1]
	s_mul_i32 s55, s12, 0xfffff480
	s_cbranch_vccz .LBB485_48
; %bb.1:
	s_add_i32 s19, s55, s54
	s_add_u32 s14, s3, s33
	s_addc_u32 s15, s18, 0
	v_cmp_gt_u32_e32 vcc, s19, v0
                                        ; implicit-def: $vgpr1
	s_and_saveexec_b64 s[16:17], vcc
	s_cbranch_execz .LBB485_3
; %bb.2:
	global_load_ubyte v1, v0, s[14:15]
.LBB485_3:
	s_or_b64 exec, exec, s[16:17]
	v_or_b32_e32 v2, 0x80, v0
	v_cmp_gt_u32_e32 vcc, s19, v2
                                        ; implicit-def: $vgpr2
	s_and_saveexec_b64 s[16:17], vcc
	s_cbranch_execz .LBB485_5
; %bb.4:
	global_load_ubyte v2, v0, s[14:15] offset:128
.LBB485_5:
	s_or_b64 exec, exec, s[16:17]
	v_or_b32_e32 v3, 0x100, v0
	v_cmp_gt_u32_e32 vcc, s19, v3
                                        ; implicit-def: $vgpr3
	s_and_saveexec_b64 s[16:17], vcc
	s_cbranch_execz .LBB485_7
; %bb.6:
	global_load_ubyte v3, v0, s[14:15] offset:256
.LBB485_7:
	s_or_b64 exec, exec, s[16:17]
	v_or_b32_e32 v4, 0x180, v0
	v_cmp_gt_u32_e32 vcc, s19, v4
                                        ; implicit-def: $vgpr4
	s_and_saveexec_b64 s[16:17], vcc
	s_cbranch_execz .LBB485_9
; %bb.8:
	global_load_ubyte v4, v0, s[14:15] offset:384
.LBB485_9:
	s_or_b64 exec, exec, s[16:17]
	v_or_b32_e32 v5, 0x200, v0
	v_cmp_gt_u32_e32 vcc, s19, v5
                                        ; implicit-def: $vgpr5
	s_and_saveexec_b64 s[16:17], vcc
	s_cbranch_execz .LBB485_11
; %bb.10:
	global_load_ubyte v5, v0, s[14:15] offset:512
.LBB485_11:
	s_or_b64 exec, exec, s[16:17]
	v_or_b32_e32 v6, 0x280, v0
	v_cmp_gt_u32_e32 vcc, s19, v6
                                        ; implicit-def: $vgpr6
	s_and_saveexec_b64 s[16:17], vcc
	s_cbranch_execz .LBB485_13
; %bb.12:
	global_load_ubyte v6, v0, s[14:15] offset:640
.LBB485_13:
	s_or_b64 exec, exec, s[16:17]
	v_or_b32_e32 v7, 0x300, v0
	v_cmp_gt_u32_e32 vcc, s19, v7
                                        ; implicit-def: $vgpr7
	s_and_saveexec_b64 s[16:17], vcc
	s_cbranch_execz .LBB485_15
; %bb.14:
	global_load_ubyte v7, v0, s[14:15] offset:768
.LBB485_15:
	s_or_b64 exec, exec, s[16:17]
	v_or_b32_e32 v8, 0x380, v0
	v_cmp_gt_u32_e32 vcc, s19, v8
                                        ; implicit-def: $vgpr8
	s_and_saveexec_b64 s[16:17], vcc
	s_cbranch_execz .LBB485_17
; %bb.16:
	global_load_ubyte v8, v0, s[14:15] offset:896
.LBB485_17:
	s_or_b64 exec, exec, s[16:17]
	v_or_b32_e32 v9, 0x400, v0
	v_cmp_gt_u32_e32 vcc, s19, v9
                                        ; implicit-def: $vgpr9
	s_and_saveexec_b64 s[16:17], vcc
	s_cbranch_execz .LBB485_19
; %bb.18:
	global_load_ubyte v9, v0, s[14:15] offset:1024
.LBB485_19:
	s_or_b64 exec, exec, s[16:17]
	v_or_b32_e32 v10, 0x480, v0
	v_cmp_gt_u32_e32 vcc, s19, v10
                                        ; implicit-def: $vgpr10
	s_and_saveexec_b64 s[16:17], vcc
	s_cbranch_execz .LBB485_21
; %bb.20:
	global_load_ubyte v10, v0, s[14:15] offset:1152
.LBB485_21:
	s_or_b64 exec, exec, s[16:17]
	v_or_b32_e32 v11, 0x500, v0
	v_cmp_gt_u32_e32 vcc, s19, v11
                                        ; implicit-def: $vgpr11
	s_and_saveexec_b64 s[16:17], vcc
	s_cbranch_execz .LBB485_23
; %bb.22:
	global_load_ubyte v11, v0, s[14:15] offset:1280
.LBB485_23:
	s_or_b64 exec, exec, s[16:17]
	v_or_b32_e32 v12, 0x580, v0
	v_cmp_gt_u32_e32 vcc, s19, v12
                                        ; implicit-def: $vgpr12
	s_and_saveexec_b64 s[16:17], vcc
	s_cbranch_execz .LBB485_25
; %bb.24:
	global_load_ubyte v12, v0, s[14:15] offset:1408
.LBB485_25:
	s_or_b64 exec, exec, s[16:17]
	v_or_b32_e32 v13, 0x600, v0
	v_cmp_gt_u32_e32 vcc, s19, v13
                                        ; implicit-def: $vgpr13
	s_and_saveexec_b64 s[16:17], vcc
	s_cbranch_execz .LBB485_27
; %bb.26:
	global_load_ubyte v13, v0, s[14:15] offset:1536
.LBB485_27:
	s_or_b64 exec, exec, s[16:17]
	v_or_b32_e32 v14, 0x680, v0
	v_cmp_gt_u32_e32 vcc, s19, v14
                                        ; implicit-def: $vgpr14
	s_and_saveexec_b64 s[16:17], vcc
	s_cbranch_execz .LBB485_29
; %bb.28:
	global_load_ubyte v14, v0, s[14:15] offset:1664
.LBB485_29:
	s_or_b64 exec, exec, s[16:17]
	v_or_b32_e32 v15, 0x700, v0
	v_cmp_gt_u32_e32 vcc, s19, v15
                                        ; implicit-def: $vgpr15
	s_and_saveexec_b64 s[16:17], vcc
	s_cbranch_execz .LBB485_31
; %bb.30:
	global_load_ubyte v15, v0, s[14:15] offset:1792
.LBB485_31:
	s_or_b64 exec, exec, s[16:17]
	v_or_b32_e32 v16, 0x780, v0
	v_cmp_gt_u32_e32 vcc, s19, v16
                                        ; implicit-def: $vgpr16
	s_and_saveexec_b64 s[16:17], vcc
	s_cbranch_execz .LBB485_33
; %bb.32:
	global_load_ubyte v16, v0, s[14:15] offset:1920
.LBB485_33:
	s_or_b64 exec, exec, s[16:17]
	v_or_b32_e32 v17, 0x800, v0
	v_cmp_gt_u32_e32 vcc, s19, v17
                                        ; implicit-def: $vgpr17
	s_and_saveexec_b64 s[16:17], vcc
	s_cbranch_execz .LBB485_35
; %bb.34:
	global_load_ubyte v17, v0, s[14:15] offset:2048
.LBB485_35:
	s_or_b64 exec, exec, s[16:17]
	v_or_b32_e32 v18, 0x880, v0
	v_cmp_gt_u32_e32 vcc, s19, v18
                                        ; implicit-def: $vgpr18
	s_and_saveexec_b64 s[16:17], vcc
	s_cbranch_execz .LBB485_37
; %bb.36:
	global_load_ubyte v18, v0, s[14:15] offset:2176
.LBB485_37:
	s_or_b64 exec, exec, s[16:17]
	v_or_b32_e32 v19, 0x900, v0
	v_cmp_gt_u32_e32 vcc, s19, v19
                                        ; implicit-def: $vgpr19
	s_and_saveexec_b64 s[16:17], vcc
	s_cbranch_execz .LBB485_39
; %bb.38:
	global_load_ubyte v19, v0, s[14:15] offset:2304
.LBB485_39:
	s_or_b64 exec, exec, s[16:17]
	v_or_b32_e32 v20, 0x980, v0
	v_cmp_gt_u32_e32 vcc, s19, v20
                                        ; implicit-def: $vgpr20
	s_and_saveexec_b64 s[16:17], vcc
	s_cbranch_execz .LBB485_41
; %bb.40:
	global_load_ubyte v20, v0, s[14:15] offset:2432
.LBB485_41:
	s_or_b64 exec, exec, s[16:17]
	v_or_b32_e32 v21, 0xa00, v0
	v_cmp_gt_u32_e32 vcc, s19, v21
                                        ; implicit-def: $vgpr21
	s_and_saveexec_b64 s[16:17], vcc
	s_cbranch_execz .LBB485_43
; %bb.42:
	global_load_ubyte v21, v0, s[14:15] offset:2560
.LBB485_43:
	s_or_b64 exec, exec, s[16:17]
	v_or_b32_e32 v22, 0xa80, v0
	v_cmp_gt_u32_e32 vcc, s19, v22
                                        ; implicit-def: $vgpr22
	s_and_saveexec_b64 s[16:17], vcc
	s_cbranch_execz .LBB485_45
; %bb.44:
	global_load_ubyte v22, v0, s[14:15] offset:2688
.LBB485_45:
	s_or_b64 exec, exec, s[16:17]
	v_or_b32_e32 v23, 0xb00, v0
	v_cmp_gt_u32_e32 vcc, s19, v23
                                        ; implicit-def: $vgpr23
	s_and_saveexec_b64 s[16:17], vcc
	s_cbranch_execz .LBB485_47
; %bb.46:
	global_load_ubyte v23, v0, s[14:15] offset:2816
.LBB485_47:
	s_or_b64 exec, exec, s[16:17]
	s_mov_b64 s[14:15], 0
	s_waitcnt vmcnt(0)
	ds_write_b8 v0, v1
	ds_write_b8 v0, v2 offset:128
	ds_write_b8 v0, v3 offset:256
	;; [unrolled: 1-line block ×22, first 2 shown]
	s_waitcnt lgkmcnt(0)
	s_barrier
.LBB485_48:
	s_and_b64 vcc, exec, s[14:15]
	s_cbranch_vccz .LBB485_50
; %bb.49:
	s_add_u32 s14, s3, s33
	s_addc_u32 s15, s18, 0
	global_load_ubyte v1, v0, s[14:15]
	global_load_ubyte v2, v0, s[14:15] offset:128
	global_load_ubyte v3, v0, s[14:15] offset:256
	;; [unrolled: 1-line block ×22, first 2 shown]
	s_waitcnt vmcnt(22)
	ds_write_b8 v0, v1
	s_waitcnt vmcnt(21)
	ds_write_b8 v0, v2 offset:128
	s_waitcnt vmcnt(20)
	ds_write_b8 v0, v3 offset:256
	s_waitcnt vmcnt(19)
	ds_write_b8 v0, v4 offset:384
	s_waitcnt vmcnt(18)
	ds_write_b8 v0, v5 offset:512
	s_waitcnt vmcnt(17)
	ds_write_b8 v0, v6 offset:640
	s_waitcnt vmcnt(16)
	ds_write_b8 v0, v7 offset:768
	s_waitcnt vmcnt(15)
	ds_write_b8 v0, v8 offset:896
	s_waitcnt vmcnt(14)
	ds_write_b8 v0, v9 offset:1024
	s_waitcnt vmcnt(13)
	ds_write_b8 v0, v10 offset:1152
	s_waitcnt vmcnt(12)
	ds_write_b8 v0, v11 offset:1280
	s_waitcnt vmcnt(11)
	ds_write_b8 v0, v12 offset:1408
	s_waitcnt vmcnt(10)
	ds_write_b8 v0, v13 offset:1536
	s_waitcnt vmcnt(9)
	ds_write_b8 v0, v14 offset:1664
	s_waitcnt vmcnt(8)
	ds_write_b8 v0, v15 offset:1792
	s_waitcnt vmcnt(7)
	ds_write_b8 v0, v16 offset:1920
	s_waitcnt vmcnt(6)
	ds_write_b8 v0, v17 offset:2048
	s_waitcnt vmcnt(5)
	ds_write_b8 v0, v18 offset:2176
	s_waitcnt vmcnt(4)
	ds_write_b8 v0, v19 offset:2304
	s_waitcnt vmcnt(3)
	ds_write_b8 v0, v20 offset:2432
	s_waitcnt vmcnt(2)
	ds_write_b8 v0, v21 offset:2560
	s_waitcnt vmcnt(1)
	ds_write_b8 v0, v22 offset:2688
	s_waitcnt vmcnt(0)
	ds_write_b8 v0, v23 offset:2816
	s_waitcnt lgkmcnt(0)
	s_barrier
.LBB485_50:
	v_mul_u32_u24_e32 v6, 23, v0
	ds_read_b128 v[2:5], v6
	ds_read_u8 v1, v6 offset:16
	ds_read_u8 v7, v6 offset:17
	ds_read_u8 v8, v6 offset:18
	ds_read_u8 v9, v6 offset:19
	ds_read_u8 v10, v6 offset:20
	ds_read_u8 v11, v6 offset:21
	ds_read_u8 v12, v6 offset:22
	s_waitcnt lgkmcnt(7)
	v_lshrrev_b32_e32 v13, 8, v2
	v_lshrrev_b32_e32 v14, 16, v2
	;; [unrolled: 1-line block ×12, first 2 shown]
	s_cmp_eq_u64 s[10:11], 0
	s_waitcnt lgkmcnt(0)
	s_barrier
	s_cbranch_scc1 .LBB485_55
; %bb.51:
	s_add_u32 s3, s4, s6
	s_addc_u32 s4, s5, s7
	s_add_u32 s2, s3, s2
	s_addc_u32 s3, s4, 0
	v_mov_b32_e32 v6, 0
	global_load_ubyte v46, v6, s[2:3] offset:-1
	s_cmp_eq_u64 s[10:11], s[12:13]
	s_cbranch_scc1 .LBB485_56
; %bb.52:
	v_cmp_ne_u32_e32 vcc, 0, v0
	s_waitcnt vmcnt(0)
	v_mov_b32_e32 v6, v46
	ds_write_b8 v0, v12
	s_waitcnt lgkmcnt(0)
	s_barrier
	s_and_saveexec_b64 s[2:3], vcc
	s_cbranch_execz .LBB485_54
; %bb.53:
	v_add_u32_e32 v6, -1, v0
	ds_read_u8 v6, v6
.LBB485_54:
	s_or_b64 exec, exec, s[2:3]
	s_waitcnt lgkmcnt(0)
	v_add_u16_e32 v6, v6, v2
	s_mov_b64 s[2:3], 0
	s_branch .LBB485_57
.LBB485_55:
                                        ; implicit-def: $vgpr6
                                        ; implicit-def: $vgpr47
                                        ; implicit-def: $vgpr45
                                        ; implicit-def: $vgpr44
                                        ; implicit-def: $vgpr43
                                        ; implicit-def: $vgpr42
                                        ; implicit-def: $vgpr41
                                        ; implicit-def: $vgpr40
                                        ; implicit-def: $vgpr39
                                        ; implicit-def: $vgpr38
                                        ; implicit-def: $vgpr37
                                        ; implicit-def: $vgpr36
                                        ; implicit-def: $vgpr34
                                        ; implicit-def: $vgpr33
                                        ; implicit-def: $vgpr32
                                        ; implicit-def: $vgpr31
                                        ; implicit-def: $vgpr30
                                        ; implicit-def: $vgpr29
                                        ; implicit-def: $vgpr28
                                        ; implicit-def: $vgpr27
                                        ; implicit-def: $vgpr26
                                        ; implicit-def: $vgpr25
                                        ; implicit-def: $vgpr35
	s_branch .LBB485_62
.LBB485_56:
	s_mov_b64 s[2:3], -1
                                        ; implicit-def: $vgpr6
.LBB485_57:
	s_and_b64 vcc, exec, s[2:3]
	v_mov_b32_e32 v47, v2
	v_mov_b32_e32 v45, v13
	v_mov_b32_e32 v44, v14
	v_mov_b32_e32 v43, v15
	v_mov_b32_e32 v42, v3
	v_mov_b32_e32 v41, v16
	v_mov_b32_e32 v40, v17
	v_mov_b32_e32 v39, v18
	v_mov_b32_e32 v38, v4
	v_mov_b32_e32 v37, v19
	v_mov_b32_e32 v36, v20
	v_mov_b32_e32 v34, v21
	v_mov_b32_e32 v33, v5
	v_mov_b32_e32 v32, v22
	v_mov_b32_e32 v31, v23
	v_mov_b32_e32 v30, v24
	v_mov_b32_e32 v29, v1
	v_mov_b32_e32 v28, v7
	v_mov_b32_e32 v27, v8
	v_mov_b32_e32 v26, v9
	v_mov_b32_e32 v25, v10
	v_mov_b32_e32 v35, v11
	s_cbranch_vccz .LBB485_61
; %bb.58:
	v_mul_u32_u24_e32 v6, 23, v0
	v_cmp_ne_u32_e32 vcc, 0, v0
	ds_write_b8 v0, v12
	s_waitcnt lgkmcnt(0)
	s_barrier
	s_and_saveexec_b64 s[2:3], vcc
	s_cbranch_execz .LBB485_60
; %bb.59:
	v_add_u32_e32 v25, -1, v0
	s_waitcnt vmcnt(0)
	ds_read_u8 v46, v25
.LBB485_60:
	s_or_b64 exec, exec, s[2:3]
	s_mul_i32 s2, s10, 0xfffff480
	s_add_i32 s2, s2, s54
	v_add_u32_e32 v25, 22, v6
	v_cmp_gt_u32_e32 vcc, s2, v25
	v_add_u32_e32 v25, 21, v6
	v_add_u32_e32 v26, 20, v6
	v_cndmask_b32_e32 v35, 0, v11, vcc
	v_cmp_gt_u32_e32 vcc, s2, v25
	v_add_u32_e32 v27, 19, v6
	v_add_u32_e32 v28, 18, v6
	v_cndmask_b32_e32 v25, 0, v10, vcc
	;; [unrolled: 4-line block ×10, first 2 shown]
	v_cmp_gt_u32_e32 vcc, s2, v34
	v_add_u32_e32 v47, 1, v6
	s_nop 0
	v_cndmask_b32_e32 v34, 0, v21, vcc
	v_cmp_gt_u32_e32 vcc, s2, v36
	s_nop 1
	v_cndmask_b32_e32 v36, 0, v20, vcc
	v_cmp_gt_u32_e32 vcc, s2, v37
	;; [unrolled: 3-line block ×12, first 2 shown]
	s_waitcnt vmcnt(0) lgkmcnt(0)
	s_nop 0
	v_cndmask_b32_e32 v6, 0, v46, vcc
	v_add_u16_e32 v6, v6, v2
.LBB485_61:
	s_cbranch_execnz .LBB485_72
.LBB485_62:
	s_cmp_eq_u64 s[8:9], 1
	v_cmp_ne_u32_e32 vcc, 0, v0
	s_cbranch_scc1 .LBB485_66
; %bb.63:
	v_mov_b32_e32 v6, v2
	ds_write_b8 v0, v12
	s_waitcnt lgkmcnt(0)
	s_barrier
	s_and_saveexec_b64 s[2:3], vcc
	s_cbranch_execz .LBB485_65
; %bb.64:
	v_add_u32_e32 v6, -1, v0
	ds_read_u8 v6, v6
	s_waitcnt lgkmcnt(0)
	v_add_u16_e32 v6, v6, v2
.LBB485_65:
	s_or_b64 exec, exec, s[2:3]
	s_mov_b64 s[2:3], 0
	s_branch .LBB485_67
.LBB485_66:
	s_mov_b64 s[2:3], -1
                                        ; implicit-def: $vgpr6
.LBB485_67:
	s_andn2_b64 vcc, exec, s[2:3]
	v_mov_b32_e32 v45, v13
	v_mov_b32_e32 v44, v14
	;; [unrolled: 1-line block ×21, first 2 shown]
	s_cbranch_vccnz .LBB485_71
; %bb.68:
	v_mad_u32_u24 v25, v0, 23, 22
	v_cmp_gt_u32_e32 vcc, s54, v25
	v_mad_u32_u24 v25, v0, 23, 21
	v_cmp_gt_u32_e64 s[2:3], s54, v25
	v_mad_u32_u24 v25, v0, 23, 20
	v_cmp_gt_u32_e64 s[4:5], s54, v25
	;; [unrolled: 2-line block ×18, first 2 shown]
	v_mad_u32_u24 v25, v0, 23, 3
	v_mul_u32_u24_e32 v6, 23, v0
	v_cmp_gt_u32_e64 s[40:41], s54, v25
	v_mad_u32_u24 v25, v0, 23, 2
	v_cmp_gt_u32_e64 s[42:43], s54, v25
	v_mad_u32_u24 v25, v0, 23, 1
	v_cmp_ne_u32_e64 s[46:47], 0, v0
	v_cmp_gt_u32_e64 s[48:49], s54, v6
	v_cmp_gt_u32_e64 s[44:45], s54, v25
	s_and_b64 s[48:49], s[46:47], s[48:49]
	v_mov_b32_e32 v6, v2
	ds_write_b8 v0, v12
	s_waitcnt lgkmcnt(0)
	s_barrier
	s_and_saveexec_b64 s[46:47], s[48:49]
	s_cbranch_execz .LBB485_70
; %bb.69:
	v_add_u32_e32 v6, -1, v0
	ds_read_u8 v6, v6
	s_waitcnt lgkmcnt(0)
	v_add_u16_e32 v6, v6, v2
.LBB485_70:
	s_or_b64 exec, exec, s[46:47]
	v_cndmask_b32_e32 v35, 0, v11, vcc
	v_cndmask_b32_e64 v25, 0, v10, s[2:3]
	v_cndmask_b32_e64 v26, 0, v9, s[4:5]
	;; [unrolled: 1-line block ×21, first 2 shown]
.LBB485_71:
	v_mov_b32_e32 v47, v2
.LBB485_72:
	s_add_u32 s4, s52, s50
	v_add_u16_e32 v12, v35, v12
	v_add_u16_e32 v2, v47, v13
	;; [unrolled: 1-line block ×13, first 2 shown]
	s_addc_u32 s5, s53, s51
	v_add_u16_e32 v16, v39, v4
	v_add_u16_e32 v18, v34, v5
	;; [unrolled: 1-line block ×9, first 2 shown]
	s_and_b64 vcc, exec, s[0:1]
	v_mul_u32_u24_e32 v11, 23, v0
	v_lshlrev_b16_e32 v26, 8, v21
	v_lshlrev_b16_e32 v27, 8, v22
	;; [unrolled: 1-line block ×8, first 2 shown]
	s_barrier
	s_cbranch_vccz .LBB485_118
; %bb.73:
	v_or_b32_sdwa v1, v18, v26 dst_sel:DWORD dst_unused:UNUSED_PAD src0_sel:BYTE_0 src1_sel:DWORD
	v_or_b32_sdwa v2, v19, v27 dst_sel:WORD_1 dst_unused:UNUSED_PAD src0_sel:BYTE_0 src1_sel:DWORD
	s_add_i32 s55, s55, s54
	v_or_b32_sdwa v31, v1, v2 dst_sel:DWORD dst_unused:UNUSED_PAD src0_sel:WORD_0 src1_sel:DWORD
	v_or_b32_sdwa v1, v16, v24 dst_sel:DWORD dst_unused:UNUSED_PAD src0_sel:BYTE_0 src1_sel:DWORD
	v_or_b32_sdwa v2, v17, v25 dst_sel:WORD_1 dst_unused:UNUSED_PAD src0_sel:BYTE_0 src1_sel:DWORD
	s_add_u32 s0, s4, s33
	v_or_b32_sdwa v30, v1, v2 dst_sel:DWORD dst_unused:UNUSED_PAD src0_sel:WORD_0 src1_sel:DWORD
	v_or_b32_sdwa v1, v14, v22 dst_sel:DWORD dst_unused:UNUSED_PAD src0_sel:BYTE_0 src1_sel:DWORD
	v_or_b32_sdwa v2, v15, v23 dst_sel:WORD_1 dst_unused:UNUSED_PAD src0_sel:BYTE_0 src1_sel:DWORD
	s_addc_u32 s1, s5, 0
	v_or_b32_sdwa v29, v1, v2 dst_sel:DWORD dst_unused:UNUSED_PAD src0_sel:WORD_0 src1_sel:DWORD
	v_or_b32_sdwa v1, v6, v20 dst_sel:DWORD dst_unused:UNUSED_PAD src0_sel:BYTE_0 src1_sel:DWORD
	v_or_b32_sdwa v2, v13, v21 dst_sel:WORD_1 dst_unused:UNUSED_PAD src0_sel:BYTE_0 src1_sel:DWORD
	v_cmp_gt_u32_e32 vcc, s55, v0
	v_or_b32_sdwa v28, v1, v2 dst_sel:DWORD dst_unused:UNUSED_PAD src0_sel:WORD_0 src1_sel:DWORD
	ds_write_b128 v11, v[28:31]
	ds_write_b8 v11, v4 offset:16
	ds_write_b8 v11, v5 offset:17
	;; [unrolled: 1-line block ×7, first 2 shown]
	s_waitcnt lgkmcnt(0)
	s_barrier
	ds_read_u8 v49, v0 offset:128
	ds_read_u8 v48, v0 offset:256
	;; [unrolled: 1-line block ×3, first 2 shown]
	s_waitcnt vmcnt(0)
	ds_read_u8 v46, v0 offset:512
	ds_read_u8 v45, v0 offset:640
	;; [unrolled: 1-line block ×19, first 2 shown]
	v_mov_b32_e32 v1, 0
	v_lshl_add_u64 v[2:3], s[0:1], 0, v[0:1]
	s_and_saveexec_b64 s[0:1], vcc
	s_cbranch_execz .LBB485_75
; %bb.74:
	ds_read_u8 v1, v0
	s_waitcnt lgkmcnt(0)
	global_store_byte v[2:3], v1, off
.LBB485_75:
	s_or_b64 exec, exec, s[0:1]
	v_or_b32_e32 v1, 0x80, v0
	v_cmp_gt_u32_e32 vcc, s55, v1
	s_and_saveexec_b64 s[0:1], vcc
	s_cbranch_execz .LBB485_77
; %bb.76:
	s_waitcnt lgkmcnt(14)
	global_store_byte v[2:3], v49, off offset:128
.LBB485_77:
	s_or_b64 exec, exec, s[0:1]
	v_or_b32_e32 v1, 0x100, v0
	v_cmp_gt_u32_e32 vcc, s55, v1
	s_and_saveexec_b64 s[0:1], vcc
	s_cbranch_execz .LBB485_79
; %bb.78:
	s_waitcnt lgkmcnt(14)
	global_store_byte v[2:3], v48, off offset:256
.LBB485_79:
	;; [unrolled: 9-line block ×21, first 2 shown]
	s_or_b64 exec, exec, s[0:1]
	v_or_b32_e32 v1, 0xb00, v0
	v_cmp_gt_u32_e64 s[0:1], s55, v1
	s_branch .LBB485_120
.LBB485_118:
	s_mov_b64 s[0:1], 0
                                        ; implicit-def: $vgpr28
                                        ; implicit-def: $vgpr2_vgpr3
	s_cbranch_execz .LBB485_120
; %bb.119:
	v_or_b32_sdwa v1, v18, v26 dst_sel:DWORD dst_unused:UNUSED_PAD src0_sel:BYTE_0 src1_sel:DWORD
	v_or_b32_sdwa v2, v19, v27 dst_sel:WORD_1 dst_unused:UNUSED_PAD src0_sel:BYTE_0 src1_sel:DWORD
	s_add_u32 s2, s4, s33
	v_or_b32_sdwa v19, v1, v2 dst_sel:DWORD dst_unused:UNUSED_PAD src0_sel:WORD_0 src1_sel:DWORD
	v_or_b32_sdwa v1, v16, v24 dst_sel:DWORD dst_unused:UNUSED_PAD src0_sel:BYTE_0 src1_sel:DWORD
	v_or_b32_sdwa v2, v17, v25 dst_sel:WORD_1 dst_unused:UNUSED_PAD src0_sel:BYTE_0 src1_sel:DWORD
	s_addc_u32 s3, s5, 0
	v_or_b32_sdwa v18, v1, v2 dst_sel:DWORD dst_unused:UNUSED_PAD src0_sel:WORD_0 src1_sel:DWORD
	v_or_b32_sdwa v1, v14, v22 dst_sel:DWORD dst_unused:UNUSED_PAD src0_sel:BYTE_0 src1_sel:DWORD
	v_or_b32_sdwa v2, v15, v23 dst_sel:WORD_1 dst_unused:UNUSED_PAD src0_sel:BYTE_0 src1_sel:DWORD
	s_or_b64 s[0:1], s[0:1], exec
	v_or_b32_sdwa v17, v1, v2 dst_sel:DWORD dst_unused:UNUSED_PAD src0_sel:WORD_0 src1_sel:DWORD
	v_or_b32_sdwa v1, v6, v20 dst_sel:DWORD dst_unused:UNUSED_PAD src0_sel:BYTE_0 src1_sel:DWORD
	v_or_b32_sdwa v2, v13, v21 dst_sel:WORD_1 dst_unused:UNUSED_PAD src0_sel:BYTE_0 src1_sel:DWORD
	s_nop 0
	v_or_b32_sdwa v16, v1, v2 dst_sel:DWORD dst_unused:UNUSED_PAD src0_sel:WORD_0 src1_sel:DWORD
	ds_write_b128 v11, v[16:19]
	ds_write_b8 v11, v4 offset:16
	ds_write_b8 v11, v5 offset:17
	;; [unrolled: 1-line block ×7, first 2 shown]
	s_waitcnt lgkmcnt(0)
	s_barrier
	ds_read_u8 v4, v0
	ds_read_u8 v5, v0 offset:128
	ds_read_u8 v6, v0 offset:256
	;; [unrolled: 1-line block ×22, first 2 shown]
	v_mov_b32_e32 v1, 0
	v_lshl_add_u64 v[2:3], s[2:3], 0, v[0:1]
	s_waitcnt lgkmcnt(14)
	global_store_byte v0, v4, s[2:3]
	global_store_byte v0, v5, s[2:3] offset:128
	global_store_byte v0, v6, s[2:3] offset:256
	;; [unrolled: 1-line block ×8, first 2 shown]
	s_waitcnt lgkmcnt(13)
	global_store_byte v0, v13, s[2:3] offset:1152
	s_waitcnt lgkmcnt(12)
	global_store_byte v0, v14, s[2:3] offset:1280
	;; [unrolled: 2-line block ×13, first 2 shown]
.LBB485_120:
	s_and_saveexec_b64 s[2:3], s[0:1]
	s_cbranch_execnz .LBB485_122
; %bb.121:
	s_endpgm
.LBB485_122:
	s_waitcnt lgkmcnt(0)
	global_store_byte v[2:3], v28, off offset:2816
	s_endpgm
	.section	.rodata,"a",@progbits
	.p2align	6, 0x0
	.amdhsa_kernel _ZN7rocprim17ROCPRIM_400000_NS6detail17trampoline_kernelINS0_14default_configENS1_35adjacent_difference_config_selectorILb1EaEEZNS1_24adjacent_difference_implIS3_Lb1ELb0EPKaPaN6thrust23THRUST_200600_302600_NS4plusIaEEEE10hipError_tPvRmT2_T3_mT4_P12ihipStream_tbEUlT_E_NS1_11comp_targetILNS1_3genE5ELNS1_11target_archE942ELNS1_3gpuE9ELNS1_3repE0EEENS1_30default_config_static_selectorELNS0_4arch9wavefront6targetE1EEEvT1_
		.amdhsa_group_segment_fixed_size 2944
		.amdhsa_private_segment_fixed_size 0
		.amdhsa_kernarg_size 56
		.amdhsa_user_sgpr_count 2
		.amdhsa_user_sgpr_dispatch_ptr 0
		.amdhsa_user_sgpr_queue_ptr 0
		.amdhsa_user_sgpr_kernarg_segment_ptr 1
		.amdhsa_user_sgpr_dispatch_id 0
		.amdhsa_user_sgpr_kernarg_preload_length 0
		.amdhsa_user_sgpr_kernarg_preload_offset 0
		.amdhsa_user_sgpr_private_segment_size 0
		.amdhsa_uses_dynamic_stack 0
		.amdhsa_enable_private_segment 0
		.amdhsa_system_sgpr_workgroup_id_x 1
		.amdhsa_system_sgpr_workgroup_id_y 0
		.amdhsa_system_sgpr_workgroup_id_z 0
		.amdhsa_system_sgpr_workgroup_info 0
		.amdhsa_system_vgpr_workitem_id 0
		.amdhsa_next_free_vgpr 50
		.amdhsa_next_free_sgpr 56
		.amdhsa_accum_offset 52
		.amdhsa_reserve_vcc 1
		.amdhsa_float_round_mode_32 0
		.amdhsa_float_round_mode_16_64 0
		.amdhsa_float_denorm_mode_32 3
		.amdhsa_float_denorm_mode_16_64 3
		.amdhsa_dx10_clamp 1
		.amdhsa_ieee_mode 1
		.amdhsa_fp16_overflow 0
		.amdhsa_tg_split 0
		.amdhsa_exception_fp_ieee_invalid_op 0
		.amdhsa_exception_fp_denorm_src 0
		.amdhsa_exception_fp_ieee_div_zero 0
		.amdhsa_exception_fp_ieee_overflow 0
		.amdhsa_exception_fp_ieee_underflow 0
		.amdhsa_exception_fp_ieee_inexact 0
		.amdhsa_exception_int_div_zero 0
	.end_amdhsa_kernel
	.section	.text._ZN7rocprim17ROCPRIM_400000_NS6detail17trampoline_kernelINS0_14default_configENS1_35adjacent_difference_config_selectorILb1EaEEZNS1_24adjacent_difference_implIS3_Lb1ELb0EPKaPaN6thrust23THRUST_200600_302600_NS4plusIaEEEE10hipError_tPvRmT2_T3_mT4_P12ihipStream_tbEUlT_E_NS1_11comp_targetILNS1_3genE5ELNS1_11target_archE942ELNS1_3gpuE9ELNS1_3repE0EEENS1_30default_config_static_selectorELNS0_4arch9wavefront6targetE1EEEvT1_,"axG",@progbits,_ZN7rocprim17ROCPRIM_400000_NS6detail17trampoline_kernelINS0_14default_configENS1_35adjacent_difference_config_selectorILb1EaEEZNS1_24adjacent_difference_implIS3_Lb1ELb0EPKaPaN6thrust23THRUST_200600_302600_NS4plusIaEEEE10hipError_tPvRmT2_T3_mT4_P12ihipStream_tbEUlT_E_NS1_11comp_targetILNS1_3genE5ELNS1_11target_archE942ELNS1_3gpuE9ELNS1_3repE0EEENS1_30default_config_static_selectorELNS0_4arch9wavefront6targetE1EEEvT1_,comdat
.Lfunc_end485:
	.size	_ZN7rocprim17ROCPRIM_400000_NS6detail17trampoline_kernelINS0_14default_configENS1_35adjacent_difference_config_selectorILb1EaEEZNS1_24adjacent_difference_implIS3_Lb1ELb0EPKaPaN6thrust23THRUST_200600_302600_NS4plusIaEEEE10hipError_tPvRmT2_T3_mT4_P12ihipStream_tbEUlT_E_NS1_11comp_targetILNS1_3genE5ELNS1_11target_archE942ELNS1_3gpuE9ELNS1_3repE0EEENS1_30default_config_static_selectorELNS0_4arch9wavefront6targetE1EEEvT1_, .Lfunc_end485-_ZN7rocprim17ROCPRIM_400000_NS6detail17trampoline_kernelINS0_14default_configENS1_35adjacent_difference_config_selectorILb1EaEEZNS1_24adjacent_difference_implIS3_Lb1ELb0EPKaPaN6thrust23THRUST_200600_302600_NS4plusIaEEEE10hipError_tPvRmT2_T3_mT4_P12ihipStream_tbEUlT_E_NS1_11comp_targetILNS1_3genE5ELNS1_11target_archE942ELNS1_3gpuE9ELNS1_3repE0EEENS1_30default_config_static_selectorELNS0_4arch9wavefront6targetE1EEEvT1_
                                        ; -- End function
	.section	.AMDGPU.csdata,"",@progbits
; Kernel info:
; codeLenInByte = 5384
; NumSgprs: 62
; NumVgprs: 50
; NumAgprs: 0
; TotalNumVgprs: 50
; ScratchSize: 0
; MemoryBound: 0
; FloatMode: 240
; IeeeMode: 1
; LDSByteSize: 2944 bytes/workgroup (compile time only)
; SGPRBlocks: 7
; VGPRBlocks: 6
; NumSGPRsForWavesPerEU: 62
; NumVGPRsForWavesPerEU: 50
; AccumOffset: 52
; Occupancy: 8
; WaveLimiterHint : 1
; COMPUTE_PGM_RSRC2:SCRATCH_EN: 0
; COMPUTE_PGM_RSRC2:USER_SGPR: 2
; COMPUTE_PGM_RSRC2:TRAP_HANDLER: 0
; COMPUTE_PGM_RSRC2:TGID_X_EN: 1
; COMPUTE_PGM_RSRC2:TGID_Y_EN: 0
; COMPUTE_PGM_RSRC2:TGID_Z_EN: 0
; COMPUTE_PGM_RSRC2:TIDIG_COMP_CNT: 0
; COMPUTE_PGM_RSRC3_GFX90A:ACCUM_OFFSET: 12
; COMPUTE_PGM_RSRC3_GFX90A:TG_SPLIT: 0
	.section	.text._ZN7rocprim17ROCPRIM_400000_NS6detail17trampoline_kernelINS0_14default_configENS1_35adjacent_difference_config_selectorILb1EaEEZNS1_24adjacent_difference_implIS3_Lb1ELb0EPKaPaN6thrust23THRUST_200600_302600_NS4plusIaEEEE10hipError_tPvRmT2_T3_mT4_P12ihipStream_tbEUlT_E_NS1_11comp_targetILNS1_3genE4ELNS1_11target_archE910ELNS1_3gpuE8ELNS1_3repE0EEENS1_30default_config_static_selectorELNS0_4arch9wavefront6targetE1EEEvT1_,"axG",@progbits,_ZN7rocprim17ROCPRIM_400000_NS6detail17trampoline_kernelINS0_14default_configENS1_35adjacent_difference_config_selectorILb1EaEEZNS1_24adjacent_difference_implIS3_Lb1ELb0EPKaPaN6thrust23THRUST_200600_302600_NS4plusIaEEEE10hipError_tPvRmT2_T3_mT4_P12ihipStream_tbEUlT_E_NS1_11comp_targetILNS1_3genE4ELNS1_11target_archE910ELNS1_3gpuE8ELNS1_3repE0EEENS1_30default_config_static_selectorELNS0_4arch9wavefront6targetE1EEEvT1_,comdat
	.protected	_ZN7rocprim17ROCPRIM_400000_NS6detail17trampoline_kernelINS0_14default_configENS1_35adjacent_difference_config_selectorILb1EaEEZNS1_24adjacent_difference_implIS3_Lb1ELb0EPKaPaN6thrust23THRUST_200600_302600_NS4plusIaEEEE10hipError_tPvRmT2_T3_mT4_P12ihipStream_tbEUlT_E_NS1_11comp_targetILNS1_3genE4ELNS1_11target_archE910ELNS1_3gpuE8ELNS1_3repE0EEENS1_30default_config_static_selectorELNS0_4arch9wavefront6targetE1EEEvT1_ ; -- Begin function _ZN7rocprim17ROCPRIM_400000_NS6detail17trampoline_kernelINS0_14default_configENS1_35adjacent_difference_config_selectorILb1EaEEZNS1_24adjacent_difference_implIS3_Lb1ELb0EPKaPaN6thrust23THRUST_200600_302600_NS4plusIaEEEE10hipError_tPvRmT2_T3_mT4_P12ihipStream_tbEUlT_E_NS1_11comp_targetILNS1_3genE4ELNS1_11target_archE910ELNS1_3gpuE8ELNS1_3repE0EEENS1_30default_config_static_selectorELNS0_4arch9wavefront6targetE1EEEvT1_
	.globl	_ZN7rocprim17ROCPRIM_400000_NS6detail17trampoline_kernelINS0_14default_configENS1_35adjacent_difference_config_selectorILb1EaEEZNS1_24adjacent_difference_implIS3_Lb1ELb0EPKaPaN6thrust23THRUST_200600_302600_NS4plusIaEEEE10hipError_tPvRmT2_T3_mT4_P12ihipStream_tbEUlT_E_NS1_11comp_targetILNS1_3genE4ELNS1_11target_archE910ELNS1_3gpuE8ELNS1_3repE0EEENS1_30default_config_static_selectorELNS0_4arch9wavefront6targetE1EEEvT1_
	.p2align	8
	.type	_ZN7rocprim17ROCPRIM_400000_NS6detail17trampoline_kernelINS0_14default_configENS1_35adjacent_difference_config_selectorILb1EaEEZNS1_24adjacent_difference_implIS3_Lb1ELb0EPKaPaN6thrust23THRUST_200600_302600_NS4plusIaEEEE10hipError_tPvRmT2_T3_mT4_P12ihipStream_tbEUlT_E_NS1_11comp_targetILNS1_3genE4ELNS1_11target_archE910ELNS1_3gpuE8ELNS1_3repE0EEENS1_30default_config_static_selectorELNS0_4arch9wavefront6targetE1EEEvT1_,@function
_ZN7rocprim17ROCPRIM_400000_NS6detail17trampoline_kernelINS0_14default_configENS1_35adjacent_difference_config_selectorILb1EaEEZNS1_24adjacent_difference_implIS3_Lb1ELb0EPKaPaN6thrust23THRUST_200600_302600_NS4plusIaEEEE10hipError_tPvRmT2_T3_mT4_P12ihipStream_tbEUlT_E_NS1_11comp_targetILNS1_3genE4ELNS1_11target_archE910ELNS1_3gpuE8ELNS1_3repE0EEENS1_30default_config_static_selectorELNS0_4arch9wavefront6targetE1EEEvT1_: ; @_ZN7rocprim17ROCPRIM_400000_NS6detail17trampoline_kernelINS0_14default_configENS1_35adjacent_difference_config_selectorILb1EaEEZNS1_24adjacent_difference_implIS3_Lb1ELb0EPKaPaN6thrust23THRUST_200600_302600_NS4plusIaEEEE10hipError_tPvRmT2_T3_mT4_P12ihipStream_tbEUlT_E_NS1_11comp_targetILNS1_3genE4ELNS1_11target_archE910ELNS1_3gpuE8ELNS1_3repE0EEENS1_30default_config_static_selectorELNS0_4arch9wavefront6targetE1EEEvT1_
; %bb.0:
	.section	.rodata,"a",@progbits
	.p2align	6, 0x0
	.amdhsa_kernel _ZN7rocprim17ROCPRIM_400000_NS6detail17trampoline_kernelINS0_14default_configENS1_35adjacent_difference_config_selectorILb1EaEEZNS1_24adjacent_difference_implIS3_Lb1ELb0EPKaPaN6thrust23THRUST_200600_302600_NS4plusIaEEEE10hipError_tPvRmT2_T3_mT4_P12ihipStream_tbEUlT_E_NS1_11comp_targetILNS1_3genE4ELNS1_11target_archE910ELNS1_3gpuE8ELNS1_3repE0EEENS1_30default_config_static_selectorELNS0_4arch9wavefront6targetE1EEEvT1_
		.amdhsa_group_segment_fixed_size 0
		.amdhsa_private_segment_fixed_size 0
		.amdhsa_kernarg_size 56
		.amdhsa_user_sgpr_count 2
		.amdhsa_user_sgpr_dispatch_ptr 0
		.amdhsa_user_sgpr_queue_ptr 0
		.amdhsa_user_sgpr_kernarg_segment_ptr 1
		.amdhsa_user_sgpr_dispatch_id 0
		.amdhsa_user_sgpr_kernarg_preload_length 0
		.amdhsa_user_sgpr_kernarg_preload_offset 0
		.amdhsa_user_sgpr_private_segment_size 0
		.amdhsa_uses_dynamic_stack 0
		.amdhsa_enable_private_segment 0
		.amdhsa_system_sgpr_workgroup_id_x 1
		.amdhsa_system_sgpr_workgroup_id_y 0
		.amdhsa_system_sgpr_workgroup_id_z 0
		.amdhsa_system_sgpr_workgroup_info 0
		.amdhsa_system_vgpr_workitem_id 0
		.amdhsa_next_free_vgpr 1
		.amdhsa_next_free_sgpr 0
		.amdhsa_accum_offset 4
		.amdhsa_reserve_vcc 0
		.amdhsa_float_round_mode_32 0
		.amdhsa_float_round_mode_16_64 0
		.amdhsa_float_denorm_mode_32 3
		.amdhsa_float_denorm_mode_16_64 3
		.amdhsa_dx10_clamp 1
		.amdhsa_ieee_mode 1
		.amdhsa_fp16_overflow 0
		.amdhsa_tg_split 0
		.amdhsa_exception_fp_ieee_invalid_op 0
		.amdhsa_exception_fp_denorm_src 0
		.amdhsa_exception_fp_ieee_div_zero 0
		.amdhsa_exception_fp_ieee_overflow 0
		.amdhsa_exception_fp_ieee_underflow 0
		.amdhsa_exception_fp_ieee_inexact 0
		.amdhsa_exception_int_div_zero 0
	.end_amdhsa_kernel
	.section	.text._ZN7rocprim17ROCPRIM_400000_NS6detail17trampoline_kernelINS0_14default_configENS1_35adjacent_difference_config_selectorILb1EaEEZNS1_24adjacent_difference_implIS3_Lb1ELb0EPKaPaN6thrust23THRUST_200600_302600_NS4plusIaEEEE10hipError_tPvRmT2_T3_mT4_P12ihipStream_tbEUlT_E_NS1_11comp_targetILNS1_3genE4ELNS1_11target_archE910ELNS1_3gpuE8ELNS1_3repE0EEENS1_30default_config_static_selectorELNS0_4arch9wavefront6targetE1EEEvT1_,"axG",@progbits,_ZN7rocprim17ROCPRIM_400000_NS6detail17trampoline_kernelINS0_14default_configENS1_35adjacent_difference_config_selectorILb1EaEEZNS1_24adjacent_difference_implIS3_Lb1ELb0EPKaPaN6thrust23THRUST_200600_302600_NS4plusIaEEEE10hipError_tPvRmT2_T3_mT4_P12ihipStream_tbEUlT_E_NS1_11comp_targetILNS1_3genE4ELNS1_11target_archE910ELNS1_3gpuE8ELNS1_3repE0EEENS1_30default_config_static_selectorELNS0_4arch9wavefront6targetE1EEEvT1_,comdat
.Lfunc_end486:
	.size	_ZN7rocprim17ROCPRIM_400000_NS6detail17trampoline_kernelINS0_14default_configENS1_35adjacent_difference_config_selectorILb1EaEEZNS1_24adjacent_difference_implIS3_Lb1ELb0EPKaPaN6thrust23THRUST_200600_302600_NS4plusIaEEEE10hipError_tPvRmT2_T3_mT4_P12ihipStream_tbEUlT_E_NS1_11comp_targetILNS1_3genE4ELNS1_11target_archE910ELNS1_3gpuE8ELNS1_3repE0EEENS1_30default_config_static_selectorELNS0_4arch9wavefront6targetE1EEEvT1_, .Lfunc_end486-_ZN7rocprim17ROCPRIM_400000_NS6detail17trampoline_kernelINS0_14default_configENS1_35adjacent_difference_config_selectorILb1EaEEZNS1_24adjacent_difference_implIS3_Lb1ELb0EPKaPaN6thrust23THRUST_200600_302600_NS4plusIaEEEE10hipError_tPvRmT2_T3_mT4_P12ihipStream_tbEUlT_E_NS1_11comp_targetILNS1_3genE4ELNS1_11target_archE910ELNS1_3gpuE8ELNS1_3repE0EEENS1_30default_config_static_selectorELNS0_4arch9wavefront6targetE1EEEvT1_
                                        ; -- End function
	.section	.AMDGPU.csdata,"",@progbits
; Kernel info:
; codeLenInByte = 0
; NumSgprs: 6
; NumVgprs: 0
; NumAgprs: 0
; TotalNumVgprs: 0
; ScratchSize: 0
; MemoryBound: 0
; FloatMode: 240
; IeeeMode: 1
; LDSByteSize: 0 bytes/workgroup (compile time only)
; SGPRBlocks: 0
; VGPRBlocks: 0
; NumSGPRsForWavesPerEU: 6
; NumVGPRsForWavesPerEU: 1
; AccumOffset: 4
; Occupancy: 8
; WaveLimiterHint : 0
; COMPUTE_PGM_RSRC2:SCRATCH_EN: 0
; COMPUTE_PGM_RSRC2:USER_SGPR: 2
; COMPUTE_PGM_RSRC2:TRAP_HANDLER: 0
; COMPUTE_PGM_RSRC2:TGID_X_EN: 1
; COMPUTE_PGM_RSRC2:TGID_Y_EN: 0
; COMPUTE_PGM_RSRC2:TGID_Z_EN: 0
; COMPUTE_PGM_RSRC2:TIDIG_COMP_CNT: 0
; COMPUTE_PGM_RSRC3_GFX90A:ACCUM_OFFSET: 0
; COMPUTE_PGM_RSRC3_GFX90A:TG_SPLIT: 0
	.section	.text._ZN7rocprim17ROCPRIM_400000_NS6detail17trampoline_kernelINS0_14default_configENS1_35adjacent_difference_config_selectorILb1EaEEZNS1_24adjacent_difference_implIS3_Lb1ELb0EPKaPaN6thrust23THRUST_200600_302600_NS4plusIaEEEE10hipError_tPvRmT2_T3_mT4_P12ihipStream_tbEUlT_E_NS1_11comp_targetILNS1_3genE3ELNS1_11target_archE908ELNS1_3gpuE7ELNS1_3repE0EEENS1_30default_config_static_selectorELNS0_4arch9wavefront6targetE1EEEvT1_,"axG",@progbits,_ZN7rocprim17ROCPRIM_400000_NS6detail17trampoline_kernelINS0_14default_configENS1_35adjacent_difference_config_selectorILb1EaEEZNS1_24adjacent_difference_implIS3_Lb1ELb0EPKaPaN6thrust23THRUST_200600_302600_NS4plusIaEEEE10hipError_tPvRmT2_T3_mT4_P12ihipStream_tbEUlT_E_NS1_11comp_targetILNS1_3genE3ELNS1_11target_archE908ELNS1_3gpuE7ELNS1_3repE0EEENS1_30default_config_static_selectorELNS0_4arch9wavefront6targetE1EEEvT1_,comdat
	.protected	_ZN7rocprim17ROCPRIM_400000_NS6detail17trampoline_kernelINS0_14default_configENS1_35adjacent_difference_config_selectorILb1EaEEZNS1_24adjacent_difference_implIS3_Lb1ELb0EPKaPaN6thrust23THRUST_200600_302600_NS4plusIaEEEE10hipError_tPvRmT2_T3_mT4_P12ihipStream_tbEUlT_E_NS1_11comp_targetILNS1_3genE3ELNS1_11target_archE908ELNS1_3gpuE7ELNS1_3repE0EEENS1_30default_config_static_selectorELNS0_4arch9wavefront6targetE1EEEvT1_ ; -- Begin function _ZN7rocprim17ROCPRIM_400000_NS6detail17trampoline_kernelINS0_14default_configENS1_35adjacent_difference_config_selectorILb1EaEEZNS1_24adjacent_difference_implIS3_Lb1ELb0EPKaPaN6thrust23THRUST_200600_302600_NS4plusIaEEEE10hipError_tPvRmT2_T3_mT4_P12ihipStream_tbEUlT_E_NS1_11comp_targetILNS1_3genE3ELNS1_11target_archE908ELNS1_3gpuE7ELNS1_3repE0EEENS1_30default_config_static_selectorELNS0_4arch9wavefront6targetE1EEEvT1_
	.globl	_ZN7rocprim17ROCPRIM_400000_NS6detail17trampoline_kernelINS0_14default_configENS1_35adjacent_difference_config_selectorILb1EaEEZNS1_24adjacent_difference_implIS3_Lb1ELb0EPKaPaN6thrust23THRUST_200600_302600_NS4plusIaEEEE10hipError_tPvRmT2_T3_mT4_P12ihipStream_tbEUlT_E_NS1_11comp_targetILNS1_3genE3ELNS1_11target_archE908ELNS1_3gpuE7ELNS1_3repE0EEENS1_30default_config_static_selectorELNS0_4arch9wavefront6targetE1EEEvT1_
	.p2align	8
	.type	_ZN7rocprim17ROCPRIM_400000_NS6detail17trampoline_kernelINS0_14default_configENS1_35adjacent_difference_config_selectorILb1EaEEZNS1_24adjacent_difference_implIS3_Lb1ELb0EPKaPaN6thrust23THRUST_200600_302600_NS4plusIaEEEE10hipError_tPvRmT2_T3_mT4_P12ihipStream_tbEUlT_E_NS1_11comp_targetILNS1_3genE3ELNS1_11target_archE908ELNS1_3gpuE7ELNS1_3repE0EEENS1_30default_config_static_selectorELNS0_4arch9wavefront6targetE1EEEvT1_,@function
_ZN7rocprim17ROCPRIM_400000_NS6detail17trampoline_kernelINS0_14default_configENS1_35adjacent_difference_config_selectorILb1EaEEZNS1_24adjacent_difference_implIS3_Lb1ELb0EPKaPaN6thrust23THRUST_200600_302600_NS4plusIaEEEE10hipError_tPvRmT2_T3_mT4_P12ihipStream_tbEUlT_E_NS1_11comp_targetILNS1_3genE3ELNS1_11target_archE908ELNS1_3gpuE7ELNS1_3repE0EEENS1_30default_config_static_selectorELNS0_4arch9wavefront6targetE1EEEvT1_: ; @_ZN7rocprim17ROCPRIM_400000_NS6detail17trampoline_kernelINS0_14default_configENS1_35adjacent_difference_config_selectorILb1EaEEZNS1_24adjacent_difference_implIS3_Lb1ELb0EPKaPaN6thrust23THRUST_200600_302600_NS4plusIaEEEE10hipError_tPvRmT2_T3_mT4_P12ihipStream_tbEUlT_E_NS1_11comp_targetILNS1_3genE3ELNS1_11target_archE908ELNS1_3gpuE7ELNS1_3repE0EEENS1_30default_config_static_selectorELNS0_4arch9wavefront6targetE1EEEvT1_
; %bb.0:
	.section	.rodata,"a",@progbits
	.p2align	6, 0x0
	.amdhsa_kernel _ZN7rocprim17ROCPRIM_400000_NS6detail17trampoline_kernelINS0_14default_configENS1_35adjacent_difference_config_selectorILb1EaEEZNS1_24adjacent_difference_implIS3_Lb1ELb0EPKaPaN6thrust23THRUST_200600_302600_NS4plusIaEEEE10hipError_tPvRmT2_T3_mT4_P12ihipStream_tbEUlT_E_NS1_11comp_targetILNS1_3genE3ELNS1_11target_archE908ELNS1_3gpuE7ELNS1_3repE0EEENS1_30default_config_static_selectorELNS0_4arch9wavefront6targetE1EEEvT1_
		.amdhsa_group_segment_fixed_size 0
		.amdhsa_private_segment_fixed_size 0
		.amdhsa_kernarg_size 56
		.amdhsa_user_sgpr_count 2
		.amdhsa_user_sgpr_dispatch_ptr 0
		.amdhsa_user_sgpr_queue_ptr 0
		.amdhsa_user_sgpr_kernarg_segment_ptr 1
		.amdhsa_user_sgpr_dispatch_id 0
		.amdhsa_user_sgpr_kernarg_preload_length 0
		.amdhsa_user_sgpr_kernarg_preload_offset 0
		.amdhsa_user_sgpr_private_segment_size 0
		.amdhsa_uses_dynamic_stack 0
		.amdhsa_enable_private_segment 0
		.amdhsa_system_sgpr_workgroup_id_x 1
		.amdhsa_system_sgpr_workgroup_id_y 0
		.amdhsa_system_sgpr_workgroup_id_z 0
		.amdhsa_system_sgpr_workgroup_info 0
		.amdhsa_system_vgpr_workitem_id 0
		.amdhsa_next_free_vgpr 1
		.amdhsa_next_free_sgpr 0
		.amdhsa_accum_offset 4
		.amdhsa_reserve_vcc 0
		.amdhsa_float_round_mode_32 0
		.amdhsa_float_round_mode_16_64 0
		.amdhsa_float_denorm_mode_32 3
		.amdhsa_float_denorm_mode_16_64 3
		.amdhsa_dx10_clamp 1
		.amdhsa_ieee_mode 1
		.amdhsa_fp16_overflow 0
		.amdhsa_tg_split 0
		.amdhsa_exception_fp_ieee_invalid_op 0
		.amdhsa_exception_fp_denorm_src 0
		.amdhsa_exception_fp_ieee_div_zero 0
		.amdhsa_exception_fp_ieee_overflow 0
		.amdhsa_exception_fp_ieee_underflow 0
		.amdhsa_exception_fp_ieee_inexact 0
		.amdhsa_exception_int_div_zero 0
	.end_amdhsa_kernel
	.section	.text._ZN7rocprim17ROCPRIM_400000_NS6detail17trampoline_kernelINS0_14default_configENS1_35adjacent_difference_config_selectorILb1EaEEZNS1_24adjacent_difference_implIS3_Lb1ELb0EPKaPaN6thrust23THRUST_200600_302600_NS4plusIaEEEE10hipError_tPvRmT2_T3_mT4_P12ihipStream_tbEUlT_E_NS1_11comp_targetILNS1_3genE3ELNS1_11target_archE908ELNS1_3gpuE7ELNS1_3repE0EEENS1_30default_config_static_selectorELNS0_4arch9wavefront6targetE1EEEvT1_,"axG",@progbits,_ZN7rocprim17ROCPRIM_400000_NS6detail17trampoline_kernelINS0_14default_configENS1_35adjacent_difference_config_selectorILb1EaEEZNS1_24adjacent_difference_implIS3_Lb1ELb0EPKaPaN6thrust23THRUST_200600_302600_NS4plusIaEEEE10hipError_tPvRmT2_T3_mT4_P12ihipStream_tbEUlT_E_NS1_11comp_targetILNS1_3genE3ELNS1_11target_archE908ELNS1_3gpuE7ELNS1_3repE0EEENS1_30default_config_static_selectorELNS0_4arch9wavefront6targetE1EEEvT1_,comdat
.Lfunc_end487:
	.size	_ZN7rocprim17ROCPRIM_400000_NS6detail17trampoline_kernelINS0_14default_configENS1_35adjacent_difference_config_selectorILb1EaEEZNS1_24adjacent_difference_implIS3_Lb1ELb0EPKaPaN6thrust23THRUST_200600_302600_NS4plusIaEEEE10hipError_tPvRmT2_T3_mT4_P12ihipStream_tbEUlT_E_NS1_11comp_targetILNS1_3genE3ELNS1_11target_archE908ELNS1_3gpuE7ELNS1_3repE0EEENS1_30default_config_static_selectorELNS0_4arch9wavefront6targetE1EEEvT1_, .Lfunc_end487-_ZN7rocprim17ROCPRIM_400000_NS6detail17trampoline_kernelINS0_14default_configENS1_35adjacent_difference_config_selectorILb1EaEEZNS1_24adjacent_difference_implIS3_Lb1ELb0EPKaPaN6thrust23THRUST_200600_302600_NS4plusIaEEEE10hipError_tPvRmT2_T3_mT4_P12ihipStream_tbEUlT_E_NS1_11comp_targetILNS1_3genE3ELNS1_11target_archE908ELNS1_3gpuE7ELNS1_3repE0EEENS1_30default_config_static_selectorELNS0_4arch9wavefront6targetE1EEEvT1_
                                        ; -- End function
	.section	.AMDGPU.csdata,"",@progbits
; Kernel info:
; codeLenInByte = 0
; NumSgprs: 6
; NumVgprs: 0
; NumAgprs: 0
; TotalNumVgprs: 0
; ScratchSize: 0
; MemoryBound: 0
; FloatMode: 240
; IeeeMode: 1
; LDSByteSize: 0 bytes/workgroup (compile time only)
; SGPRBlocks: 0
; VGPRBlocks: 0
; NumSGPRsForWavesPerEU: 6
; NumVGPRsForWavesPerEU: 1
; AccumOffset: 4
; Occupancy: 8
; WaveLimiterHint : 0
; COMPUTE_PGM_RSRC2:SCRATCH_EN: 0
; COMPUTE_PGM_RSRC2:USER_SGPR: 2
; COMPUTE_PGM_RSRC2:TRAP_HANDLER: 0
; COMPUTE_PGM_RSRC2:TGID_X_EN: 1
; COMPUTE_PGM_RSRC2:TGID_Y_EN: 0
; COMPUTE_PGM_RSRC2:TGID_Z_EN: 0
; COMPUTE_PGM_RSRC2:TIDIG_COMP_CNT: 0
; COMPUTE_PGM_RSRC3_GFX90A:ACCUM_OFFSET: 0
; COMPUTE_PGM_RSRC3_GFX90A:TG_SPLIT: 0
	.section	.text._ZN7rocprim17ROCPRIM_400000_NS6detail17trampoline_kernelINS0_14default_configENS1_35adjacent_difference_config_selectorILb1EaEEZNS1_24adjacent_difference_implIS3_Lb1ELb0EPKaPaN6thrust23THRUST_200600_302600_NS4plusIaEEEE10hipError_tPvRmT2_T3_mT4_P12ihipStream_tbEUlT_E_NS1_11comp_targetILNS1_3genE2ELNS1_11target_archE906ELNS1_3gpuE6ELNS1_3repE0EEENS1_30default_config_static_selectorELNS0_4arch9wavefront6targetE1EEEvT1_,"axG",@progbits,_ZN7rocprim17ROCPRIM_400000_NS6detail17trampoline_kernelINS0_14default_configENS1_35adjacent_difference_config_selectorILb1EaEEZNS1_24adjacent_difference_implIS3_Lb1ELb0EPKaPaN6thrust23THRUST_200600_302600_NS4plusIaEEEE10hipError_tPvRmT2_T3_mT4_P12ihipStream_tbEUlT_E_NS1_11comp_targetILNS1_3genE2ELNS1_11target_archE906ELNS1_3gpuE6ELNS1_3repE0EEENS1_30default_config_static_selectorELNS0_4arch9wavefront6targetE1EEEvT1_,comdat
	.protected	_ZN7rocprim17ROCPRIM_400000_NS6detail17trampoline_kernelINS0_14default_configENS1_35adjacent_difference_config_selectorILb1EaEEZNS1_24adjacent_difference_implIS3_Lb1ELb0EPKaPaN6thrust23THRUST_200600_302600_NS4plusIaEEEE10hipError_tPvRmT2_T3_mT4_P12ihipStream_tbEUlT_E_NS1_11comp_targetILNS1_3genE2ELNS1_11target_archE906ELNS1_3gpuE6ELNS1_3repE0EEENS1_30default_config_static_selectorELNS0_4arch9wavefront6targetE1EEEvT1_ ; -- Begin function _ZN7rocprim17ROCPRIM_400000_NS6detail17trampoline_kernelINS0_14default_configENS1_35adjacent_difference_config_selectorILb1EaEEZNS1_24adjacent_difference_implIS3_Lb1ELb0EPKaPaN6thrust23THRUST_200600_302600_NS4plusIaEEEE10hipError_tPvRmT2_T3_mT4_P12ihipStream_tbEUlT_E_NS1_11comp_targetILNS1_3genE2ELNS1_11target_archE906ELNS1_3gpuE6ELNS1_3repE0EEENS1_30default_config_static_selectorELNS0_4arch9wavefront6targetE1EEEvT1_
	.globl	_ZN7rocprim17ROCPRIM_400000_NS6detail17trampoline_kernelINS0_14default_configENS1_35adjacent_difference_config_selectorILb1EaEEZNS1_24adjacent_difference_implIS3_Lb1ELb0EPKaPaN6thrust23THRUST_200600_302600_NS4plusIaEEEE10hipError_tPvRmT2_T3_mT4_P12ihipStream_tbEUlT_E_NS1_11comp_targetILNS1_3genE2ELNS1_11target_archE906ELNS1_3gpuE6ELNS1_3repE0EEENS1_30default_config_static_selectorELNS0_4arch9wavefront6targetE1EEEvT1_
	.p2align	8
	.type	_ZN7rocprim17ROCPRIM_400000_NS6detail17trampoline_kernelINS0_14default_configENS1_35adjacent_difference_config_selectorILb1EaEEZNS1_24adjacent_difference_implIS3_Lb1ELb0EPKaPaN6thrust23THRUST_200600_302600_NS4plusIaEEEE10hipError_tPvRmT2_T3_mT4_P12ihipStream_tbEUlT_E_NS1_11comp_targetILNS1_3genE2ELNS1_11target_archE906ELNS1_3gpuE6ELNS1_3repE0EEENS1_30default_config_static_selectorELNS0_4arch9wavefront6targetE1EEEvT1_,@function
_ZN7rocprim17ROCPRIM_400000_NS6detail17trampoline_kernelINS0_14default_configENS1_35adjacent_difference_config_selectorILb1EaEEZNS1_24adjacent_difference_implIS3_Lb1ELb0EPKaPaN6thrust23THRUST_200600_302600_NS4plusIaEEEE10hipError_tPvRmT2_T3_mT4_P12ihipStream_tbEUlT_E_NS1_11comp_targetILNS1_3genE2ELNS1_11target_archE906ELNS1_3gpuE6ELNS1_3repE0EEENS1_30default_config_static_selectorELNS0_4arch9wavefront6targetE1EEEvT1_: ; @_ZN7rocprim17ROCPRIM_400000_NS6detail17trampoline_kernelINS0_14default_configENS1_35adjacent_difference_config_selectorILb1EaEEZNS1_24adjacent_difference_implIS3_Lb1ELb0EPKaPaN6thrust23THRUST_200600_302600_NS4plusIaEEEE10hipError_tPvRmT2_T3_mT4_P12ihipStream_tbEUlT_E_NS1_11comp_targetILNS1_3genE2ELNS1_11target_archE906ELNS1_3gpuE6ELNS1_3repE0EEENS1_30default_config_static_selectorELNS0_4arch9wavefront6targetE1EEEvT1_
; %bb.0:
	.section	.rodata,"a",@progbits
	.p2align	6, 0x0
	.amdhsa_kernel _ZN7rocprim17ROCPRIM_400000_NS6detail17trampoline_kernelINS0_14default_configENS1_35adjacent_difference_config_selectorILb1EaEEZNS1_24adjacent_difference_implIS3_Lb1ELb0EPKaPaN6thrust23THRUST_200600_302600_NS4plusIaEEEE10hipError_tPvRmT2_T3_mT4_P12ihipStream_tbEUlT_E_NS1_11comp_targetILNS1_3genE2ELNS1_11target_archE906ELNS1_3gpuE6ELNS1_3repE0EEENS1_30default_config_static_selectorELNS0_4arch9wavefront6targetE1EEEvT1_
		.amdhsa_group_segment_fixed_size 0
		.amdhsa_private_segment_fixed_size 0
		.amdhsa_kernarg_size 56
		.amdhsa_user_sgpr_count 2
		.amdhsa_user_sgpr_dispatch_ptr 0
		.amdhsa_user_sgpr_queue_ptr 0
		.amdhsa_user_sgpr_kernarg_segment_ptr 1
		.amdhsa_user_sgpr_dispatch_id 0
		.amdhsa_user_sgpr_kernarg_preload_length 0
		.amdhsa_user_sgpr_kernarg_preload_offset 0
		.amdhsa_user_sgpr_private_segment_size 0
		.amdhsa_uses_dynamic_stack 0
		.amdhsa_enable_private_segment 0
		.amdhsa_system_sgpr_workgroup_id_x 1
		.amdhsa_system_sgpr_workgroup_id_y 0
		.amdhsa_system_sgpr_workgroup_id_z 0
		.amdhsa_system_sgpr_workgroup_info 0
		.amdhsa_system_vgpr_workitem_id 0
		.amdhsa_next_free_vgpr 1
		.amdhsa_next_free_sgpr 0
		.amdhsa_accum_offset 4
		.amdhsa_reserve_vcc 0
		.amdhsa_float_round_mode_32 0
		.amdhsa_float_round_mode_16_64 0
		.amdhsa_float_denorm_mode_32 3
		.amdhsa_float_denorm_mode_16_64 3
		.amdhsa_dx10_clamp 1
		.amdhsa_ieee_mode 1
		.amdhsa_fp16_overflow 0
		.amdhsa_tg_split 0
		.amdhsa_exception_fp_ieee_invalid_op 0
		.amdhsa_exception_fp_denorm_src 0
		.amdhsa_exception_fp_ieee_div_zero 0
		.amdhsa_exception_fp_ieee_overflow 0
		.amdhsa_exception_fp_ieee_underflow 0
		.amdhsa_exception_fp_ieee_inexact 0
		.amdhsa_exception_int_div_zero 0
	.end_amdhsa_kernel
	.section	.text._ZN7rocprim17ROCPRIM_400000_NS6detail17trampoline_kernelINS0_14default_configENS1_35adjacent_difference_config_selectorILb1EaEEZNS1_24adjacent_difference_implIS3_Lb1ELb0EPKaPaN6thrust23THRUST_200600_302600_NS4plusIaEEEE10hipError_tPvRmT2_T3_mT4_P12ihipStream_tbEUlT_E_NS1_11comp_targetILNS1_3genE2ELNS1_11target_archE906ELNS1_3gpuE6ELNS1_3repE0EEENS1_30default_config_static_selectorELNS0_4arch9wavefront6targetE1EEEvT1_,"axG",@progbits,_ZN7rocprim17ROCPRIM_400000_NS6detail17trampoline_kernelINS0_14default_configENS1_35adjacent_difference_config_selectorILb1EaEEZNS1_24adjacent_difference_implIS3_Lb1ELb0EPKaPaN6thrust23THRUST_200600_302600_NS4plusIaEEEE10hipError_tPvRmT2_T3_mT4_P12ihipStream_tbEUlT_E_NS1_11comp_targetILNS1_3genE2ELNS1_11target_archE906ELNS1_3gpuE6ELNS1_3repE0EEENS1_30default_config_static_selectorELNS0_4arch9wavefront6targetE1EEEvT1_,comdat
.Lfunc_end488:
	.size	_ZN7rocprim17ROCPRIM_400000_NS6detail17trampoline_kernelINS0_14default_configENS1_35adjacent_difference_config_selectorILb1EaEEZNS1_24adjacent_difference_implIS3_Lb1ELb0EPKaPaN6thrust23THRUST_200600_302600_NS4plusIaEEEE10hipError_tPvRmT2_T3_mT4_P12ihipStream_tbEUlT_E_NS1_11comp_targetILNS1_3genE2ELNS1_11target_archE906ELNS1_3gpuE6ELNS1_3repE0EEENS1_30default_config_static_selectorELNS0_4arch9wavefront6targetE1EEEvT1_, .Lfunc_end488-_ZN7rocprim17ROCPRIM_400000_NS6detail17trampoline_kernelINS0_14default_configENS1_35adjacent_difference_config_selectorILb1EaEEZNS1_24adjacent_difference_implIS3_Lb1ELb0EPKaPaN6thrust23THRUST_200600_302600_NS4plusIaEEEE10hipError_tPvRmT2_T3_mT4_P12ihipStream_tbEUlT_E_NS1_11comp_targetILNS1_3genE2ELNS1_11target_archE906ELNS1_3gpuE6ELNS1_3repE0EEENS1_30default_config_static_selectorELNS0_4arch9wavefront6targetE1EEEvT1_
                                        ; -- End function
	.section	.AMDGPU.csdata,"",@progbits
; Kernel info:
; codeLenInByte = 0
; NumSgprs: 6
; NumVgprs: 0
; NumAgprs: 0
; TotalNumVgprs: 0
; ScratchSize: 0
; MemoryBound: 0
; FloatMode: 240
; IeeeMode: 1
; LDSByteSize: 0 bytes/workgroup (compile time only)
; SGPRBlocks: 0
; VGPRBlocks: 0
; NumSGPRsForWavesPerEU: 6
; NumVGPRsForWavesPerEU: 1
; AccumOffset: 4
; Occupancy: 8
; WaveLimiterHint : 0
; COMPUTE_PGM_RSRC2:SCRATCH_EN: 0
; COMPUTE_PGM_RSRC2:USER_SGPR: 2
; COMPUTE_PGM_RSRC2:TRAP_HANDLER: 0
; COMPUTE_PGM_RSRC2:TGID_X_EN: 1
; COMPUTE_PGM_RSRC2:TGID_Y_EN: 0
; COMPUTE_PGM_RSRC2:TGID_Z_EN: 0
; COMPUTE_PGM_RSRC2:TIDIG_COMP_CNT: 0
; COMPUTE_PGM_RSRC3_GFX90A:ACCUM_OFFSET: 0
; COMPUTE_PGM_RSRC3_GFX90A:TG_SPLIT: 0
	.section	.text._ZN7rocprim17ROCPRIM_400000_NS6detail17trampoline_kernelINS0_14default_configENS1_35adjacent_difference_config_selectorILb1EaEEZNS1_24adjacent_difference_implIS3_Lb1ELb0EPKaPaN6thrust23THRUST_200600_302600_NS4plusIaEEEE10hipError_tPvRmT2_T3_mT4_P12ihipStream_tbEUlT_E_NS1_11comp_targetILNS1_3genE9ELNS1_11target_archE1100ELNS1_3gpuE3ELNS1_3repE0EEENS1_30default_config_static_selectorELNS0_4arch9wavefront6targetE1EEEvT1_,"axG",@progbits,_ZN7rocprim17ROCPRIM_400000_NS6detail17trampoline_kernelINS0_14default_configENS1_35adjacent_difference_config_selectorILb1EaEEZNS1_24adjacent_difference_implIS3_Lb1ELb0EPKaPaN6thrust23THRUST_200600_302600_NS4plusIaEEEE10hipError_tPvRmT2_T3_mT4_P12ihipStream_tbEUlT_E_NS1_11comp_targetILNS1_3genE9ELNS1_11target_archE1100ELNS1_3gpuE3ELNS1_3repE0EEENS1_30default_config_static_selectorELNS0_4arch9wavefront6targetE1EEEvT1_,comdat
	.protected	_ZN7rocprim17ROCPRIM_400000_NS6detail17trampoline_kernelINS0_14default_configENS1_35adjacent_difference_config_selectorILb1EaEEZNS1_24adjacent_difference_implIS3_Lb1ELb0EPKaPaN6thrust23THRUST_200600_302600_NS4plusIaEEEE10hipError_tPvRmT2_T3_mT4_P12ihipStream_tbEUlT_E_NS1_11comp_targetILNS1_3genE9ELNS1_11target_archE1100ELNS1_3gpuE3ELNS1_3repE0EEENS1_30default_config_static_selectorELNS0_4arch9wavefront6targetE1EEEvT1_ ; -- Begin function _ZN7rocprim17ROCPRIM_400000_NS6detail17trampoline_kernelINS0_14default_configENS1_35adjacent_difference_config_selectorILb1EaEEZNS1_24adjacent_difference_implIS3_Lb1ELb0EPKaPaN6thrust23THRUST_200600_302600_NS4plusIaEEEE10hipError_tPvRmT2_T3_mT4_P12ihipStream_tbEUlT_E_NS1_11comp_targetILNS1_3genE9ELNS1_11target_archE1100ELNS1_3gpuE3ELNS1_3repE0EEENS1_30default_config_static_selectorELNS0_4arch9wavefront6targetE1EEEvT1_
	.globl	_ZN7rocprim17ROCPRIM_400000_NS6detail17trampoline_kernelINS0_14default_configENS1_35adjacent_difference_config_selectorILb1EaEEZNS1_24adjacent_difference_implIS3_Lb1ELb0EPKaPaN6thrust23THRUST_200600_302600_NS4plusIaEEEE10hipError_tPvRmT2_T3_mT4_P12ihipStream_tbEUlT_E_NS1_11comp_targetILNS1_3genE9ELNS1_11target_archE1100ELNS1_3gpuE3ELNS1_3repE0EEENS1_30default_config_static_selectorELNS0_4arch9wavefront6targetE1EEEvT1_
	.p2align	8
	.type	_ZN7rocprim17ROCPRIM_400000_NS6detail17trampoline_kernelINS0_14default_configENS1_35adjacent_difference_config_selectorILb1EaEEZNS1_24adjacent_difference_implIS3_Lb1ELb0EPKaPaN6thrust23THRUST_200600_302600_NS4plusIaEEEE10hipError_tPvRmT2_T3_mT4_P12ihipStream_tbEUlT_E_NS1_11comp_targetILNS1_3genE9ELNS1_11target_archE1100ELNS1_3gpuE3ELNS1_3repE0EEENS1_30default_config_static_selectorELNS0_4arch9wavefront6targetE1EEEvT1_,@function
_ZN7rocprim17ROCPRIM_400000_NS6detail17trampoline_kernelINS0_14default_configENS1_35adjacent_difference_config_selectorILb1EaEEZNS1_24adjacent_difference_implIS3_Lb1ELb0EPKaPaN6thrust23THRUST_200600_302600_NS4plusIaEEEE10hipError_tPvRmT2_T3_mT4_P12ihipStream_tbEUlT_E_NS1_11comp_targetILNS1_3genE9ELNS1_11target_archE1100ELNS1_3gpuE3ELNS1_3repE0EEENS1_30default_config_static_selectorELNS0_4arch9wavefront6targetE1EEEvT1_: ; @_ZN7rocprim17ROCPRIM_400000_NS6detail17trampoline_kernelINS0_14default_configENS1_35adjacent_difference_config_selectorILb1EaEEZNS1_24adjacent_difference_implIS3_Lb1ELb0EPKaPaN6thrust23THRUST_200600_302600_NS4plusIaEEEE10hipError_tPvRmT2_T3_mT4_P12ihipStream_tbEUlT_E_NS1_11comp_targetILNS1_3genE9ELNS1_11target_archE1100ELNS1_3gpuE3ELNS1_3repE0EEENS1_30default_config_static_selectorELNS0_4arch9wavefront6targetE1EEEvT1_
; %bb.0:
	.section	.rodata,"a",@progbits
	.p2align	6, 0x0
	.amdhsa_kernel _ZN7rocprim17ROCPRIM_400000_NS6detail17trampoline_kernelINS0_14default_configENS1_35adjacent_difference_config_selectorILb1EaEEZNS1_24adjacent_difference_implIS3_Lb1ELb0EPKaPaN6thrust23THRUST_200600_302600_NS4plusIaEEEE10hipError_tPvRmT2_T3_mT4_P12ihipStream_tbEUlT_E_NS1_11comp_targetILNS1_3genE9ELNS1_11target_archE1100ELNS1_3gpuE3ELNS1_3repE0EEENS1_30default_config_static_selectorELNS0_4arch9wavefront6targetE1EEEvT1_
		.amdhsa_group_segment_fixed_size 0
		.amdhsa_private_segment_fixed_size 0
		.amdhsa_kernarg_size 56
		.amdhsa_user_sgpr_count 2
		.amdhsa_user_sgpr_dispatch_ptr 0
		.amdhsa_user_sgpr_queue_ptr 0
		.amdhsa_user_sgpr_kernarg_segment_ptr 1
		.amdhsa_user_sgpr_dispatch_id 0
		.amdhsa_user_sgpr_kernarg_preload_length 0
		.amdhsa_user_sgpr_kernarg_preload_offset 0
		.amdhsa_user_sgpr_private_segment_size 0
		.amdhsa_uses_dynamic_stack 0
		.amdhsa_enable_private_segment 0
		.amdhsa_system_sgpr_workgroup_id_x 1
		.amdhsa_system_sgpr_workgroup_id_y 0
		.amdhsa_system_sgpr_workgroup_id_z 0
		.amdhsa_system_sgpr_workgroup_info 0
		.amdhsa_system_vgpr_workitem_id 0
		.amdhsa_next_free_vgpr 1
		.amdhsa_next_free_sgpr 0
		.amdhsa_accum_offset 4
		.amdhsa_reserve_vcc 0
		.amdhsa_float_round_mode_32 0
		.amdhsa_float_round_mode_16_64 0
		.amdhsa_float_denorm_mode_32 3
		.amdhsa_float_denorm_mode_16_64 3
		.amdhsa_dx10_clamp 1
		.amdhsa_ieee_mode 1
		.amdhsa_fp16_overflow 0
		.amdhsa_tg_split 0
		.amdhsa_exception_fp_ieee_invalid_op 0
		.amdhsa_exception_fp_denorm_src 0
		.amdhsa_exception_fp_ieee_div_zero 0
		.amdhsa_exception_fp_ieee_overflow 0
		.amdhsa_exception_fp_ieee_underflow 0
		.amdhsa_exception_fp_ieee_inexact 0
		.amdhsa_exception_int_div_zero 0
	.end_amdhsa_kernel
	.section	.text._ZN7rocprim17ROCPRIM_400000_NS6detail17trampoline_kernelINS0_14default_configENS1_35adjacent_difference_config_selectorILb1EaEEZNS1_24adjacent_difference_implIS3_Lb1ELb0EPKaPaN6thrust23THRUST_200600_302600_NS4plusIaEEEE10hipError_tPvRmT2_T3_mT4_P12ihipStream_tbEUlT_E_NS1_11comp_targetILNS1_3genE9ELNS1_11target_archE1100ELNS1_3gpuE3ELNS1_3repE0EEENS1_30default_config_static_selectorELNS0_4arch9wavefront6targetE1EEEvT1_,"axG",@progbits,_ZN7rocprim17ROCPRIM_400000_NS6detail17trampoline_kernelINS0_14default_configENS1_35adjacent_difference_config_selectorILb1EaEEZNS1_24adjacent_difference_implIS3_Lb1ELb0EPKaPaN6thrust23THRUST_200600_302600_NS4plusIaEEEE10hipError_tPvRmT2_T3_mT4_P12ihipStream_tbEUlT_E_NS1_11comp_targetILNS1_3genE9ELNS1_11target_archE1100ELNS1_3gpuE3ELNS1_3repE0EEENS1_30default_config_static_selectorELNS0_4arch9wavefront6targetE1EEEvT1_,comdat
.Lfunc_end489:
	.size	_ZN7rocprim17ROCPRIM_400000_NS6detail17trampoline_kernelINS0_14default_configENS1_35adjacent_difference_config_selectorILb1EaEEZNS1_24adjacent_difference_implIS3_Lb1ELb0EPKaPaN6thrust23THRUST_200600_302600_NS4plusIaEEEE10hipError_tPvRmT2_T3_mT4_P12ihipStream_tbEUlT_E_NS1_11comp_targetILNS1_3genE9ELNS1_11target_archE1100ELNS1_3gpuE3ELNS1_3repE0EEENS1_30default_config_static_selectorELNS0_4arch9wavefront6targetE1EEEvT1_, .Lfunc_end489-_ZN7rocprim17ROCPRIM_400000_NS6detail17trampoline_kernelINS0_14default_configENS1_35adjacent_difference_config_selectorILb1EaEEZNS1_24adjacent_difference_implIS3_Lb1ELb0EPKaPaN6thrust23THRUST_200600_302600_NS4plusIaEEEE10hipError_tPvRmT2_T3_mT4_P12ihipStream_tbEUlT_E_NS1_11comp_targetILNS1_3genE9ELNS1_11target_archE1100ELNS1_3gpuE3ELNS1_3repE0EEENS1_30default_config_static_selectorELNS0_4arch9wavefront6targetE1EEEvT1_
                                        ; -- End function
	.section	.AMDGPU.csdata,"",@progbits
; Kernel info:
; codeLenInByte = 0
; NumSgprs: 6
; NumVgprs: 0
; NumAgprs: 0
; TotalNumVgprs: 0
; ScratchSize: 0
; MemoryBound: 0
; FloatMode: 240
; IeeeMode: 1
; LDSByteSize: 0 bytes/workgroup (compile time only)
; SGPRBlocks: 0
; VGPRBlocks: 0
; NumSGPRsForWavesPerEU: 6
; NumVGPRsForWavesPerEU: 1
; AccumOffset: 4
; Occupancy: 8
; WaveLimiterHint : 0
; COMPUTE_PGM_RSRC2:SCRATCH_EN: 0
; COMPUTE_PGM_RSRC2:USER_SGPR: 2
; COMPUTE_PGM_RSRC2:TRAP_HANDLER: 0
; COMPUTE_PGM_RSRC2:TGID_X_EN: 1
; COMPUTE_PGM_RSRC2:TGID_Y_EN: 0
; COMPUTE_PGM_RSRC2:TGID_Z_EN: 0
; COMPUTE_PGM_RSRC2:TIDIG_COMP_CNT: 0
; COMPUTE_PGM_RSRC3_GFX90A:ACCUM_OFFSET: 0
; COMPUTE_PGM_RSRC3_GFX90A:TG_SPLIT: 0
	.section	.text._ZN7rocprim17ROCPRIM_400000_NS6detail17trampoline_kernelINS0_14default_configENS1_35adjacent_difference_config_selectorILb1EaEEZNS1_24adjacent_difference_implIS3_Lb1ELb0EPKaPaN6thrust23THRUST_200600_302600_NS4plusIaEEEE10hipError_tPvRmT2_T3_mT4_P12ihipStream_tbEUlT_E_NS1_11comp_targetILNS1_3genE8ELNS1_11target_archE1030ELNS1_3gpuE2ELNS1_3repE0EEENS1_30default_config_static_selectorELNS0_4arch9wavefront6targetE1EEEvT1_,"axG",@progbits,_ZN7rocprim17ROCPRIM_400000_NS6detail17trampoline_kernelINS0_14default_configENS1_35adjacent_difference_config_selectorILb1EaEEZNS1_24adjacent_difference_implIS3_Lb1ELb0EPKaPaN6thrust23THRUST_200600_302600_NS4plusIaEEEE10hipError_tPvRmT2_T3_mT4_P12ihipStream_tbEUlT_E_NS1_11comp_targetILNS1_3genE8ELNS1_11target_archE1030ELNS1_3gpuE2ELNS1_3repE0EEENS1_30default_config_static_selectorELNS0_4arch9wavefront6targetE1EEEvT1_,comdat
	.protected	_ZN7rocprim17ROCPRIM_400000_NS6detail17trampoline_kernelINS0_14default_configENS1_35adjacent_difference_config_selectorILb1EaEEZNS1_24adjacent_difference_implIS3_Lb1ELb0EPKaPaN6thrust23THRUST_200600_302600_NS4plusIaEEEE10hipError_tPvRmT2_T3_mT4_P12ihipStream_tbEUlT_E_NS1_11comp_targetILNS1_3genE8ELNS1_11target_archE1030ELNS1_3gpuE2ELNS1_3repE0EEENS1_30default_config_static_selectorELNS0_4arch9wavefront6targetE1EEEvT1_ ; -- Begin function _ZN7rocprim17ROCPRIM_400000_NS6detail17trampoline_kernelINS0_14default_configENS1_35adjacent_difference_config_selectorILb1EaEEZNS1_24adjacent_difference_implIS3_Lb1ELb0EPKaPaN6thrust23THRUST_200600_302600_NS4plusIaEEEE10hipError_tPvRmT2_T3_mT4_P12ihipStream_tbEUlT_E_NS1_11comp_targetILNS1_3genE8ELNS1_11target_archE1030ELNS1_3gpuE2ELNS1_3repE0EEENS1_30default_config_static_selectorELNS0_4arch9wavefront6targetE1EEEvT1_
	.globl	_ZN7rocprim17ROCPRIM_400000_NS6detail17trampoline_kernelINS0_14default_configENS1_35adjacent_difference_config_selectorILb1EaEEZNS1_24adjacent_difference_implIS3_Lb1ELb0EPKaPaN6thrust23THRUST_200600_302600_NS4plusIaEEEE10hipError_tPvRmT2_T3_mT4_P12ihipStream_tbEUlT_E_NS1_11comp_targetILNS1_3genE8ELNS1_11target_archE1030ELNS1_3gpuE2ELNS1_3repE0EEENS1_30default_config_static_selectorELNS0_4arch9wavefront6targetE1EEEvT1_
	.p2align	8
	.type	_ZN7rocprim17ROCPRIM_400000_NS6detail17trampoline_kernelINS0_14default_configENS1_35adjacent_difference_config_selectorILb1EaEEZNS1_24adjacent_difference_implIS3_Lb1ELb0EPKaPaN6thrust23THRUST_200600_302600_NS4plusIaEEEE10hipError_tPvRmT2_T3_mT4_P12ihipStream_tbEUlT_E_NS1_11comp_targetILNS1_3genE8ELNS1_11target_archE1030ELNS1_3gpuE2ELNS1_3repE0EEENS1_30default_config_static_selectorELNS0_4arch9wavefront6targetE1EEEvT1_,@function
_ZN7rocprim17ROCPRIM_400000_NS6detail17trampoline_kernelINS0_14default_configENS1_35adjacent_difference_config_selectorILb1EaEEZNS1_24adjacent_difference_implIS3_Lb1ELb0EPKaPaN6thrust23THRUST_200600_302600_NS4plusIaEEEE10hipError_tPvRmT2_T3_mT4_P12ihipStream_tbEUlT_E_NS1_11comp_targetILNS1_3genE8ELNS1_11target_archE1030ELNS1_3gpuE2ELNS1_3repE0EEENS1_30default_config_static_selectorELNS0_4arch9wavefront6targetE1EEEvT1_: ; @_ZN7rocprim17ROCPRIM_400000_NS6detail17trampoline_kernelINS0_14default_configENS1_35adjacent_difference_config_selectorILb1EaEEZNS1_24adjacent_difference_implIS3_Lb1ELb0EPKaPaN6thrust23THRUST_200600_302600_NS4plusIaEEEE10hipError_tPvRmT2_T3_mT4_P12ihipStream_tbEUlT_E_NS1_11comp_targetILNS1_3genE8ELNS1_11target_archE1030ELNS1_3gpuE2ELNS1_3repE0EEENS1_30default_config_static_selectorELNS0_4arch9wavefront6targetE1EEEvT1_
; %bb.0:
	.section	.rodata,"a",@progbits
	.p2align	6, 0x0
	.amdhsa_kernel _ZN7rocprim17ROCPRIM_400000_NS6detail17trampoline_kernelINS0_14default_configENS1_35adjacent_difference_config_selectorILb1EaEEZNS1_24adjacent_difference_implIS3_Lb1ELb0EPKaPaN6thrust23THRUST_200600_302600_NS4plusIaEEEE10hipError_tPvRmT2_T3_mT4_P12ihipStream_tbEUlT_E_NS1_11comp_targetILNS1_3genE8ELNS1_11target_archE1030ELNS1_3gpuE2ELNS1_3repE0EEENS1_30default_config_static_selectorELNS0_4arch9wavefront6targetE1EEEvT1_
		.amdhsa_group_segment_fixed_size 0
		.amdhsa_private_segment_fixed_size 0
		.amdhsa_kernarg_size 56
		.amdhsa_user_sgpr_count 2
		.amdhsa_user_sgpr_dispatch_ptr 0
		.amdhsa_user_sgpr_queue_ptr 0
		.amdhsa_user_sgpr_kernarg_segment_ptr 1
		.amdhsa_user_sgpr_dispatch_id 0
		.amdhsa_user_sgpr_kernarg_preload_length 0
		.amdhsa_user_sgpr_kernarg_preload_offset 0
		.amdhsa_user_sgpr_private_segment_size 0
		.amdhsa_uses_dynamic_stack 0
		.amdhsa_enable_private_segment 0
		.amdhsa_system_sgpr_workgroup_id_x 1
		.amdhsa_system_sgpr_workgroup_id_y 0
		.amdhsa_system_sgpr_workgroup_id_z 0
		.amdhsa_system_sgpr_workgroup_info 0
		.amdhsa_system_vgpr_workitem_id 0
		.amdhsa_next_free_vgpr 1
		.amdhsa_next_free_sgpr 0
		.amdhsa_accum_offset 4
		.amdhsa_reserve_vcc 0
		.amdhsa_float_round_mode_32 0
		.amdhsa_float_round_mode_16_64 0
		.amdhsa_float_denorm_mode_32 3
		.amdhsa_float_denorm_mode_16_64 3
		.amdhsa_dx10_clamp 1
		.amdhsa_ieee_mode 1
		.amdhsa_fp16_overflow 0
		.amdhsa_tg_split 0
		.amdhsa_exception_fp_ieee_invalid_op 0
		.amdhsa_exception_fp_denorm_src 0
		.amdhsa_exception_fp_ieee_div_zero 0
		.amdhsa_exception_fp_ieee_overflow 0
		.amdhsa_exception_fp_ieee_underflow 0
		.amdhsa_exception_fp_ieee_inexact 0
		.amdhsa_exception_int_div_zero 0
	.end_amdhsa_kernel
	.section	.text._ZN7rocprim17ROCPRIM_400000_NS6detail17trampoline_kernelINS0_14default_configENS1_35adjacent_difference_config_selectorILb1EaEEZNS1_24adjacent_difference_implIS3_Lb1ELb0EPKaPaN6thrust23THRUST_200600_302600_NS4plusIaEEEE10hipError_tPvRmT2_T3_mT4_P12ihipStream_tbEUlT_E_NS1_11comp_targetILNS1_3genE8ELNS1_11target_archE1030ELNS1_3gpuE2ELNS1_3repE0EEENS1_30default_config_static_selectorELNS0_4arch9wavefront6targetE1EEEvT1_,"axG",@progbits,_ZN7rocprim17ROCPRIM_400000_NS6detail17trampoline_kernelINS0_14default_configENS1_35adjacent_difference_config_selectorILb1EaEEZNS1_24adjacent_difference_implIS3_Lb1ELb0EPKaPaN6thrust23THRUST_200600_302600_NS4plusIaEEEE10hipError_tPvRmT2_T3_mT4_P12ihipStream_tbEUlT_E_NS1_11comp_targetILNS1_3genE8ELNS1_11target_archE1030ELNS1_3gpuE2ELNS1_3repE0EEENS1_30default_config_static_selectorELNS0_4arch9wavefront6targetE1EEEvT1_,comdat
.Lfunc_end490:
	.size	_ZN7rocprim17ROCPRIM_400000_NS6detail17trampoline_kernelINS0_14default_configENS1_35adjacent_difference_config_selectorILb1EaEEZNS1_24adjacent_difference_implIS3_Lb1ELb0EPKaPaN6thrust23THRUST_200600_302600_NS4plusIaEEEE10hipError_tPvRmT2_T3_mT4_P12ihipStream_tbEUlT_E_NS1_11comp_targetILNS1_3genE8ELNS1_11target_archE1030ELNS1_3gpuE2ELNS1_3repE0EEENS1_30default_config_static_selectorELNS0_4arch9wavefront6targetE1EEEvT1_, .Lfunc_end490-_ZN7rocprim17ROCPRIM_400000_NS6detail17trampoline_kernelINS0_14default_configENS1_35adjacent_difference_config_selectorILb1EaEEZNS1_24adjacent_difference_implIS3_Lb1ELb0EPKaPaN6thrust23THRUST_200600_302600_NS4plusIaEEEE10hipError_tPvRmT2_T3_mT4_P12ihipStream_tbEUlT_E_NS1_11comp_targetILNS1_3genE8ELNS1_11target_archE1030ELNS1_3gpuE2ELNS1_3repE0EEENS1_30default_config_static_selectorELNS0_4arch9wavefront6targetE1EEEvT1_
                                        ; -- End function
	.section	.AMDGPU.csdata,"",@progbits
; Kernel info:
; codeLenInByte = 0
; NumSgprs: 6
; NumVgprs: 0
; NumAgprs: 0
; TotalNumVgprs: 0
; ScratchSize: 0
; MemoryBound: 0
; FloatMode: 240
; IeeeMode: 1
; LDSByteSize: 0 bytes/workgroup (compile time only)
; SGPRBlocks: 0
; VGPRBlocks: 0
; NumSGPRsForWavesPerEU: 6
; NumVGPRsForWavesPerEU: 1
; AccumOffset: 4
; Occupancy: 8
; WaveLimiterHint : 0
; COMPUTE_PGM_RSRC2:SCRATCH_EN: 0
; COMPUTE_PGM_RSRC2:USER_SGPR: 2
; COMPUTE_PGM_RSRC2:TRAP_HANDLER: 0
; COMPUTE_PGM_RSRC2:TGID_X_EN: 1
; COMPUTE_PGM_RSRC2:TGID_Y_EN: 0
; COMPUTE_PGM_RSRC2:TGID_Z_EN: 0
; COMPUTE_PGM_RSRC2:TIDIG_COMP_CNT: 0
; COMPUTE_PGM_RSRC3_GFX90A:ACCUM_OFFSET: 0
; COMPUTE_PGM_RSRC3_GFX90A:TG_SPLIT: 0
	.section	.text._ZN7rocprim17ROCPRIM_400000_NS6detail17trampoline_kernelINS0_14default_configENS1_35adjacent_difference_config_selectorILb0EhEEZNS1_24adjacent_difference_implIS3_Lb0ELb0EPKhPhN6thrust23THRUST_200600_302600_NS4plusIhEEEE10hipError_tPvRmT2_T3_mT4_P12ihipStream_tbEUlT_E_NS1_11comp_targetILNS1_3genE0ELNS1_11target_archE4294967295ELNS1_3gpuE0ELNS1_3repE0EEENS1_30default_config_static_selectorELNS0_4arch9wavefront6targetE1EEEvT1_,"axG",@progbits,_ZN7rocprim17ROCPRIM_400000_NS6detail17trampoline_kernelINS0_14default_configENS1_35adjacent_difference_config_selectorILb0EhEEZNS1_24adjacent_difference_implIS3_Lb0ELb0EPKhPhN6thrust23THRUST_200600_302600_NS4plusIhEEEE10hipError_tPvRmT2_T3_mT4_P12ihipStream_tbEUlT_E_NS1_11comp_targetILNS1_3genE0ELNS1_11target_archE4294967295ELNS1_3gpuE0ELNS1_3repE0EEENS1_30default_config_static_selectorELNS0_4arch9wavefront6targetE1EEEvT1_,comdat
	.protected	_ZN7rocprim17ROCPRIM_400000_NS6detail17trampoline_kernelINS0_14default_configENS1_35adjacent_difference_config_selectorILb0EhEEZNS1_24adjacent_difference_implIS3_Lb0ELb0EPKhPhN6thrust23THRUST_200600_302600_NS4plusIhEEEE10hipError_tPvRmT2_T3_mT4_P12ihipStream_tbEUlT_E_NS1_11comp_targetILNS1_3genE0ELNS1_11target_archE4294967295ELNS1_3gpuE0ELNS1_3repE0EEENS1_30default_config_static_selectorELNS0_4arch9wavefront6targetE1EEEvT1_ ; -- Begin function _ZN7rocprim17ROCPRIM_400000_NS6detail17trampoline_kernelINS0_14default_configENS1_35adjacent_difference_config_selectorILb0EhEEZNS1_24adjacent_difference_implIS3_Lb0ELb0EPKhPhN6thrust23THRUST_200600_302600_NS4plusIhEEEE10hipError_tPvRmT2_T3_mT4_P12ihipStream_tbEUlT_E_NS1_11comp_targetILNS1_3genE0ELNS1_11target_archE4294967295ELNS1_3gpuE0ELNS1_3repE0EEENS1_30default_config_static_selectorELNS0_4arch9wavefront6targetE1EEEvT1_
	.globl	_ZN7rocprim17ROCPRIM_400000_NS6detail17trampoline_kernelINS0_14default_configENS1_35adjacent_difference_config_selectorILb0EhEEZNS1_24adjacent_difference_implIS3_Lb0ELb0EPKhPhN6thrust23THRUST_200600_302600_NS4plusIhEEEE10hipError_tPvRmT2_T3_mT4_P12ihipStream_tbEUlT_E_NS1_11comp_targetILNS1_3genE0ELNS1_11target_archE4294967295ELNS1_3gpuE0ELNS1_3repE0EEENS1_30default_config_static_selectorELNS0_4arch9wavefront6targetE1EEEvT1_
	.p2align	8
	.type	_ZN7rocprim17ROCPRIM_400000_NS6detail17trampoline_kernelINS0_14default_configENS1_35adjacent_difference_config_selectorILb0EhEEZNS1_24adjacent_difference_implIS3_Lb0ELb0EPKhPhN6thrust23THRUST_200600_302600_NS4plusIhEEEE10hipError_tPvRmT2_T3_mT4_P12ihipStream_tbEUlT_E_NS1_11comp_targetILNS1_3genE0ELNS1_11target_archE4294967295ELNS1_3gpuE0ELNS1_3repE0EEENS1_30default_config_static_selectorELNS0_4arch9wavefront6targetE1EEEvT1_,@function
_ZN7rocprim17ROCPRIM_400000_NS6detail17trampoline_kernelINS0_14default_configENS1_35adjacent_difference_config_selectorILb0EhEEZNS1_24adjacent_difference_implIS3_Lb0ELb0EPKhPhN6thrust23THRUST_200600_302600_NS4plusIhEEEE10hipError_tPvRmT2_T3_mT4_P12ihipStream_tbEUlT_E_NS1_11comp_targetILNS1_3genE0ELNS1_11target_archE4294967295ELNS1_3gpuE0ELNS1_3repE0EEENS1_30default_config_static_selectorELNS0_4arch9wavefront6targetE1EEEvT1_: ; @_ZN7rocprim17ROCPRIM_400000_NS6detail17trampoline_kernelINS0_14default_configENS1_35adjacent_difference_config_selectorILb0EhEEZNS1_24adjacent_difference_implIS3_Lb0ELb0EPKhPhN6thrust23THRUST_200600_302600_NS4plusIhEEEE10hipError_tPvRmT2_T3_mT4_P12ihipStream_tbEUlT_E_NS1_11comp_targetILNS1_3genE0ELNS1_11target_archE4294967295ELNS1_3gpuE0ELNS1_3repE0EEENS1_30default_config_static_selectorELNS0_4arch9wavefront6targetE1EEEvT1_
; %bb.0:
	.section	.rodata,"a",@progbits
	.p2align	6, 0x0
	.amdhsa_kernel _ZN7rocprim17ROCPRIM_400000_NS6detail17trampoline_kernelINS0_14default_configENS1_35adjacent_difference_config_selectorILb0EhEEZNS1_24adjacent_difference_implIS3_Lb0ELb0EPKhPhN6thrust23THRUST_200600_302600_NS4plusIhEEEE10hipError_tPvRmT2_T3_mT4_P12ihipStream_tbEUlT_E_NS1_11comp_targetILNS1_3genE0ELNS1_11target_archE4294967295ELNS1_3gpuE0ELNS1_3repE0EEENS1_30default_config_static_selectorELNS0_4arch9wavefront6targetE1EEEvT1_
		.amdhsa_group_segment_fixed_size 0
		.amdhsa_private_segment_fixed_size 0
		.amdhsa_kernarg_size 56
		.amdhsa_user_sgpr_count 2
		.amdhsa_user_sgpr_dispatch_ptr 0
		.amdhsa_user_sgpr_queue_ptr 0
		.amdhsa_user_sgpr_kernarg_segment_ptr 1
		.amdhsa_user_sgpr_dispatch_id 0
		.amdhsa_user_sgpr_kernarg_preload_length 0
		.amdhsa_user_sgpr_kernarg_preload_offset 0
		.amdhsa_user_sgpr_private_segment_size 0
		.amdhsa_uses_dynamic_stack 0
		.amdhsa_enable_private_segment 0
		.amdhsa_system_sgpr_workgroup_id_x 1
		.amdhsa_system_sgpr_workgroup_id_y 0
		.amdhsa_system_sgpr_workgroup_id_z 0
		.amdhsa_system_sgpr_workgroup_info 0
		.amdhsa_system_vgpr_workitem_id 0
		.amdhsa_next_free_vgpr 1
		.amdhsa_next_free_sgpr 0
		.amdhsa_accum_offset 4
		.amdhsa_reserve_vcc 0
		.amdhsa_float_round_mode_32 0
		.amdhsa_float_round_mode_16_64 0
		.amdhsa_float_denorm_mode_32 3
		.amdhsa_float_denorm_mode_16_64 3
		.amdhsa_dx10_clamp 1
		.amdhsa_ieee_mode 1
		.amdhsa_fp16_overflow 0
		.amdhsa_tg_split 0
		.amdhsa_exception_fp_ieee_invalid_op 0
		.amdhsa_exception_fp_denorm_src 0
		.amdhsa_exception_fp_ieee_div_zero 0
		.amdhsa_exception_fp_ieee_overflow 0
		.amdhsa_exception_fp_ieee_underflow 0
		.amdhsa_exception_fp_ieee_inexact 0
		.amdhsa_exception_int_div_zero 0
	.end_amdhsa_kernel
	.section	.text._ZN7rocprim17ROCPRIM_400000_NS6detail17trampoline_kernelINS0_14default_configENS1_35adjacent_difference_config_selectorILb0EhEEZNS1_24adjacent_difference_implIS3_Lb0ELb0EPKhPhN6thrust23THRUST_200600_302600_NS4plusIhEEEE10hipError_tPvRmT2_T3_mT4_P12ihipStream_tbEUlT_E_NS1_11comp_targetILNS1_3genE0ELNS1_11target_archE4294967295ELNS1_3gpuE0ELNS1_3repE0EEENS1_30default_config_static_selectorELNS0_4arch9wavefront6targetE1EEEvT1_,"axG",@progbits,_ZN7rocprim17ROCPRIM_400000_NS6detail17trampoline_kernelINS0_14default_configENS1_35adjacent_difference_config_selectorILb0EhEEZNS1_24adjacent_difference_implIS3_Lb0ELb0EPKhPhN6thrust23THRUST_200600_302600_NS4plusIhEEEE10hipError_tPvRmT2_T3_mT4_P12ihipStream_tbEUlT_E_NS1_11comp_targetILNS1_3genE0ELNS1_11target_archE4294967295ELNS1_3gpuE0ELNS1_3repE0EEENS1_30default_config_static_selectorELNS0_4arch9wavefront6targetE1EEEvT1_,comdat
.Lfunc_end491:
	.size	_ZN7rocprim17ROCPRIM_400000_NS6detail17trampoline_kernelINS0_14default_configENS1_35adjacent_difference_config_selectorILb0EhEEZNS1_24adjacent_difference_implIS3_Lb0ELb0EPKhPhN6thrust23THRUST_200600_302600_NS4plusIhEEEE10hipError_tPvRmT2_T3_mT4_P12ihipStream_tbEUlT_E_NS1_11comp_targetILNS1_3genE0ELNS1_11target_archE4294967295ELNS1_3gpuE0ELNS1_3repE0EEENS1_30default_config_static_selectorELNS0_4arch9wavefront6targetE1EEEvT1_, .Lfunc_end491-_ZN7rocprim17ROCPRIM_400000_NS6detail17trampoline_kernelINS0_14default_configENS1_35adjacent_difference_config_selectorILb0EhEEZNS1_24adjacent_difference_implIS3_Lb0ELb0EPKhPhN6thrust23THRUST_200600_302600_NS4plusIhEEEE10hipError_tPvRmT2_T3_mT4_P12ihipStream_tbEUlT_E_NS1_11comp_targetILNS1_3genE0ELNS1_11target_archE4294967295ELNS1_3gpuE0ELNS1_3repE0EEENS1_30default_config_static_selectorELNS0_4arch9wavefront6targetE1EEEvT1_
                                        ; -- End function
	.section	.AMDGPU.csdata,"",@progbits
; Kernel info:
; codeLenInByte = 0
; NumSgprs: 6
; NumVgprs: 0
; NumAgprs: 0
; TotalNumVgprs: 0
; ScratchSize: 0
; MemoryBound: 0
; FloatMode: 240
; IeeeMode: 1
; LDSByteSize: 0 bytes/workgroup (compile time only)
; SGPRBlocks: 0
; VGPRBlocks: 0
; NumSGPRsForWavesPerEU: 6
; NumVGPRsForWavesPerEU: 1
; AccumOffset: 4
; Occupancy: 8
; WaveLimiterHint : 0
; COMPUTE_PGM_RSRC2:SCRATCH_EN: 0
; COMPUTE_PGM_RSRC2:USER_SGPR: 2
; COMPUTE_PGM_RSRC2:TRAP_HANDLER: 0
; COMPUTE_PGM_RSRC2:TGID_X_EN: 1
; COMPUTE_PGM_RSRC2:TGID_Y_EN: 0
; COMPUTE_PGM_RSRC2:TGID_Z_EN: 0
; COMPUTE_PGM_RSRC2:TIDIG_COMP_CNT: 0
; COMPUTE_PGM_RSRC3_GFX90A:ACCUM_OFFSET: 0
; COMPUTE_PGM_RSRC3_GFX90A:TG_SPLIT: 0
	.section	.text._ZN7rocprim17ROCPRIM_400000_NS6detail17trampoline_kernelINS0_14default_configENS1_35adjacent_difference_config_selectorILb0EhEEZNS1_24adjacent_difference_implIS3_Lb0ELb0EPKhPhN6thrust23THRUST_200600_302600_NS4plusIhEEEE10hipError_tPvRmT2_T3_mT4_P12ihipStream_tbEUlT_E_NS1_11comp_targetILNS1_3genE10ELNS1_11target_archE1201ELNS1_3gpuE5ELNS1_3repE0EEENS1_30default_config_static_selectorELNS0_4arch9wavefront6targetE1EEEvT1_,"axG",@progbits,_ZN7rocprim17ROCPRIM_400000_NS6detail17trampoline_kernelINS0_14default_configENS1_35adjacent_difference_config_selectorILb0EhEEZNS1_24adjacent_difference_implIS3_Lb0ELb0EPKhPhN6thrust23THRUST_200600_302600_NS4plusIhEEEE10hipError_tPvRmT2_T3_mT4_P12ihipStream_tbEUlT_E_NS1_11comp_targetILNS1_3genE10ELNS1_11target_archE1201ELNS1_3gpuE5ELNS1_3repE0EEENS1_30default_config_static_selectorELNS0_4arch9wavefront6targetE1EEEvT1_,comdat
	.protected	_ZN7rocprim17ROCPRIM_400000_NS6detail17trampoline_kernelINS0_14default_configENS1_35adjacent_difference_config_selectorILb0EhEEZNS1_24adjacent_difference_implIS3_Lb0ELb0EPKhPhN6thrust23THRUST_200600_302600_NS4plusIhEEEE10hipError_tPvRmT2_T3_mT4_P12ihipStream_tbEUlT_E_NS1_11comp_targetILNS1_3genE10ELNS1_11target_archE1201ELNS1_3gpuE5ELNS1_3repE0EEENS1_30default_config_static_selectorELNS0_4arch9wavefront6targetE1EEEvT1_ ; -- Begin function _ZN7rocprim17ROCPRIM_400000_NS6detail17trampoline_kernelINS0_14default_configENS1_35adjacent_difference_config_selectorILb0EhEEZNS1_24adjacent_difference_implIS3_Lb0ELb0EPKhPhN6thrust23THRUST_200600_302600_NS4plusIhEEEE10hipError_tPvRmT2_T3_mT4_P12ihipStream_tbEUlT_E_NS1_11comp_targetILNS1_3genE10ELNS1_11target_archE1201ELNS1_3gpuE5ELNS1_3repE0EEENS1_30default_config_static_selectorELNS0_4arch9wavefront6targetE1EEEvT1_
	.globl	_ZN7rocprim17ROCPRIM_400000_NS6detail17trampoline_kernelINS0_14default_configENS1_35adjacent_difference_config_selectorILb0EhEEZNS1_24adjacent_difference_implIS3_Lb0ELb0EPKhPhN6thrust23THRUST_200600_302600_NS4plusIhEEEE10hipError_tPvRmT2_T3_mT4_P12ihipStream_tbEUlT_E_NS1_11comp_targetILNS1_3genE10ELNS1_11target_archE1201ELNS1_3gpuE5ELNS1_3repE0EEENS1_30default_config_static_selectorELNS0_4arch9wavefront6targetE1EEEvT1_
	.p2align	8
	.type	_ZN7rocprim17ROCPRIM_400000_NS6detail17trampoline_kernelINS0_14default_configENS1_35adjacent_difference_config_selectorILb0EhEEZNS1_24adjacent_difference_implIS3_Lb0ELb0EPKhPhN6thrust23THRUST_200600_302600_NS4plusIhEEEE10hipError_tPvRmT2_T3_mT4_P12ihipStream_tbEUlT_E_NS1_11comp_targetILNS1_3genE10ELNS1_11target_archE1201ELNS1_3gpuE5ELNS1_3repE0EEENS1_30default_config_static_selectorELNS0_4arch9wavefront6targetE1EEEvT1_,@function
_ZN7rocprim17ROCPRIM_400000_NS6detail17trampoline_kernelINS0_14default_configENS1_35adjacent_difference_config_selectorILb0EhEEZNS1_24adjacent_difference_implIS3_Lb0ELb0EPKhPhN6thrust23THRUST_200600_302600_NS4plusIhEEEE10hipError_tPvRmT2_T3_mT4_P12ihipStream_tbEUlT_E_NS1_11comp_targetILNS1_3genE10ELNS1_11target_archE1201ELNS1_3gpuE5ELNS1_3repE0EEENS1_30default_config_static_selectorELNS0_4arch9wavefront6targetE1EEEvT1_: ; @_ZN7rocprim17ROCPRIM_400000_NS6detail17trampoline_kernelINS0_14default_configENS1_35adjacent_difference_config_selectorILb0EhEEZNS1_24adjacent_difference_implIS3_Lb0ELb0EPKhPhN6thrust23THRUST_200600_302600_NS4plusIhEEEE10hipError_tPvRmT2_T3_mT4_P12ihipStream_tbEUlT_E_NS1_11comp_targetILNS1_3genE10ELNS1_11target_archE1201ELNS1_3gpuE5ELNS1_3repE0EEENS1_30default_config_static_selectorELNS0_4arch9wavefront6targetE1EEEvT1_
; %bb.0:
	.section	.rodata,"a",@progbits
	.p2align	6, 0x0
	.amdhsa_kernel _ZN7rocprim17ROCPRIM_400000_NS6detail17trampoline_kernelINS0_14default_configENS1_35adjacent_difference_config_selectorILb0EhEEZNS1_24adjacent_difference_implIS3_Lb0ELb0EPKhPhN6thrust23THRUST_200600_302600_NS4plusIhEEEE10hipError_tPvRmT2_T3_mT4_P12ihipStream_tbEUlT_E_NS1_11comp_targetILNS1_3genE10ELNS1_11target_archE1201ELNS1_3gpuE5ELNS1_3repE0EEENS1_30default_config_static_selectorELNS0_4arch9wavefront6targetE1EEEvT1_
		.amdhsa_group_segment_fixed_size 0
		.amdhsa_private_segment_fixed_size 0
		.amdhsa_kernarg_size 56
		.amdhsa_user_sgpr_count 2
		.amdhsa_user_sgpr_dispatch_ptr 0
		.amdhsa_user_sgpr_queue_ptr 0
		.amdhsa_user_sgpr_kernarg_segment_ptr 1
		.amdhsa_user_sgpr_dispatch_id 0
		.amdhsa_user_sgpr_kernarg_preload_length 0
		.amdhsa_user_sgpr_kernarg_preload_offset 0
		.amdhsa_user_sgpr_private_segment_size 0
		.amdhsa_uses_dynamic_stack 0
		.amdhsa_enable_private_segment 0
		.amdhsa_system_sgpr_workgroup_id_x 1
		.amdhsa_system_sgpr_workgroup_id_y 0
		.amdhsa_system_sgpr_workgroup_id_z 0
		.amdhsa_system_sgpr_workgroup_info 0
		.amdhsa_system_vgpr_workitem_id 0
		.amdhsa_next_free_vgpr 1
		.amdhsa_next_free_sgpr 0
		.amdhsa_accum_offset 4
		.amdhsa_reserve_vcc 0
		.amdhsa_float_round_mode_32 0
		.amdhsa_float_round_mode_16_64 0
		.amdhsa_float_denorm_mode_32 3
		.amdhsa_float_denorm_mode_16_64 3
		.amdhsa_dx10_clamp 1
		.amdhsa_ieee_mode 1
		.amdhsa_fp16_overflow 0
		.amdhsa_tg_split 0
		.amdhsa_exception_fp_ieee_invalid_op 0
		.amdhsa_exception_fp_denorm_src 0
		.amdhsa_exception_fp_ieee_div_zero 0
		.amdhsa_exception_fp_ieee_overflow 0
		.amdhsa_exception_fp_ieee_underflow 0
		.amdhsa_exception_fp_ieee_inexact 0
		.amdhsa_exception_int_div_zero 0
	.end_amdhsa_kernel
	.section	.text._ZN7rocprim17ROCPRIM_400000_NS6detail17trampoline_kernelINS0_14default_configENS1_35adjacent_difference_config_selectorILb0EhEEZNS1_24adjacent_difference_implIS3_Lb0ELb0EPKhPhN6thrust23THRUST_200600_302600_NS4plusIhEEEE10hipError_tPvRmT2_T3_mT4_P12ihipStream_tbEUlT_E_NS1_11comp_targetILNS1_3genE10ELNS1_11target_archE1201ELNS1_3gpuE5ELNS1_3repE0EEENS1_30default_config_static_selectorELNS0_4arch9wavefront6targetE1EEEvT1_,"axG",@progbits,_ZN7rocprim17ROCPRIM_400000_NS6detail17trampoline_kernelINS0_14default_configENS1_35adjacent_difference_config_selectorILb0EhEEZNS1_24adjacent_difference_implIS3_Lb0ELb0EPKhPhN6thrust23THRUST_200600_302600_NS4plusIhEEEE10hipError_tPvRmT2_T3_mT4_P12ihipStream_tbEUlT_E_NS1_11comp_targetILNS1_3genE10ELNS1_11target_archE1201ELNS1_3gpuE5ELNS1_3repE0EEENS1_30default_config_static_selectorELNS0_4arch9wavefront6targetE1EEEvT1_,comdat
.Lfunc_end492:
	.size	_ZN7rocprim17ROCPRIM_400000_NS6detail17trampoline_kernelINS0_14default_configENS1_35adjacent_difference_config_selectorILb0EhEEZNS1_24adjacent_difference_implIS3_Lb0ELb0EPKhPhN6thrust23THRUST_200600_302600_NS4plusIhEEEE10hipError_tPvRmT2_T3_mT4_P12ihipStream_tbEUlT_E_NS1_11comp_targetILNS1_3genE10ELNS1_11target_archE1201ELNS1_3gpuE5ELNS1_3repE0EEENS1_30default_config_static_selectorELNS0_4arch9wavefront6targetE1EEEvT1_, .Lfunc_end492-_ZN7rocprim17ROCPRIM_400000_NS6detail17trampoline_kernelINS0_14default_configENS1_35adjacent_difference_config_selectorILb0EhEEZNS1_24adjacent_difference_implIS3_Lb0ELb0EPKhPhN6thrust23THRUST_200600_302600_NS4plusIhEEEE10hipError_tPvRmT2_T3_mT4_P12ihipStream_tbEUlT_E_NS1_11comp_targetILNS1_3genE10ELNS1_11target_archE1201ELNS1_3gpuE5ELNS1_3repE0EEENS1_30default_config_static_selectorELNS0_4arch9wavefront6targetE1EEEvT1_
                                        ; -- End function
	.section	.AMDGPU.csdata,"",@progbits
; Kernel info:
; codeLenInByte = 0
; NumSgprs: 6
; NumVgprs: 0
; NumAgprs: 0
; TotalNumVgprs: 0
; ScratchSize: 0
; MemoryBound: 0
; FloatMode: 240
; IeeeMode: 1
; LDSByteSize: 0 bytes/workgroup (compile time only)
; SGPRBlocks: 0
; VGPRBlocks: 0
; NumSGPRsForWavesPerEU: 6
; NumVGPRsForWavesPerEU: 1
; AccumOffset: 4
; Occupancy: 8
; WaveLimiterHint : 0
; COMPUTE_PGM_RSRC2:SCRATCH_EN: 0
; COMPUTE_PGM_RSRC2:USER_SGPR: 2
; COMPUTE_PGM_RSRC2:TRAP_HANDLER: 0
; COMPUTE_PGM_RSRC2:TGID_X_EN: 1
; COMPUTE_PGM_RSRC2:TGID_Y_EN: 0
; COMPUTE_PGM_RSRC2:TGID_Z_EN: 0
; COMPUTE_PGM_RSRC2:TIDIG_COMP_CNT: 0
; COMPUTE_PGM_RSRC3_GFX90A:ACCUM_OFFSET: 0
; COMPUTE_PGM_RSRC3_GFX90A:TG_SPLIT: 0
	.section	.text._ZN7rocprim17ROCPRIM_400000_NS6detail17trampoline_kernelINS0_14default_configENS1_35adjacent_difference_config_selectorILb0EhEEZNS1_24adjacent_difference_implIS3_Lb0ELb0EPKhPhN6thrust23THRUST_200600_302600_NS4plusIhEEEE10hipError_tPvRmT2_T3_mT4_P12ihipStream_tbEUlT_E_NS1_11comp_targetILNS1_3genE5ELNS1_11target_archE942ELNS1_3gpuE9ELNS1_3repE0EEENS1_30default_config_static_selectorELNS0_4arch9wavefront6targetE1EEEvT1_,"axG",@progbits,_ZN7rocprim17ROCPRIM_400000_NS6detail17trampoline_kernelINS0_14default_configENS1_35adjacent_difference_config_selectorILb0EhEEZNS1_24adjacent_difference_implIS3_Lb0ELb0EPKhPhN6thrust23THRUST_200600_302600_NS4plusIhEEEE10hipError_tPvRmT2_T3_mT4_P12ihipStream_tbEUlT_E_NS1_11comp_targetILNS1_3genE5ELNS1_11target_archE942ELNS1_3gpuE9ELNS1_3repE0EEENS1_30default_config_static_selectorELNS0_4arch9wavefront6targetE1EEEvT1_,comdat
	.protected	_ZN7rocprim17ROCPRIM_400000_NS6detail17trampoline_kernelINS0_14default_configENS1_35adjacent_difference_config_selectorILb0EhEEZNS1_24adjacent_difference_implIS3_Lb0ELb0EPKhPhN6thrust23THRUST_200600_302600_NS4plusIhEEEE10hipError_tPvRmT2_T3_mT4_P12ihipStream_tbEUlT_E_NS1_11comp_targetILNS1_3genE5ELNS1_11target_archE942ELNS1_3gpuE9ELNS1_3repE0EEENS1_30default_config_static_selectorELNS0_4arch9wavefront6targetE1EEEvT1_ ; -- Begin function _ZN7rocprim17ROCPRIM_400000_NS6detail17trampoline_kernelINS0_14default_configENS1_35adjacent_difference_config_selectorILb0EhEEZNS1_24adjacent_difference_implIS3_Lb0ELb0EPKhPhN6thrust23THRUST_200600_302600_NS4plusIhEEEE10hipError_tPvRmT2_T3_mT4_P12ihipStream_tbEUlT_E_NS1_11comp_targetILNS1_3genE5ELNS1_11target_archE942ELNS1_3gpuE9ELNS1_3repE0EEENS1_30default_config_static_selectorELNS0_4arch9wavefront6targetE1EEEvT1_
	.globl	_ZN7rocprim17ROCPRIM_400000_NS6detail17trampoline_kernelINS0_14default_configENS1_35adjacent_difference_config_selectorILb0EhEEZNS1_24adjacent_difference_implIS3_Lb0ELb0EPKhPhN6thrust23THRUST_200600_302600_NS4plusIhEEEE10hipError_tPvRmT2_T3_mT4_P12ihipStream_tbEUlT_E_NS1_11comp_targetILNS1_3genE5ELNS1_11target_archE942ELNS1_3gpuE9ELNS1_3repE0EEENS1_30default_config_static_selectorELNS0_4arch9wavefront6targetE1EEEvT1_
	.p2align	8
	.type	_ZN7rocprim17ROCPRIM_400000_NS6detail17trampoline_kernelINS0_14default_configENS1_35adjacent_difference_config_selectorILb0EhEEZNS1_24adjacent_difference_implIS3_Lb0ELb0EPKhPhN6thrust23THRUST_200600_302600_NS4plusIhEEEE10hipError_tPvRmT2_T3_mT4_P12ihipStream_tbEUlT_E_NS1_11comp_targetILNS1_3genE5ELNS1_11target_archE942ELNS1_3gpuE9ELNS1_3repE0EEENS1_30default_config_static_selectorELNS0_4arch9wavefront6targetE1EEEvT1_,@function
_ZN7rocprim17ROCPRIM_400000_NS6detail17trampoline_kernelINS0_14default_configENS1_35adjacent_difference_config_selectorILb0EhEEZNS1_24adjacent_difference_implIS3_Lb0ELb0EPKhPhN6thrust23THRUST_200600_302600_NS4plusIhEEEE10hipError_tPvRmT2_T3_mT4_P12ihipStream_tbEUlT_E_NS1_11comp_targetILNS1_3genE5ELNS1_11target_archE942ELNS1_3gpuE9ELNS1_3repE0EEENS1_30default_config_static_selectorELNS0_4arch9wavefront6targetE1EEEvT1_: ; @_ZN7rocprim17ROCPRIM_400000_NS6detail17trampoline_kernelINS0_14default_configENS1_35adjacent_difference_config_selectorILb0EhEEZNS1_24adjacent_difference_implIS3_Lb0ELb0EPKhPhN6thrust23THRUST_200600_302600_NS4plusIhEEEE10hipError_tPvRmT2_T3_mT4_P12ihipStream_tbEUlT_E_NS1_11comp_targetILNS1_3genE5ELNS1_11target_archE942ELNS1_3gpuE9ELNS1_3repE0EEENS1_30default_config_static_selectorELNS0_4arch9wavefront6targetE1EEEvT1_
; %bb.0:
	s_load_dwordx8 s[40:47], s[0:1], 0x0
	s_mov_b32 s4, 0x5ca1aca0
	v_bfrev_b32_e32 v1, 6
	s_movk_i32 s3, 0x980
	s_load_dwordx2 s[0:1], s[0:1], 0x30
	s_waitcnt lgkmcnt(0)
	s_add_u32 s6, s40, s42
	s_addc_u32 s7, s41, s43
	s_add_u32 s4, 0x14a, s4
	s_addc_u32 s5, 0, 0
	v_add_co_u32_e32 v1, vcc, s4, v1
	s_cmp_lg_u64 vcc, 0
	v_readfirstlane_b32 s8, v1
	s_addc_u32 s4, s5, 0x1af286
	s_mul_hi_u32 s9, s8, 0xfffff680
	s_mul_i32 s5, s4, 0xfffff680
	s_sub_i32 s9, s9, s8
	s_add_i32 s9, s9, s5
	s_mul_i32 s11, s8, 0xfffff680
	s_mul_hi_u32 s5, s8, s9
	s_mul_i32 s10, s8, s9
	s_mul_hi_u32 s8, s8, s11
	s_add_u32 s8, s8, s10
	s_addc_u32 s5, 0, s5
	s_mul_hi_u32 s12, s4, s11
	s_mul_i32 s11, s4, s11
	s_add_u32 s8, s8, s11
	s_mul_hi_u32 s10, s4, s9
	s_addc_u32 s5, s5, s12
	s_addc_u32 s8, s10, 0
	s_mul_i32 s9, s4, s9
	s_add_u32 s5, s5, s9
	s_addc_u32 s8, 0, s8
	v_add_co_u32_e32 v1, vcc, s5, v1
	s_cmp_lg_u64 vcc, 0
	s_addc_u32 s4, s4, s8
	v_readfirstlane_b32 s9, v1
	s_mul_i32 s8, s46, s4
	s_mul_hi_u32 s10, s46, s9
	s_mul_hi_u32 s5, s46, s4
	s_add_u32 s8, s10, s8
	s_addc_u32 s5, 0, s5
	s_mul_hi_u32 s11, s47, s9
	s_mul_i32 s9, s47, s9
	s_add_u32 s8, s8, s9
	s_mul_hi_u32 s10, s47, s4
	s_addc_u32 s5, s5, s11
	s_addc_u32 s8, s10, 0
	s_mul_i32 s4, s47, s4
	s_add_u32 s4, s5, s4
	s_addc_u32 s5, 0, s8
	s_add_u32 s8, s4, 1
	s_addc_u32 s9, s5, 0
	s_add_u32 s10, s4, 2
	s_mul_i32 s12, s5, 0x980
	s_mul_hi_u32 s13, s4, 0x980
	s_addc_u32 s11, s5, 0
	s_add_i32 s13, s13, s12
	s_mul_i32 s12, s4, 0x980
	v_mov_b32_e32 v1, s12
	v_sub_co_u32_e32 v1, vcc, s46, v1
	s_cmp_lg_u64 vcc, 0
	s_subb_u32 s12, s47, s13
	v_subrev_co_u32_e32 v2, vcc, s3, v1
	s_cmp_lg_u64 vcc, 0
	s_subb_u32 s3, s12, 0
	v_readfirstlane_b32 s13, v2
	s_cmpk_gt_u32 s13, 0x97f
	s_cselect_b32 s13, -1, 0
	s_cmp_eq_u32 s3, 0
	s_cselect_b32 s3, s13, -1
	s_cmp_lg_u32 s3, 0
	s_cselect_b32 s3, s10, s8
	s_cselect_b32 s8, s11, s9
	v_readfirstlane_b32 s9, v1
	s_cmpk_gt_u32 s9, 0x97f
	s_cselect_b32 s9, -1, 0
	s_cmp_eq_u32 s12, 0
	s_cselect_b32 s9, s9, -1
	s_cmp_lg_u32 s9, 0
	s_cselect_b32 s8, s8, s5
	s_cselect_b32 s3, s3, s4
	s_mul_i32 s4, s8, 0x980
	s_mul_hi_u32 s5, s3, 0x980
	s_add_i32 s5, s5, s4
	s_mul_i32 s4, s3, 0x980
	s_sub_u32 s4, s46, s4
	s_subb_u32 s5, s47, s5
	s_cmp_lg_u64 s[4:5], 0
	s_cselect_b64 s[4:5], -1, 0
	v_cndmask_b32_e64 v1, 0, 1, s[4:5]
	s_mul_i32 s33, s2, 0x980
	v_readfirstlane_b32 s4, v1
	s_add_u32 s4, s3, s4
	s_addc_u32 s5, s8, 0
	s_add_u32 s2, s0, s2
	s_addc_u32 s3, s1, 0
	s_add_u32 s8, s4, -1
	s_addc_u32 s9, s5, -1
	v_mov_b64_e32 v[2:3], s[8:9]
	v_cmp_ge_u64_e64 s[0:1], s[2:3], v[2:3]
	s_mov_b64 s[10:11], -1
	s_and_b64 vcc, exec, s[0:1]
	s_mul_i32 s47, s8, 0xfffff680
	s_cbranch_vccz .LBB493_40
; %bb.1:
	s_add_i32 s14, s47, s46
	s_add_u32 s10, s6, s33
	s_addc_u32 s11, s7, 0
	v_cmp_gt_u32_e32 vcc, s14, v0
                                        ; implicit-def: $vgpr1
	s_and_saveexec_b64 s[12:13], vcc
	s_cbranch_execz .LBB493_3
; %bb.2:
	global_load_ubyte v1, v0, s[10:11]
.LBB493_3:
	s_or_b64 exec, exec, s[12:13]
	v_or_b32_e32 v2, 0x80, v0
	v_cmp_gt_u32_e32 vcc, s14, v2
                                        ; implicit-def: $vgpr2
	s_and_saveexec_b64 s[12:13], vcc
	s_cbranch_execz .LBB493_5
; %bb.4:
	global_load_ubyte v2, v0, s[10:11] offset:128
.LBB493_5:
	s_or_b64 exec, exec, s[12:13]
	v_or_b32_e32 v3, 0x100, v0
	v_cmp_gt_u32_e32 vcc, s14, v3
                                        ; implicit-def: $vgpr3
	s_and_saveexec_b64 s[12:13], vcc
	s_cbranch_execz .LBB493_7
; %bb.6:
	global_load_ubyte v3, v0, s[10:11] offset:256
.LBB493_7:
	s_or_b64 exec, exec, s[12:13]
	v_or_b32_e32 v4, 0x180, v0
	v_cmp_gt_u32_e32 vcc, s14, v4
                                        ; implicit-def: $vgpr4
	s_and_saveexec_b64 s[12:13], vcc
	s_cbranch_execz .LBB493_9
; %bb.8:
	global_load_ubyte v4, v0, s[10:11] offset:384
.LBB493_9:
	s_or_b64 exec, exec, s[12:13]
	v_or_b32_e32 v5, 0x200, v0
	v_cmp_gt_u32_e32 vcc, s14, v5
                                        ; implicit-def: $vgpr5
	s_and_saveexec_b64 s[12:13], vcc
	s_cbranch_execz .LBB493_11
; %bb.10:
	global_load_ubyte v5, v0, s[10:11] offset:512
.LBB493_11:
	s_or_b64 exec, exec, s[12:13]
	v_or_b32_e32 v6, 0x280, v0
	v_cmp_gt_u32_e32 vcc, s14, v6
                                        ; implicit-def: $vgpr6
	s_and_saveexec_b64 s[12:13], vcc
	s_cbranch_execz .LBB493_13
; %bb.12:
	global_load_ubyte v6, v0, s[10:11] offset:640
.LBB493_13:
	s_or_b64 exec, exec, s[12:13]
	v_or_b32_e32 v7, 0x300, v0
	v_cmp_gt_u32_e32 vcc, s14, v7
                                        ; implicit-def: $vgpr7
	s_and_saveexec_b64 s[12:13], vcc
	s_cbranch_execz .LBB493_15
; %bb.14:
	global_load_ubyte v7, v0, s[10:11] offset:768
.LBB493_15:
	s_or_b64 exec, exec, s[12:13]
	v_or_b32_e32 v8, 0x380, v0
	v_cmp_gt_u32_e32 vcc, s14, v8
                                        ; implicit-def: $vgpr8
	s_and_saveexec_b64 s[12:13], vcc
	s_cbranch_execz .LBB493_17
; %bb.16:
	global_load_ubyte v8, v0, s[10:11] offset:896
.LBB493_17:
	s_or_b64 exec, exec, s[12:13]
	v_or_b32_e32 v9, 0x400, v0
	v_cmp_gt_u32_e32 vcc, s14, v9
                                        ; implicit-def: $vgpr9
	s_and_saveexec_b64 s[12:13], vcc
	s_cbranch_execz .LBB493_19
; %bb.18:
	global_load_ubyte v9, v0, s[10:11] offset:1024
.LBB493_19:
	s_or_b64 exec, exec, s[12:13]
	v_or_b32_e32 v10, 0x480, v0
	v_cmp_gt_u32_e32 vcc, s14, v10
                                        ; implicit-def: $vgpr10
	s_and_saveexec_b64 s[12:13], vcc
	s_cbranch_execz .LBB493_21
; %bb.20:
	global_load_ubyte v10, v0, s[10:11] offset:1152
.LBB493_21:
	s_or_b64 exec, exec, s[12:13]
	v_or_b32_e32 v11, 0x500, v0
	v_cmp_gt_u32_e32 vcc, s14, v11
                                        ; implicit-def: $vgpr11
	s_and_saveexec_b64 s[12:13], vcc
	s_cbranch_execz .LBB493_23
; %bb.22:
	global_load_ubyte v11, v0, s[10:11] offset:1280
.LBB493_23:
	s_or_b64 exec, exec, s[12:13]
	v_or_b32_e32 v12, 0x580, v0
	v_cmp_gt_u32_e32 vcc, s14, v12
                                        ; implicit-def: $vgpr12
	s_and_saveexec_b64 s[12:13], vcc
	s_cbranch_execz .LBB493_25
; %bb.24:
	global_load_ubyte v12, v0, s[10:11] offset:1408
.LBB493_25:
	s_or_b64 exec, exec, s[12:13]
	v_or_b32_e32 v13, 0x600, v0
	v_cmp_gt_u32_e32 vcc, s14, v13
                                        ; implicit-def: $vgpr13
	s_and_saveexec_b64 s[12:13], vcc
	s_cbranch_execz .LBB493_27
; %bb.26:
	global_load_ubyte v13, v0, s[10:11] offset:1536
.LBB493_27:
	s_or_b64 exec, exec, s[12:13]
	v_or_b32_e32 v14, 0x680, v0
	v_cmp_gt_u32_e32 vcc, s14, v14
                                        ; implicit-def: $vgpr14
	s_and_saveexec_b64 s[12:13], vcc
	s_cbranch_execz .LBB493_29
; %bb.28:
	global_load_ubyte v14, v0, s[10:11] offset:1664
.LBB493_29:
	s_or_b64 exec, exec, s[12:13]
	v_or_b32_e32 v15, 0x700, v0
	v_cmp_gt_u32_e32 vcc, s14, v15
                                        ; implicit-def: $vgpr15
	s_and_saveexec_b64 s[12:13], vcc
	s_cbranch_execz .LBB493_31
; %bb.30:
	global_load_ubyte v15, v0, s[10:11] offset:1792
.LBB493_31:
	s_or_b64 exec, exec, s[12:13]
	v_or_b32_e32 v16, 0x780, v0
	v_cmp_gt_u32_e32 vcc, s14, v16
                                        ; implicit-def: $vgpr16
	s_and_saveexec_b64 s[12:13], vcc
	s_cbranch_execz .LBB493_33
; %bb.32:
	global_load_ubyte v16, v0, s[10:11] offset:1920
.LBB493_33:
	s_or_b64 exec, exec, s[12:13]
	v_or_b32_e32 v17, 0x800, v0
	v_cmp_gt_u32_e32 vcc, s14, v17
                                        ; implicit-def: $vgpr17
	s_and_saveexec_b64 s[12:13], vcc
	s_cbranch_execz .LBB493_35
; %bb.34:
	global_load_ubyte v17, v0, s[10:11] offset:2048
.LBB493_35:
	s_or_b64 exec, exec, s[12:13]
	v_or_b32_e32 v18, 0x880, v0
	v_cmp_gt_u32_e32 vcc, s14, v18
                                        ; implicit-def: $vgpr18
	s_and_saveexec_b64 s[12:13], vcc
	s_cbranch_execz .LBB493_37
; %bb.36:
	global_load_ubyte v18, v0, s[10:11] offset:2176
.LBB493_37:
	s_or_b64 exec, exec, s[12:13]
	v_or_b32_e32 v19, 0x900, v0
	v_cmp_gt_u32_e32 vcc, s14, v19
                                        ; implicit-def: $vgpr19
	s_and_saveexec_b64 s[12:13], vcc
	s_cbranch_execz .LBB493_39
; %bb.38:
	global_load_ubyte v19, v0, s[10:11] offset:2304
.LBB493_39:
	s_or_b64 exec, exec, s[12:13]
	s_mov_b64 s[10:11], 0
	s_waitcnt vmcnt(0)
	ds_write_b8 v0, v1
	ds_write_b8 v0, v2 offset:128
	ds_write_b8 v0, v3 offset:256
	;; [unrolled: 1-line block ×18, first 2 shown]
	s_waitcnt lgkmcnt(0)
	s_barrier
.LBB493_40:
	s_and_b64 vcc, exec, s[10:11]
	s_cbranch_vccz .LBB493_42
; %bb.41:
	s_add_u32 s10, s6, s33
	s_addc_u32 s11, s7, 0
	global_load_ubyte v1, v0, s[10:11]
	global_load_ubyte v2, v0, s[10:11] offset:128
	global_load_ubyte v3, v0, s[10:11] offset:256
	;; [unrolled: 1-line block ×18, first 2 shown]
	s_waitcnt vmcnt(18)
	ds_write_b8 v0, v1
	s_waitcnt vmcnt(17)
	ds_write_b8 v0, v2 offset:128
	s_waitcnt vmcnt(16)
	ds_write_b8 v0, v3 offset:256
	;; [unrolled: 2-line block ×18, first 2 shown]
	s_waitcnt lgkmcnt(0)
	s_barrier
.LBB493_42:
	v_mul_u32_u24_e32 v6, 19, v0
	ds_read_b128 v[2:5], v6
	ds_read_u8 v1, v6 offset:16
	ds_read_u8 v7, v6 offset:17
	;; [unrolled: 1-line block ×3, first 2 shown]
	s_cmp_eq_u64 s[2:3], 0
	s_waitcnt lgkmcnt(3)
	v_lshrrev_b32_e32 v9, 8, v2
	v_lshrrev_b32_e32 v10, 16, v2
	;; [unrolled: 1-line block ×12, first 2 shown]
	s_waitcnt lgkmcnt(0)
	s_barrier
	s_cbranch_scc1 .LBB493_47
; %bb.43:
	v_mov_b32_e32 v6, s33
	global_load_ubyte v38, v6, s[6:7] offset:-1
	s_cmp_eq_u64 s[2:3], s[8:9]
	s_cbranch_scc1 .LBB493_48
; %bb.44:
	v_cmp_ne_u32_e32 vcc, 0, v0
	s_waitcnt vmcnt(0)
	v_mov_b32_e32 v6, v38
	ds_write_b8 v0, v8
	s_waitcnt lgkmcnt(0)
	s_barrier
	s_and_saveexec_b64 s[6:7], vcc
	s_cbranch_execz .LBB493_46
; %bb.45:
	v_add_u32_e32 v6, -1, v0
	ds_read_u8 v6, v6
.LBB493_46:
	s_or_b64 exec, exec, s[6:7]
	s_waitcnt lgkmcnt(0)
	v_add_u16_e32 v6, v6, v2
	s_mov_b64 s[6:7], 0
	s_branch .LBB493_49
.LBB493_47:
                                        ; implicit-def: $vgpr6
                                        ; implicit-def: $vgpr39
                                        ; implicit-def: $vgpr37
                                        ; implicit-def: $vgpr36
                                        ; implicit-def: $vgpr35
                                        ; implicit-def: $vgpr34
                                        ; implicit-def: $vgpr33
                                        ; implicit-def: $vgpr32
                                        ; implicit-def: $vgpr31
                                        ; implicit-def: $vgpr30
                                        ; implicit-def: $vgpr28
                                        ; implicit-def: $vgpr27
                                        ; implicit-def: $vgpr26
                                        ; implicit-def: $vgpr25
                                        ; implicit-def: $vgpr24
                                        ; implicit-def: $vgpr23
                                        ; implicit-def: $vgpr22
                                        ; implicit-def: $vgpr21
                                        ; implicit-def: $vgpr29
	s_branch .LBB493_54
.LBB493_48:
	s_mov_b64 s[6:7], -1
                                        ; implicit-def: $vgpr6
.LBB493_49:
	s_and_b64 vcc, exec, s[6:7]
	v_mov_b32_e32 v39, v2
	v_mov_b32_e32 v37, v9
	;; [unrolled: 1-line block ×18, first 2 shown]
	s_cbranch_vccz .LBB493_53
; %bb.50:
	v_mul_u32_u24_e32 v6, 19, v0
	v_cmp_ne_u32_e32 vcc, 0, v0
	ds_write_b8 v0, v8
	s_waitcnt lgkmcnt(0)
	s_barrier
	s_and_saveexec_b64 s[6:7], vcc
	s_cbranch_execz .LBB493_52
; %bb.51:
	v_add_u32_e32 v21, -1, v0
	s_waitcnt vmcnt(0)
	ds_read_u8 v38, v21
.LBB493_52:
	s_or_b64 exec, exec, s[6:7]
	s_mulk_i32 s2, 0xf680
	s_add_i32 s2, s2, s46
	v_add_u32_e32 v21, 18, v6
	v_cmp_gt_u32_e32 vcc, s2, v21
	v_add_u32_e32 v21, 17, v6
	v_add_u32_e32 v22, 16, v6
	v_cndmask_b32_e32 v29, 0, v7, vcc
	v_cmp_gt_u32_e32 vcc, s2, v21
	v_add_u32_e32 v23, 15, v6
	v_add_u32_e32 v24, 14, v6
	v_cndmask_b32_e32 v21, 0, v1, vcc
	;; [unrolled: 4-line block ×8, first 2 shown]
	v_cmp_gt_u32_e32 vcc, s2, v28
	v_add_u32_e32 v39, 1, v6
	s_nop 0
	v_cndmask_b32_e32 v28, 0, v15, vcc
	v_cmp_gt_u32_e32 vcc, s2, v30
	s_nop 1
	v_cndmask_b32_e32 v30, 0, v4, vcc
	v_cmp_gt_u32_e32 vcc, s2, v31
	;; [unrolled: 3-line block ×10, first 2 shown]
	s_waitcnt vmcnt(0) lgkmcnt(0)
	s_nop 0
	v_cndmask_b32_e32 v6, 0, v38, vcc
	v_add_u16_e32 v6, v6, v2
.LBB493_53:
	s_cbranch_execnz .LBB493_64
.LBB493_54:
	s_cmp_eq_u64 s[4:5], 1
	v_cmp_ne_u32_e32 vcc, 0, v0
	s_cbranch_scc1 .LBB493_58
; %bb.55:
	v_mov_b32_e32 v6, v2
	ds_write_b8 v0, v8
	s_waitcnt lgkmcnt(0)
	s_barrier
	s_and_saveexec_b64 s[2:3], vcc
	s_cbranch_execz .LBB493_57
; %bb.56:
	v_add_u32_e32 v6, -1, v0
	ds_read_u8 v6, v6
	s_waitcnt lgkmcnt(0)
	v_add_u16_e32 v6, v6, v2
.LBB493_57:
	s_or_b64 exec, exec, s[2:3]
	s_mov_b64 s[2:3], 0
	s_branch .LBB493_59
.LBB493_58:
	s_mov_b64 s[2:3], -1
                                        ; implicit-def: $vgpr6
.LBB493_59:
	s_andn2_b64 vcc, exec, s[2:3]
	v_mov_b32_e32 v37, v9
	v_mov_b32_e32 v36, v10
	;; [unrolled: 1-line block ×17, first 2 shown]
	s_cbranch_vccnz .LBB493_63
; %bb.60:
	v_mad_u32_u24 v21, v0, 19, 18
	v_cmp_gt_u32_e32 vcc, s46, v21
	v_mad_u32_u24 v21, v0, 19, 17
	v_cmp_gt_u32_e64 s[2:3], s46, v21
	v_mad_u32_u24 v21, v0, 19, 16
	v_cmp_gt_u32_e64 s[4:5], s46, v21
	;; [unrolled: 2-line block ×14, first 2 shown]
	v_mad_u32_u24 v21, v0, 19, 3
	v_mul_u32_u24_e32 v6, 19, v0
	v_cmp_gt_u32_e64 s[30:31], s46, v21
	v_mad_u32_u24 v21, v0, 19, 2
	v_cmp_gt_u32_e64 s[34:35], s46, v21
	v_mad_u32_u24 v21, v0, 19, 1
	v_cmp_ne_u32_e64 s[38:39], 0, v0
	v_cmp_gt_u32_e64 s[40:41], s46, v6
	v_cmp_gt_u32_e64 s[36:37], s46, v21
	s_and_b64 s[40:41], s[38:39], s[40:41]
	v_mov_b32_e32 v6, v2
	ds_write_b8 v0, v8
	s_waitcnt lgkmcnt(0)
	s_barrier
	s_and_saveexec_b64 s[38:39], s[40:41]
	s_cbranch_execz .LBB493_62
; %bb.61:
	v_add_u32_e32 v6, -1, v0
	ds_read_u8 v6, v6
	s_waitcnt lgkmcnt(0)
	v_add_u16_e32 v6, v6, v2
.LBB493_62:
	s_or_b64 exec, exec, s[38:39]
	v_cndmask_b32_e32 v29, 0, v7, vcc
	v_cndmask_b32_e64 v21, 0, v1, s[2:3]
	v_cndmask_b32_e64 v22, 0, v20, s[4:5]
	;; [unrolled: 1-line block ×17, first 2 shown]
.LBB493_63:
	v_mov_b32_e32 v39, v2
.LBB493_64:
	s_add_u32 s4, s44, s42
	v_add_u16_e32 v8, v29, v8
	v_add_u16_e32 v2, v39, v9
	;; [unrolled: 1-line block ×13, first 2 shown]
	s_addc_u32 s5, s45, s43
	v_add_u16_e32 v12, v31, v4
	v_add_u16_e32 v14, v26, v5
	v_add_u16_e32 v15, v24, v19
	v_add_u16_e32 v4, v22, v1
	v_add_u16_e32 v5, v21, v7
	s_and_b64 vcc, exec, s[0:1]
	v_mul_u32_u24_e32 v7, 19, v0
	v_lshlrev_b16_e32 v22, 8, v17
	v_lshlrev_b16_e32 v23, 8, v18
	;; [unrolled: 1-line block ×8, first 2 shown]
	s_barrier
	s_cbranch_vccz .LBB493_102
; %bb.65:
	v_or_b32_sdwa v1, v14, v22 dst_sel:DWORD dst_unused:UNUSED_PAD src0_sel:BYTE_0 src1_sel:DWORD
	v_or_b32_sdwa v2, v15, v23 dst_sel:WORD_1 dst_unused:UNUSED_PAD src0_sel:BYTE_0 src1_sel:DWORD
	s_add_i32 s47, s47, s46
	v_or_b32_sdwa v27, v1, v2 dst_sel:DWORD dst_unused:UNUSED_PAD src0_sel:WORD_0 src1_sel:DWORD
	v_or_b32_sdwa v1, v12, v20 dst_sel:DWORD dst_unused:UNUSED_PAD src0_sel:BYTE_0 src1_sel:DWORD
	v_or_b32_sdwa v2, v13, v21 dst_sel:WORD_1 dst_unused:UNUSED_PAD src0_sel:BYTE_0 src1_sel:DWORD
	s_add_u32 s0, s4, s33
	v_or_b32_sdwa v26, v1, v2 dst_sel:DWORD dst_unused:UNUSED_PAD src0_sel:WORD_0 src1_sel:DWORD
	v_or_b32_sdwa v1, v10, v18 dst_sel:DWORD dst_unused:UNUSED_PAD src0_sel:BYTE_0 src1_sel:DWORD
	v_or_b32_sdwa v2, v11, v19 dst_sel:WORD_1 dst_unused:UNUSED_PAD src0_sel:BYTE_0 src1_sel:DWORD
	s_addc_u32 s1, s5, 0
	v_or_b32_sdwa v25, v1, v2 dst_sel:DWORD dst_unused:UNUSED_PAD src0_sel:WORD_0 src1_sel:DWORD
	v_or_b32_sdwa v1, v6, v16 dst_sel:DWORD dst_unused:UNUSED_PAD src0_sel:BYTE_0 src1_sel:DWORD
	v_or_b32_sdwa v2, v9, v17 dst_sel:WORD_1 dst_unused:UNUSED_PAD src0_sel:BYTE_0 src1_sel:DWORD
	v_cmp_gt_u32_e32 vcc, s47, v0
	v_or_b32_sdwa v24, v1, v2 dst_sel:DWORD dst_unused:UNUSED_PAD src0_sel:WORD_0 src1_sel:DWORD
	ds_write_b128 v7, v[24:27]
	ds_write_b8 v7, v4 offset:16
	ds_write_b8 v7, v5 offset:17
	;; [unrolled: 1-line block ×3, first 2 shown]
	s_waitcnt lgkmcnt(0)
	s_barrier
	ds_read_u8 v41, v0 offset:128
	ds_read_u8 v40, v0 offset:256
	;; [unrolled: 1-line block ×3, first 2 shown]
	s_waitcnt vmcnt(0)
	ds_read_u8 v38, v0 offset:512
	ds_read_u8 v37, v0 offset:640
	;; [unrolled: 1-line block ×15, first 2 shown]
	v_mov_b32_e32 v1, 0
	v_lshl_add_u64 v[2:3], s[0:1], 0, v[0:1]
	s_and_saveexec_b64 s[0:1], vcc
	s_cbranch_execz .LBB493_67
; %bb.66:
	ds_read_u8 v1, v0
	s_waitcnt lgkmcnt(0)
	global_store_byte v[2:3], v1, off
.LBB493_67:
	s_or_b64 exec, exec, s[0:1]
	v_or_b32_e32 v1, 0x80, v0
	v_cmp_gt_u32_e32 vcc, s47, v1
	s_and_saveexec_b64 s[0:1], vcc
	s_cbranch_execz .LBB493_69
; %bb.68:
	s_waitcnt lgkmcnt(14)
	global_store_byte v[2:3], v41, off offset:128
.LBB493_69:
	s_or_b64 exec, exec, s[0:1]
	v_or_b32_e32 v1, 0x100, v0
	v_cmp_gt_u32_e32 vcc, s47, v1
	s_and_saveexec_b64 s[0:1], vcc
	s_cbranch_execz .LBB493_71
; %bb.70:
	s_waitcnt lgkmcnt(14)
	global_store_byte v[2:3], v40, off offset:256
.LBB493_71:
	;; [unrolled: 9-line block ×17, first 2 shown]
	s_or_b64 exec, exec, s[0:1]
	v_or_b32_e32 v1, 0x900, v0
	v_cmp_gt_u32_e64 s[0:1], s47, v1
	s_branch .LBB493_104
.LBB493_102:
	s_mov_b64 s[0:1], 0
                                        ; implicit-def: $vgpr24
                                        ; implicit-def: $vgpr2_vgpr3
	s_cbranch_execz .LBB493_104
; %bb.103:
	v_or_b32_sdwa v1, v14, v22 dst_sel:DWORD dst_unused:UNUSED_PAD src0_sel:BYTE_0 src1_sel:DWORD
	v_or_b32_sdwa v2, v15, v23 dst_sel:WORD_1 dst_unused:UNUSED_PAD src0_sel:BYTE_0 src1_sel:DWORD
	s_add_u32 s2, s4, s33
	v_or_b32_sdwa v15, v1, v2 dst_sel:DWORD dst_unused:UNUSED_PAD src0_sel:WORD_0 src1_sel:DWORD
	v_or_b32_sdwa v1, v12, v20 dst_sel:DWORD dst_unused:UNUSED_PAD src0_sel:BYTE_0 src1_sel:DWORD
	v_or_b32_sdwa v2, v13, v21 dst_sel:WORD_1 dst_unused:UNUSED_PAD src0_sel:BYTE_0 src1_sel:DWORD
	s_addc_u32 s3, s5, 0
	v_or_b32_sdwa v14, v1, v2 dst_sel:DWORD dst_unused:UNUSED_PAD src0_sel:WORD_0 src1_sel:DWORD
	v_or_b32_sdwa v1, v10, v18 dst_sel:DWORD dst_unused:UNUSED_PAD src0_sel:BYTE_0 src1_sel:DWORD
	v_or_b32_sdwa v2, v11, v19 dst_sel:WORD_1 dst_unused:UNUSED_PAD src0_sel:BYTE_0 src1_sel:DWORD
	s_or_b64 s[0:1], s[0:1], exec
	v_or_b32_sdwa v13, v1, v2 dst_sel:DWORD dst_unused:UNUSED_PAD src0_sel:WORD_0 src1_sel:DWORD
	v_or_b32_sdwa v1, v6, v16 dst_sel:DWORD dst_unused:UNUSED_PAD src0_sel:BYTE_0 src1_sel:DWORD
	v_or_b32_sdwa v2, v9, v17 dst_sel:WORD_1 dst_unused:UNUSED_PAD src0_sel:BYTE_0 src1_sel:DWORD
	s_nop 0
	v_or_b32_sdwa v12, v1, v2 dst_sel:DWORD dst_unused:UNUSED_PAD src0_sel:WORD_0 src1_sel:DWORD
	ds_write_b128 v7, v[12:15]
	ds_write_b8 v7, v4 offset:16
	ds_write_b8 v7, v5 offset:17
	;; [unrolled: 1-line block ×3, first 2 shown]
	s_waitcnt lgkmcnt(0)
	s_barrier
	ds_read_u8 v4, v0
	ds_read_u8 v5, v0 offset:128
	ds_read_u8 v6, v0 offset:256
	;; [unrolled: 1-line block ×18, first 2 shown]
	v_mov_b32_e32 v1, 0
	v_lshl_add_u64 v[2:3], s[2:3], 0, v[0:1]
	s_waitcnt lgkmcnt(14)
	global_store_byte v0, v4, s[2:3]
	global_store_byte v0, v5, s[2:3] offset:128
	global_store_byte v0, v6, s[2:3] offset:256
	;; [unrolled: 1-line block ×4, first 2 shown]
	s_waitcnt lgkmcnt(13)
	global_store_byte v0, v9, s[2:3] offset:640
	s_waitcnt lgkmcnt(12)
	global_store_byte v0, v10, s[2:3] offset:768
	;; [unrolled: 2-line block ×13, first 2 shown]
.LBB493_104:
	s_and_saveexec_b64 s[2:3], s[0:1]
	s_cbranch_execnz .LBB493_106
; %bb.105:
	s_endpgm
.LBB493_106:
	s_waitcnt lgkmcnt(0)
	global_store_byte v[2:3], v24, off offset:2304
	s_endpgm
	.section	.rodata,"a",@progbits
	.p2align	6, 0x0
	.amdhsa_kernel _ZN7rocprim17ROCPRIM_400000_NS6detail17trampoline_kernelINS0_14default_configENS1_35adjacent_difference_config_selectorILb0EhEEZNS1_24adjacent_difference_implIS3_Lb0ELb0EPKhPhN6thrust23THRUST_200600_302600_NS4plusIhEEEE10hipError_tPvRmT2_T3_mT4_P12ihipStream_tbEUlT_E_NS1_11comp_targetILNS1_3genE5ELNS1_11target_archE942ELNS1_3gpuE9ELNS1_3repE0EEENS1_30default_config_static_selectorELNS0_4arch9wavefront6targetE1EEEvT1_
		.amdhsa_group_segment_fixed_size 2432
		.amdhsa_private_segment_fixed_size 0
		.amdhsa_kernarg_size 56
		.amdhsa_user_sgpr_count 2
		.amdhsa_user_sgpr_dispatch_ptr 0
		.amdhsa_user_sgpr_queue_ptr 0
		.amdhsa_user_sgpr_kernarg_segment_ptr 1
		.amdhsa_user_sgpr_dispatch_id 0
		.amdhsa_user_sgpr_kernarg_preload_length 0
		.amdhsa_user_sgpr_kernarg_preload_offset 0
		.amdhsa_user_sgpr_private_segment_size 0
		.amdhsa_uses_dynamic_stack 0
		.amdhsa_enable_private_segment 0
		.amdhsa_system_sgpr_workgroup_id_x 1
		.amdhsa_system_sgpr_workgroup_id_y 0
		.amdhsa_system_sgpr_workgroup_id_z 0
		.amdhsa_system_sgpr_workgroup_info 0
		.amdhsa_system_vgpr_workitem_id 0
		.amdhsa_next_free_vgpr 42
		.amdhsa_next_free_sgpr 48
		.amdhsa_accum_offset 44
		.amdhsa_reserve_vcc 1
		.amdhsa_float_round_mode_32 0
		.amdhsa_float_round_mode_16_64 0
		.amdhsa_float_denorm_mode_32 3
		.amdhsa_float_denorm_mode_16_64 3
		.amdhsa_dx10_clamp 1
		.amdhsa_ieee_mode 1
		.amdhsa_fp16_overflow 0
		.amdhsa_tg_split 0
		.amdhsa_exception_fp_ieee_invalid_op 0
		.amdhsa_exception_fp_denorm_src 0
		.amdhsa_exception_fp_ieee_div_zero 0
		.amdhsa_exception_fp_ieee_overflow 0
		.amdhsa_exception_fp_ieee_underflow 0
		.amdhsa_exception_fp_ieee_inexact 0
		.amdhsa_exception_int_div_zero 0
	.end_amdhsa_kernel
	.section	.text._ZN7rocprim17ROCPRIM_400000_NS6detail17trampoline_kernelINS0_14default_configENS1_35adjacent_difference_config_selectorILb0EhEEZNS1_24adjacent_difference_implIS3_Lb0ELb0EPKhPhN6thrust23THRUST_200600_302600_NS4plusIhEEEE10hipError_tPvRmT2_T3_mT4_P12ihipStream_tbEUlT_E_NS1_11comp_targetILNS1_3genE5ELNS1_11target_archE942ELNS1_3gpuE9ELNS1_3repE0EEENS1_30default_config_static_selectorELNS0_4arch9wavefront6targetE1EEEvT1_,"axG",@progbits,_ZN7rocprim17ROCPRIM_400000_NS6detail17trampoline_kernelINS0_14default_configENS1_35adjacent_difference_config_selectorILb0EhEEZNS1_24adjacent_difference_implIS3_Lb0ELb0EPKhPhN6thrust23THRUST_200600_302600_NS4plusIhEEEE10hipError_tPvRmT2_T3_mT4_P12ihipStream_tbEUlT_E_NS1_11comp_targetILNS1_3genE5ELNS1_11target_archE942ELNS1_3gpuE9ELNS1_3repE0EEENS1_30default_config_static_selectorELNS0_4arch9wavefront6targetE1EEEvT1_,comdat
.Lfunc_end493:
	.size	_ZN7rocprim17ROCPRIM_400000_NS6detail17trampoline_kernelINS0_14default_configENS1_35adjacent_difference_config_selectorILb0EhEEZNS1_24adjacent_difference_implIS3_Lb0ELb0EPKhPhN6thrust23THRUST_200600_302600_NS4plusIhEEEE10hipError_tPvRmT2_T3_mT4_P12ihipStream_tbEUlT_E_NS1_11comp_targetILNS1_3genE5ELNS1_11target_archE942ELNS1_3gpuE9ELNS1_3repE0EEENS1_30default_config_static_selectorELNS0_4arch9wavefront6targetE1EEEvT1_, .Lfunc_end493-_ZN7rocprim17ROCPRIM_400000_NS6detail17trampoline_kernelINS0_14default_configENS1_35adjacent_difference_config_selectorILb0EhEEZNS1_24adjacent_difference_implIS3_Lb0ELb0EPKhPhN6thrust23THRUST_200600_302600_NS4plusIhEEEE10hipError_tPvRmT2_T3_mT4_P12ihipStream_tbEUlT_E_NS1_11comp_targetILNS1_3genE5ELNS1_11target_archE942ELNS1_3gpuE9ELNS1_3repE0EEENS1_30default_config_static_selectorELNS0_4arch9wavefront6targetE1EEEvT1_
                                        ; -- End function
	.section	.AMDGPU.csdata,"",@progbits
; Kernel info:
; codeLenInByte = 4608
; NumSgprs: 54
; NumVgprs: 42
; NumAgprs: 0
; TotalNumVgprs: 42
; ScratchSize: 0
; MemoryBound: 0
; FloatMode: 240
; IeeeMode: 1
; LDSByteSize: 2432 bytes/workgroup (compile time only)
; SGPRBlocks: 6
; VGPRBlocks: 5
; NumSGPRsForWavesPerEU: 54
; NumVGPRsForWavesPerEU: 42
; AccumOffset: 44
; Occupancy: 8
; WaveLimiterHint : 1
; COMPUTE_PGM_RSRC2:SCRATCH_EN: 0
; COMPUTE_PGM_RSRC2:USER_SGPR: 2
; COMPUTE_PGM_RSRC2:TRAP_HANDLER: 0
; COMPUTE_PGM_RSRC2:TGID_X_EN: 1
; COMPUTE_PGM_RSRC2:TGID_Y_EN: 0
; COMPUTE_PGM_RSRC2:TGID_Z_EN: 0
; COMPUTE_PGM_RSRC2:TIDIG_COMP_CNT: 0
; COMPUTE_PGM_RSRC3_GFX90A:ACCUM_OFFSET: 10
; COMPUTE_PGM_RSRC3_GFX90A:TG_SPLIT: 0
	.section	.text._ZN7rocprim17ROCPRIM_400000_NS6detail17trampoline_kernelINS0_14default_configENS1_35adjacent_difference_config_selectorILb0EhEEZNS1_24adjacent_difference_implIS3_Lb0ELb0EPKhPhN6thrust23THRUST_200600_302600_NS4plusIhEEEE10hipError_tPvRmT2_T3_mT4_P12ihipStream_tbEUlT_E_NS1_11comp_targetILNS1_3genE4ELNS1_11target_archE910ELNS1_3gpuE8ELNS1_3repE0EEENS1_30default_config_static_selectorELNS0_4arch9wavefront6targetE1EEEvT1_,"axG",@progbits,_ZN7rocprim17ROCPRIM_400000_NS6detail17trampoline_kernelINS0_14default_configENS1_35adjacent_difference_config_selectorILb0EhEEZNS1_24adjacent_difference_implIS3_Lb0ELb0EPKhPhN6thrust23THRUST_200600_302600_NS4plusIhEEEE10hipError_tPvRmT2_T3_mT4_P12ihipStream_tbEUlT_E_NS1_11comp_targetILNS1_3genE4ELNS1_11target_archE910ELNS1_3gpuE8ELNS1_3repE0EEENS1_30default_config_static_selectorELNS0_4arch9wavefront6targetE1EEEvT1_,comdat
	.protected	_ZN7rocprim17ROCPRIM_400000_NS6detail17trampoline_kernelINS0_14default_configENS1_35adjacent_difference_config_selectorILb0EhEEZNS1_24adjacent_difference_implIS3_Lb0ELb0EPKhPhN6thrust23THRUST_200600_302600_NS4plusIhEEEE10hipError_tPvRmT2_T3_mT4_P12ihipStream_tbEUlT_E_NS1_11comp_targetILNS1_3genE4ELNS1_11target_archE910ELNS1_3gpuE8ELNS1_3repE0EEENS1_30default_config_static_selectorELNS0_4arch9wavefront6targetE1EEEvT1_ ; -- Begin function _ZN7rocprim17ROCPRIM_400000_NS6detail17trampoline_kernelINS0_14default_configENS1_35adjacent_difference_config_selectorILb0EhEEZNS1_24adjacent_difference_implIS3_Lb0ELb0EPKhPhN6thrust23THRUST_200600_302600_NS4plusIhEEEE10hipError_tPvRmT2_T3_mT4_P12ihipStream_tbEUlT_E_NS1_11comp_targetILNS1_3genE4ELNS1_11target_archE910ELNS1_3gpuE8ELNS1_3repE0EEENS1_30default_config_static_selectorELNS0_4arch9wavefront6targetE1EEEvT1_
	.globl	_ZN7rocprim17ROCPRIM_400000_NS6detail17trampoline_kernelINS0_14default_configENS1_35adjacent_difference_config_selectorILb0EhEEZNS1_24adjacent_difference_implIS3_Lb0ELb0EPKhPhN6thrust23THRUST_200600_302600_NS4plusIhEEEE10hipError_tPvRmT2_T3_mT4_P12ihipStream_tbEUlT_E_NS1_11comp_targetILNS1_3genE4ELNS1_11target_archE910ELNS1_3gpuE8ELNS1_3repE0EEENS1_30default_config_static_selectorELNS0_4arch9wavefront6targetE1EEEvT1_
	.p2align	8
	.type	_ZN7rocprim17ROCPRIM_400000_NS6detail17trampoline_kernelINS0_14default_configENS1_35adjacent_difference_config_selectorILb0EhEEZNS1_24adjacent_difference_implIS3_Lb0ELb0EPKhPhN6thrust23THRUST_200600_302600_NS4plusIhEEEE10hipError_tPvRmT2_T3_mT4_P12ihipStream_tbEUlT_E_NS1_11comp_targetILNS1_3genE4ELNS1_11target_archE910ELNS1_3gpuE8ELNS1_3repE0EEENS1_30default_config_static_selectorELNS0_4arch9wavefront6targetE1EEEvT1_,@function
_ZN7rocprim17ROCPRIM_400000_NS6detail17trampoline_kernelINS0_14default_configENS1_35adjacent_difference_config_selectorILb0EhEEZNS1_24adjacent_difference_implIS3_Lb0ELb0EPKhPhN6thrust23THRUST_200600_302600_NS4plusIhEEEE10hipError_tPvRmT2_T3_mT4_P12ihipStream_tbEUlT_E_NS1_11comp_targetILNS1_3genE4ELNS1_11target_archE910ELNS1_3gpuE8ELNS1_3repE0EEENS1_30default_config_static_selectorELNS0_4arch9wavefront6targetE1EEEvT1_: ; @_ZN7rocprim17ROCPRIM_400000_NS6detail17trampoline_kernelINS0_14default_configENS1_35adjacent_difference_config_selectorILb0EhEEZNS1_24adjacent_difference_implIS3_Lb0ELb0EPKhPhN6thrust23THRUST_200600_302600_NS4plusIhEEEE10hipError_tPvRmT2_T3_mT4_P12ihipStream_tbEUlT_E_NS1_11comp_targetILNS1_3genE4ELNS1_11target_archE910ELNS1_3gpuE8ELNS1_3repE0EEENS1_30default_config_static_selectorELNS0_4arch9wavefront6targetE1EEEvT1_
; %bb.0:
	.section	.rodata,"a",@progbits
	.p2align	6, 0x0
	.amdhsa_kernel _ZN7rocprim17ROCPRIM_400000_NS6detail17trampoline_kernelINS0_14default_configENS1_35adjacent_difference_config_selectorILb0EhEEZNS1_24adjacent_difference_implIS3_Lb0ELb0EPKhPhN6thrust23THRUST_200600_302600_NS4plusIhEEEE10hipError_tPvRmT2_T3_mT4_P12ihipStream_tbEUlT_E_NS1_11comp_targetILNS1_3genE4ELNS1_11target_archE910ELNS1_3gpuE8ELNS1_3repE0EEENS1_30default_config_static_selectorELNS0_4arch9wavefront6targetE1EEEvT1_
		.amdhsa_group_segment_fixed_size 0
		.amdhsa_private_segment_fixed_size 0
		.amdhsa_kernarg_size 56
		.amdhsa_user_sgpr_count 2
		.amdhsa_user_sgpr_dispatch_ptr 0
		.amdhsa_user_sgpr_queue_ptr 0
		.amdhsa_user_sgpr_kernarg_segment_ptr 1
		.amdhsa_user_sgpr_dispatch_id 0
		.amdhsa_user_sgpr_kernarg_preload_length 0
		.amdhsa_user_sgpr_kernarg_preload_offset 0
		.amdhsa_user_sgpr_private_segment_size 0
		.amdhsa_uses_dynamic_stack 0
		.amdhsa_enable_private_segment 0
		.amdhsa_system_sgpr_workgroup_id_x 1
		.amdhsa_system_sgpr_workgroup_id_y 0
		.amdhsa_system_sgpr_workgroup_id_z 0
		.amdhsa_system_sgpr_workgroup_info 0
		.amdhsa_system_vgpr_workitem_id 0
		.amdhsa_next_free_vgpr 1
		.amdhsa_next_free_sgpr 0
		.amdhsa_accum_offset 4
		.amdhsa_reserve_vcc 0
		.amdhsa_float_round_mode_32 0
		.amdhsa_float_round_mode_16_64 0
		.amdhsa_float_denorm_mode_32 3
		.amdhsa_float_denorm_mode_16_64 3
		.amdhsa_dx10_clamp 1
		.amdhsa_ieee_mode 1
		.amdhsa_fp16_overflow 0
		.amdhsa_tg_split 0
		.amdhsa_exception_fp_ieee_invalid_op 0
		.amdhsa_exception_fp_denorm_src 0
		.amdhsa_exception_fp_ieee_div_zero 0
		.amdhsa_exception_fp_ieee_overflow 0
		.amdhsa_exception_fp_ieee_underflow 0
		.amdhsa_exception_fp_ieee_inexact 0
		.amdhsa_exception_int_div_zero 0
	.end_amdhsa_kernel
	.section	.text._ZN7rocprim17ROCPRIM_400000_NS6detail17trampoline_kernelINS0_14default_configENS1_35adjacent_difference_config_selectorILb0EhEEZNS1_24adjacent_difference_implIS3_Lb0ELb0EPKhPhN6thrust23THRUST_200600_302600_NS4plusIhEEEE10hipError_tPvRmT2_T3_mT4_P12ihipStream_tbEUlT_E_NS1_11comp_targetILNS1_3genE4ELNS1_11target_archE910ELNS1_3gpuE8ELNS1_3repE0EEENS1_30default_config_static_selectorELNS0_4arch9wavefront6targetE1EEEvT1_,"axG",@progbits,_ZN7rocprim17ROCPRIM_400000_NS6detail17trampoline_kernelINS0_14default_configENS1_35adjacent_difference_config_selectorILb0EhEEZNS1_24adjacent_difference_implIS3_Lb0ELb0EPKhPhN6thrust23THRUST_200600_302600_NS4plusIhEEEE10hipError_tPvRmT2_T3_mT4_P12ihipStream_tbEUlT_E_NS1_11comp_targetILNS1_3genE4ELNS1_11target_archE910ELNS1_3gpuE8ELNS1_3repE0EEENS1_30default_config_static_selectorELNS0_4arch9wavefront6targetE1EEEvT1_,comdat
.Lfunc_end494:
	.size	_ZN7rocprim17ROCPRIM_400000_NS6detail17trampoline_kernelINS0_14default_configENS1_35adjacent_difference_config_selectorILb0EhEEZNS1_24adjacent_difference_implIS3_Lb0ELb0EPKhPhN6thrust23THRUST_200600_302600_NS4plusIhEEEE10hipError_tPvRmT2_T3_mT4_P12ihipStream_tbEUlT_E_NS1_11comp_targetILNS1_3genE4ELNS1_11target_archE910ELNS1_3gpuE8ELNS1_3repE0EEENS1_30default_config_static_selectorELNS0_4arch9wavefront6targetE1EEEvT1_, .Lfunc_end494-_ZN7rocprim17ROCPRIM_400000_NS6detail17trampoline_kernelINS0_14default_configENS1_35adjacent_difference_config_selectorILb0EhEEZNS1_24adjacent_difference_implIS3_Lb0ELb0EPKhPhN6thrust23THRUST_200600_302600_NS4plusIhEEEE10hipError_tPvRmT2_T3_mT4_P12ihipStream_tbEUlT_E_NS1_11comp_targetILNS1_3genE4ELNS1_11target_archE910ELNS1_3gpuE8ELNS1_3repE0EEENS1_30default_config_static_selectorELNS0_4arch9wavefront6targetE1EEEvT1_
                                        ; -- End function
	.section	.AMDGPU.csdata,"",@progbits
; Kernel info:
; codeLenInByte = 0
; NumSgprs: 6
; NumVgprs: 0
; NumAgprs: 0
; TotalNumVgprs: 0
; ScratchSize: 0
; MemoryBound: 0
; FloatMode: 240
; IeeeMode: 1
; LDSByteSize: 0 bytes/workgroup (compile time only)
; SGPRBlocks: 0
; VGPRBlocks: 0
; NumSGPRsForWavesPerEU: 6
; NumVGPRsForWavesPerEU: 1
; AccumOffset: 4
; Occupancy: 8
; WaveLimiterHint : 0
; COMPUTE_PGM_RSRC2:SCRATCH_EN: 0
; COMPUTE_PGM_RSRC2:USER_SGPR: 2
; COMPUTE_PGM_RSRC2:TRAP_HANDLER: 0
; COMPUTE_PGM_RSRC2:TGID_X_EN: 1
; COMPUTE_PGM_RSRC2:TGID_Y_EN: 0
; COMPUTE_PGM_RSRC2:TGID_Z_EN: 0
; COMPUTE_PGM_RSRC2:TIDIG_COMP_CNT: 0
; COMPUTE_PGM_RSRC3_GFX90A:ACCUM_OFFSET: 0
; COMPUTE_PGM_RSRC3_GFX90A:TG_SPLIT: 0
	.section	.text._ZN7rocprim17ROCPRIM_400000_NS6detail17trampoline_kernelINS0_14default_configENS1_35adjacent_difference_config_selectorILb0EhEEZNS1_24adjacent_difference_implIS3_Lb0ELb0EPKhPhN6thrust23THRUST_200600_302600_NS4plusIhEEEE10hipError_tPvRmT2_T3_mT4_P12ihipStream_tbEUlT_E_NS1_11comp_targetILNS1_3genE3ELNS1_11target_archE908ELNS1_3gpuE7ELNS1_3repE0EEENS1_30default_config_static_selectorELNS0_4arch9wavefront6targetE1EEEvT1_,"axG",@progbits,_ZN7rocprim17ROCPRIM_400000_NS6detail17trampoline_kernelINS0_14default_configENS1_35adjacent_difference_config_selectorILb0EhEEZNS1_24adjacent_difference_implIS3_Lb0ELb0EPKhPhN6thrust23THRUST_200600_302600_NS4plusIhEEEE10hipError_tPvRmT2_T3_mT4_P12ihipStream_tbEUlT_E_NS1_11comp_targetILNS1_3genE3ELNS1_11target_archE908ELNS1_3gpuE7ELNS1_3repE0EEENS1_30default_config_static_selectorELNS0_4arch9wavefront6targetE1EEEvT1_,comdat
	.protected	_ZN7rocprim17ROCPRIM_400000_NS6detail17trampoline_kernelINS0_14default_configENS1_35adjacent_difference_config_selectorILb0EhEEZNS1_24adjacent_difference_implIS3_Lb0ELb0EPKhPhN6thrust23THRUST_200600_302600_NS4plusIhEEEE10hipError_tPvRmT2_T3_mT4_P12ihipStream_tbEUlT_E_NS1_11comp_targetILNS1_3genE3ELNS1_11target_archE908ELNS1_3gpuE7ELNS1_3repE0EEENS1_30default_config_static_selectorELNS0_4arch9wavefront6targetE1EEEvT1_ ; -- Begin function _ZN7rocprim17ROCPRIM_400000_NS6detail17trampoline_kernelINS0_14default_configENS1_35adjacent_difference_config_selectorILb0EhEEZNS1_24adjacent_difference_implIS3_Lb0ELb0EPKhPhN6thrust23THRUST_200600_302600_NS4plusIhEEEE10hipError_tPvRmT2_T3_mT4_P12ihipStream_tbEUlT_E_NS1_11comp_targetILNS1_3genE3ELNS1_11target_archE908ELNS1_3gpuE7ELNS1_3repE0EEENS1_30default_config_static_selectorELNS0_4arch9wavefront6targetE1EEEvT1_
	.globl	_ZN7rocprim17ROCPRIM_400000_NS6detail17trampoline_kernelINS0_14default_configENS1_35adjacent_difference_config_selectorILb0EhEEZNS1_24adjacent_difference_implIS3_Lb0ELb0EPKhPhN6thrust23THRUST_200600_302600_NS4plusIhEEEE10hipError_tPvRmT2_T3_mT4_P12ihipStream_tbEUlT_E_NS1_11comp_targetILNS1_3genE3ELNS1_11target_archE908ELNS1_3gpuE7ELNS1_3repE0EEENS1_30default_config_static_selectorELNS0_4arch9wavefront6targetE1EEEvT1_
	.p2align	8
	.type	_ZN7rocprim17ROCPRIM_400000_NS6detail17trampoline_kernelINS0_14default_configENS1_35adjacent_difference_config_selectorILb0EhEEZNS1_24adjacent_difference_implIS3_Lb0ELb0EPKhPhN6thrust23THRUST_200600_302600_NS4plusIhEEEE10hipError_tPvRmT2_T3_mT4_P12ihipStream_tbEUlT_E_NS1_11comp_targetILNS1_3genE3ELNS1_11target_archE908ELNS1_3gpuE7ELNS1_3repE0EEENS1_30default_config_static_selectorELNS0_4arch9wavefront6targetE1EEEvT1_,@function
_ZN7rocprim17ROCPRIM_400000_NS6detail17trampoline_kernelINS0_14default_configENS1_35adjacent_difference_config_selectorILb0EhEEZNS1_24adjacent_difference_implIS3_Lb0ELb0EPKhPhN6thrust23THRUST_200600_302600_NS4plusIhEEEE10hipError_tPvRmT2_T3_mT4_P12ihipStream_tbEUlT_E_NS1_11comp_targetILNS1_3genE3ELNS1_11target_archE908ELNS1_3gpuE7ELNS1_3repE0EEENS1_30default_config_static_selectorELNS0_4arch9wavefront6targetE1EEEvT1_: ; @_ZN7rocprim17ROCPRIM_400000_NS6detail17trampoline_kernelINS0_14default_configENS1_35adjacent_difference_config_selectorILb0EhEEZNS1_24adjacent_difference_implIS3_Lb0ELb0EPKhPhN6thrust23THRUST_200600_302600_NS4plusIhEEEE10hipError_tPvRmT2_T3_mT4_P12ihipStream_tbEUlT_E_NS1_11comp_targetILNS1_3genE3ELNS1_11target_archE908ELNS1_3gpuE7ELNS1_3repE0EEENS1_30default_config_static_selectorELNS0_4arch9wavefront6targetE1EEEvT1_
; %bb.0:
	.section	.rodata,"a",@progbits
	.p2align	6, 0x0
	.amdhsa_kernel _ZN7rocprim17ROCPRIM_400000_NS6detail17trampoline_kernelINS0_14default_configENS1_35adjacent_difference_config_selectorILb0EhEEZNS1_24adjacent_difference_implIS3_Lb0ELb0EPKhPhN6thrust23THRUST_200600_302600_NS4plusIhEEEE10hipError_tPvRmT2_T3_mT4_P12ihipStream_tbEUlT_E_NS1_11comp_targetILNS1_3genE3ELNS1_11target_archE908ELNS1_3gpuE7ELNS1_3repE0EEENS1_30default_config_static_selectorELNS0_4arch9wavefront6targetE1EEEvT1_
		.amdhsa_group_segment_fixed_size 0
		.amdhsa_private_segment_fixed_size 0
		.amdhsa_kernarg_size 56
		.amdhsa_user_sgpr_count 2
		.amdhsa_user_sgpr_dispatch_ptr 0
		.amdhsa_user_sgpr_queue_ptr 0
		.amdhsa_user_sgpr_kernarg_segment_ptr 1
		.amdhsa_user_sgpr_dispatch_id 0
		.amdhsa_user_sgpr_kernarg_preload_length 0
		.amdhsa_user_sgpr_kernarg_preload_offset 0
		.amdhsa_user_sgpr_private_segment_size 0
		.amdhsa_uses_dynamic_stack 0
		.amdhsa_enable_private_segment 0
		.amdhsa_system_sgpr_workgroup_id_x 1
		.amdhsa_system_sgpr_workgroup_id_y 0
		.amdhsa_system_sgpr_workgroup_id_z 0
		.amdhsa_system_sgpr_workgroup_info 0
		.amdhsa_system_vgpr_workitem_id 0
		.amdhsa_next_free_vgpr 1
		.amdhsa_next_free_sgpr 0
		.amdhsa_accum_offset 4
		.amdhsa_reserve_vcc 0
		.amdhsa_float_round_mode_32 0
		.amdhsa_float_round_mode_16_64 0
		.amdhsa_float_denorm_mode_32 3
		.amdhsa_float_denorm_mode_16_64 3
		.amdhsa_dx10_clamp 1
		.amdhsa_ieee_mode 1
		.amdhsa_fp16_overflow 0
		.amdhsa_tg_split 0
		.amdhsa_exception_fp_ieee_invalid_op 0
		.amdhsa_exception_fp_denorm_src 0
		.amdhsa_exception_fp_ieee_div_zero 0
		.amdhsa_exception_fp_ieee_overflow 0
		.amdhsa_exception_fp_ieee_underflow 0
		.amdhsa_exception_fp_ieee_inexact 0
		.amdhsa_exception_int_div_zero 0
	.end_amdhsa_kernel
	.section	.text._ZN7rocprim17ROCPRIM_400000_NS6detail17trampoline_kernelINS0_14default_configENS1_35adjacent_difference_config_selectorILb0EhEEZNS1_24adjacent_difference_implIS3_Lb0ELb0EPKhPhN6thrust23THRUST_200600_302600_NS4plusIhEEEE10hipError_tPvRmT2_T3_mT4_P12ihipStream_tbEUlT_E_NS1_11comp_targetILNS1_3genE3ELNS1_11target_archE908ELNS1_3gpuE7ELNS1_3repE0EEENS1_30default_config_static_selectorELNS0_4arch9wavefront6targetE1EEEvT1_,"axG",@progbits,_ZN7rocprim17ROCPRIM_400000_NS6detail17trampoline_kernelINS0_14default_configENS1_35adjacent_difference_config_selectorILb0EhEEZNS1_24adjacent_difference_implIS3_Lb0ELb0EPKhPhN6thrust23THRUST_200600_302600_NS4plusIhEEEE10hipError_tPvRmT2_T3_mT4_P12ihipStream_tbEUlT_E_NS1_11comp_targetILNS1_3genE3ELNS1_11target_archE908ELNS1_3gpuE7ELNS1_3repE0EEENS1_30default_config_static_selectorELNS0_4arch9wavefront6targetE1EEEvT1_,comdat
.Lfunc_end495:
	.size	_ZN7rocprim17ROCPRIM_400000_NS6detail17trampoline_kernelINS0_14default_configENS1_35adjacent_difference_config_selectorILb0EhEEZNS1_24adjacent_difference_implIS3_Lb0ELb0EPKhPhN6thrust23THRUST_200600_302600_NS4plusIhEEEE10hipError_tPvRmT2_T3_mT4_P12ihipStream_tbEUlT_E_NS1_11comp_targetILNS1_3genE3ELNS1_11target_archE908ELNS1_3gpuE7ELNS1_3repE0EEENS1_30default_config_static_selectorELNS0_4arch9wavefront6targetE1EEEvT1_, .Lfunc_end495-_ZN7rocprim17ROCPRIM_400000_NS6detail17trampoline_kernelINS0_14default_configENS1_35adjacent_difference_config_selectorILb0EhEEZNS1_24adjacent_difference_implIS3_Lb0ELb0EPKhPhN6thrust23THRUST_200600_302600_NS4plusIhEEEE10hipError_tPvRmT2_T3_mT4_P12ihipStream_tbEUlT_E_NS1_11comp_targetILNS1_3genE3ELNS1_11target_archE908ELNS1_3gpuE7ELNS1_3repE0EEENS1_30default_config_static_selectorELNS0_4arch9wavefront6targetE1EEEvT1_
                                        ; -- End function
	.section	.AMDGPU.csdata,"",@progbits
; Kernel info:
; codeLenInByte = 0
; NumSgprs: 6
; NumVgprs: 0
; NumAgprs: 0
; TotalNumVgprs: 0
; ScratchSize: 0
; MemoryBound: 0
; FloatMode: 240
; IeeeMode: 1
; LDSByteSize: 0 bytes/workgroup (compile time only)
; SGPRBlocks: 0
; VGPRBlocks: 0
; NumSGPRsForWavesPerEU: 6
; NumVGPRsForWavesPerEU: 1
; AccumOffset: 4
; Occupancy: 8
; WaveLimiterHint : 0
; COMPUTE_PGM_RSRC2:SCRATCH_EN: 0
; COMPUTE_PGM_RSRC2:USER_SGPR: 2
; COMPUTE_PGM_RSRC2:TRAP_HANDLER: 0
; COMPUTE_PGM_RSRC2:TGID_X_EN: 1
; COMPUTE_PGM_RSRC2:TGID_Y_EN: 0
; COMPUTE_PGM_RSRC2:TGID_Z_EN: 0
; COMPUTE_PGM_RSRC2:TIDIG_COMP_CNT: 0
; COMPUTE_PGM_RSRC3_GFX90A:ACCUM_OFFSET: 0
; COMPUTE_PGM_RSRC3_GFX90A:TG_SPLIT: 0
	.section	.text._ZN7rocprim17ROCPRIM_400000_NS6detail17trampoline_kernelINS0_14default_configENS1_35adjacent_difference_config_selectorILb0EhEEZNS1_24adjacent_difference_implIS3_Lb0ELb0EPKhPhN6thrust23THRUST_200600_302600_NS4plusIhEEEE10hipError_tPvRmT2_T3_mT4_P12ihipStream_tbEUlT_E_NS1_11comp_targetILNS1_3genE2ELNS1_11target_archE906ELNS1_3gpuE6ELNS1_3repE0EEENS1_30default_config_static_selectorELNS0_4arch9wavefront6targetE1EEEvT1_,"axG",@progbits,_ZN7rocprim17ROCPRIM_400000_NS6detail17trampoline_kernelINS0_14default_configENS1_35adjacent_difference_config_selectorILb0EhEEZNS1_24adjacent_difference_implIS3_Lb0ELb0EPKhPhN6thrust23THRUST_200600_302600_NS4plusIhEEEE10hipError_tPvRmT2_T3_mT4_P12ihipStream_tbEUlT_E_NS1_11comp_targetILNS1_3genE2ELNS1_11target_archE906ELNS1_3gpuE6ELNS1_3repE0EEENS1_30default_config_static_selectorELNS0_4arch9wavefront6targetE1EEEvT1_,comdat
	.protected	_ZN7rocprim17ROCPRIM_400000_NS6detail17trampoline_kernelINS0_14default_configENS1_35adjacent_difference_config_selectorILb0EhEEZNS1_24adjacent_difference_implIS3_Lb0ELb0EPKhPhN6thrust23THRUST_200600_302600_NS4plusIhEEEE10hipError_tPvRmT2_T3_mT4_P12ihipStream_tbEUlT_E_NS1_11comp_targetILNS1_3genE2ELNS1_11target_archE906ELNS1_3gpuE6ELNS1_3repE0EEENS1_30default_config_static_selectorELNS0_4arch9wavefront6targetE1EEEvT1_ ; -- Begin function _ZN7rocprim17ROCPRIM_400000_NS6detail17trampoline_kernelINS0_14default_configENS1_35adjacent_difference_config_selectorILb0EhEEZNS1_24adjacent_difference_implIS3_Lb0ELb0EPKhPhN6thrust23THRUST_200600_302600_NS4plusIhEEEE10hipError_tPvRmT2_T3_mT4_P12ihipStream_tbEUlT_E_NS1_11comp_targetILNS1_3genE2ELNS1_11target_archE906ELNS1_3gpuE6ELNS1_3repE0EEENS1_30default_config_static_selectorELNS0_4arch9wavefront6targetE1EEEvT1_
	.globl	_ZN7rocprim17ROCPRIM_400000_NS6detail17trampoline_kernelINS0_14default_configENS1_35adjacent_difference_config_selectorILb0EhEEZNS1_24adjacent_difference_implIS3_Lb0ELb0EPKhPhN6thrust23THRUST_200600_302600_NS4plusIhEEEE10hipError_tPvRmT2_T3_mT4_P12ihipStream_tbEUlT_E_NS1_11comp_targetILNS1_3genE2ELNS1_11target_archE906ELNS1_3gpuE6ELNS1_3repE0EEENS1_30default_config_static_selectorELNS0_4arch9wavefront6targetE1EEEvT1_
	.p2align	8
	.type	_ZN7rocprim17ROCPRIM_400000_NS6detail17trampoline_kernelINS0_14default_configENS1_35adjacent_difference_config_selectorILb0EhEEZNS1_24adjacent_difference_implIS3_Lb0ELb0EPKhPhN6thrust23THRUST_200600_302600_NS4plusIhEEEE10hipError_tPvRmT2_T3_mT4_P12ihipStream_tbEUlT_E_NS1_11comp_targetILNS1_3genE2ELNS1_11target_archE906ELNS1_3gpuE6ELNS1_3repE0EEENS1_30default_config_static_selectorELNS0_4arch9wavefront6targetE1EEEvT1_,@function
_ZN7rocprim17ROCPRIM_400000_NS6detail17trampoline_kernelINS0_14default_configENS1_35adjacent_difference_config_selectorILb0EhEEZNS1_24adjacent_difference_implIS3_Lb0ELb0EPKhPhN6thrust23THRUST_200600_302600_NS4plusIhEEEE10hipError_tPvRmT2_T3_mT4_P12ihipStream_tbEUlT_E_NS1_11comp_targetILNS1_3genE2ELNS1_11target_archE906ELNS1_3gpuE6ELNS1_3repE0EEENS1_30default_config_static_selectorELNS0_4arch9wavefront6targetE1EEEvT1_: ; @_ZN7rocprim17ROCPRIM_400000_NS6detail17trampoline_kernelINS0_14default_configENS1_35adjacent_difference_config_selectorILb0EhEEZNS1_24adjacent_difference_implIS3_Lb0ELb0EPKhPhN6thrust23THRUST_200600_302600_NS4plusIhEEEE10hipError_tPvRmT2_T3_mT4_P12ihipStream_tbEUlT_E_NS1_11comp_targetILNS1_3genE2ELNS1_11target_archE906ELNS1_3gpuE6ELNS1_3repE0EEENS1_30default_config_static_selectorELNS0_4arch9wavefront6targetE1EEEvT1_
; %bb.0:
	.section	.rodata,"a",@progbits
	.p2align	6, 0x0
	.amdhsa_kernel _ZN7rocprim17ROCPRIM_400000_NS6detail17trampoline_kernelINS0_14default_configENS1_35adjacent_difference_config_selectorILb0EhEEZNS1_24adjacent_difference_implIS3_Lb0ELb0EPKhPhN6thrust23THRUST_200600_302600_NS4plusIhEEEE10hipError_tPvRmT2_T3_mT4_P12ihipStream_tbEUlT_E_NS1_11comp_targetILNS1_3genE2ELNS1_11target_archE906ELNS1_3gpuE6ELNS1_3repE0EEENS1_30default_config_static_selectorELNS0_4arch9wavefront6targetE1EEEvT1_
		.amdhsa_group_segment_fixed_size 0
		.amdhsa_private_segment_fixed_size 0
		.amdhsa_kernarg_size 56
		.amdhsa_user_sgpr_count 2
		.amdhsa_user_sgpr_dispatch_ptr 0
		.amdhsa_user_sgpr_queue_ptr 0
		.amdhsa_user_sgpr_kernarg_segment_ptr 1
		.amdhsa_user_sgpr_dispatch_id 0
		.amdhsa_user_sgpr_kernarg_preload_length 0
		.amdhsa_user_sgpr_kernarg_preload_offset 0
		.amdhsa_user_sgpr_private_segment_size 0
		.amdhsa_uses_dynamic_stack 0
		.amdhsa_enable_private_segment 0
		.amdhsa_system_sgpr_workgroup_id_x 1
		.amdhsa_system_sgpr_workgroup_id_y 0
		.amdhsa_system_sgpr_workgroup_id_z 0
		.amdhsa_system_sgpr_workgroup_info 0
		.amdhsa_system_vgpr_workitem_id 0
		.amdhsa_next_free_vgpr 1
		.amdhsa_next_free_sgpr 0
		.amdhsa_accum_offset 4
		.amdhsa_reserve_vcc 0
		.amdhsa_float_round_mode_32 0
		.amdhsa_float_round_mode_16_64 0
		.amdhsa_float_denorm_mode_32 3
		.amdhsa_float_denorm_mode_16_64 3
		.amdhsa_dx10_clamp 1
		.amdhsa_ieee_mode 1
		.amdhsa_fp16_overflow 0
		.amdhsa_tg_split 0
		.amdhsa_exception_fp_ieee_invalid_op 0
		.amdhsa_exception_fp_denorm_src 0
		.amdhsa_exception_fp_ieee_div_zero 0
		.amdhsa_exception_fp_ieee_overflow 0
		.amdhsa_exception_fp_ieee_underflow 0
		.amdhsa_exception_fp_ieee_inexact 0
		.amdhsa_exception_int_div_zero 0
	.end_amdhsa_kernel
	.section	.text._ZN7rocprim17ROCPRIM_400000_NS6detail17trampoline_kernelINS0_14default_configENS1_35adjacent_difference_config_selectorILb0EhEEZNS1_24adjacent_difference_implIS3_Lb0ELb0EPKhPhN6thrust23THRUST_200600_302600_NS4plusIhEEEE10hipError_tPvRmT2_T3_mT4_P12ihipStream_tbEUlT_E_NS1_11comp_targetILNS1_3genE2ELNS1_11target_archE906ELNS1_3gpuE6ELNS1_3repE0EEENS1_30default_config_static_selectorELNS0_4arch9wavefront6targetE1EEEvT1_,"axG",@progbits,_ZN7rocprim17ROCPRIM_400000_NS6detail17trampoline_kernelINS0_14default_configENS1_35adjacent_difference_config_selectorILb0EhEEZNS1_24adjacent_difference_implIS3_Lb0ELb0EPKhPhN6thrust23THRUST_200600_302600_NS4plusIhEEEE10hipError_tPvRmT2_T3_mT4_P12ihipStream_tbEUlT_E_NS1_11comp_targetILNS1_3genE2ELNS1_11target_archE906ELNS1_3gpuE6ELNS1_3repE0EEENS1_30default_config_static_selectorELNS0_4arch9wavefront6targetE1EEEvT1_,comdat
.Lfunc_end496:
	.size	_ZN7rocprim17ROCPRIM_400000_NS6detail17trampoline_kernelINS0_14default_configENS1_35adjacent_difference_config_selectorILb0EhEEZNS1_24adjacent_difference_implIS3_Lb0ELb0EPKhPhN6thrust23THRUST_200600_302600_NS4plusIhEEEE10hipError_tPvRmT2_T3_mT4_P12ihipStream_tbEUlT_E_NS1_11comp_targetILNS1_3genE2ELNS1_11target_archE906ELNS1_3gpuE6ELNS1_3repE0EEENS1_30default_config_static_selectorELNS0_4arch9wavefront6targetE1EEEvT1_, .Lfunc_end496-_ZN7rocprim17ROCPRIM_400000_NS6detail17trampoline_kernelINS0_14default_configENS1_35adjacent_difference_config_selectorILb0EhEEZNS1_24adjacent_difference_implIS3_Lb0ELb0EPKhPhN6thrust23THRUST_200600_302600_NS4plusIhEEEE10hipError_tPvRmT2_T3_mT4_P12ihipStream_tbEUlT_E_NS1_11comp_targetILNS1_3genE2ELNS1_11target_archE906ELNS1_3gpuE6ELNS1_3repE0EEENS1_30default_config_static_selectorELNS0_4arch9wavefront6targetE1EEEvT1_
                                        ; -- End function
	.section	.AMDGPU.csdata,"",@progbits
; Kernel info:
; codeLenInByte = 0
; NumSgprs: 6
; NumVgprs: 0
; NumAgprs: 0
; TotalNumVgprs: 0
; ScratchSize: 0
; MemoryBound: 0
; FloatMode: 240
; IeeeMode: 1
; LDSByteSize: 0 bytes/workgroup (compile time only)
; SGPRBlocks: 0
; VGPRBlocks: 0
; NumSGPRsForWavesPerEU: 6
; NumVGPRsForWavesPerEU: 1
; AccumOffset: 4
; Occupancy: 8
; WaveLimiterHint : 0
; COMPUTE_PGM_RSRC2:SCRATCH_EN: 0
; COMPUTE_PGM_RSRC2:USER_SGPR: 2
; COMPUTE_PGM_RSRC2:TRAP_HANDLER: 0
; COMPUTE_PGM_RSRC2:TGID_X_EN: 1
; COMPUTE_PGM_RSRC2:TGID_Y_EN: 0
; COMPUTE_PGM_RSRC2:TGID_Z_EN: 0
; COMPUTE_PGM_RSRC2:TIDIG_COMP_CNT: 0
; COMPUTE_PGM_RSRC3_GFX90A:ACCUM_OFFSET: 0
; COMPUTE_PGM_RSRC3_GFX90A:TG_SPLIT: 0
	.section	.text._ZN7rocprim17ROCPRIM_400000_NS6detail17trampoline_kernelINS0_14default_configENS1_35adjacent_difference_config_selectorILb0EhEEZNS1_24adjacent_difference_implIS3_Lb0ELb0EPKhPhN6thrust23THRUST_200600_302600_NS4plusIhEEEE10hipError_tPvRmT2_T3_mT4_P12ihipStream_tbEUlT_E_NS1_11comp_targetILNS1_3genE9ELNS1_11target_archE1100ELNS1_3gpuE3ELNS1_3repE0EEENS1_30default_config_static_selectorELNS0_4arch9wavefront6targetE1EEEvT1_,"axG",@progbits,_ZN7rocprim17ROCPRIM_400000_NS6detail17trampoline_kernelINS0_14default_configENS1_35adjacent_difference_config_selectorILb0EhEEZNS1_24adjacent_difference_implIS3_Lb0ELb0EPKhPhN6thrust23THRUST_200600_302600_NS4plusIhEEEE10hipError_tPvRmT2_T3_mT4_P12ihipStream_tbEUlT_E_NS1_11comp_targetILNS1_3genE9ELNS1_11target_archE1100ELNS1_3gpuE3ELNS1_3repE0EEENS1_30default_config_static_selectorELNS0_4arch9wavefront6targetE1EEEvT1_,comdat
	.protected	_ZN7rocprim17ROCPRIM_400000_NS6detail17trampoline_kernelINS0_14default_configENS1_35adjacent_difference_config_selectorILb0EhEEZNS1_24adjacent_difference_implIS3_Lb0ELb0EPKhPhN6thrust23THRUST_200600_302600_NS4plusIhEEEE10hipError_tPvRmT2_T3_mT4_P12ihipStream_tbEUlT_E_NS1_11comp_targetILNS1_3genE9ELNS1_11target_archE1100ELNS1_3gpuE3ELNS1_3repE0EEENS1_30default_config_static_selectorELNS0_4arch9wavefront6targetE1EEEvT1_ ; -- Begin function _ZN7rocprim17ROCPRIM_400000_NS6detail17trampoline_kernelINS0_14default_configENS1_35adjacent_difference_config_selectorILb0EhEEZNS1_24adjacent_difference_implIS3_Lb0ELb0EPKhPhN6thrust23THRUST_200600_302600_NS4plusIhEEEE10hipError_tPvRmT2_T3_mT4_P12ihipStream_tbEUlT_E_NS1_11comp_targetILNS1_3genE9ELNS1_11target_archE1100ELNS1_3gpuE3ELNS1_3repE0EEENS1_30default_config_static_selectorELNS0_4arch9wavefront6targetE1EEEvT1_
	.globl	_ZN7rocprim17ROCPRIM_400000_NS6detail17trampoline_kernelINS0_14default_configENS1_35adjacent_difference_config_selectorILb0EhEEZNS1_24adjacent_difference_implIS3_Lb0ELb0EPKhPhN6thrust23THRUST_200600_302600_NS4plusIhEEEE10hipError_tPvRmT2_T3_mT4_P12ihipStream_tbEUlT_E_NS1_11comp_targetILNS1_3genE9ELNS1_11target_archE1100ELNS1_3gpuE3ELNS1_3repE0EEENS1_30default_config_static_selectorELNS0_4arch9wavefront6targetE1EEEvT1_
	.p2align	8
	.type	_ZN7rocprim17ROCPRIM_400000_NS6detail17trampoline_kernelINS0_14default_configENS1_35adjacent_difference_config_selectorILb0EhEEZNS1_24adjacent_difference_implIS3_Lb0ELb0EPKhPhN6thrust23THRUST_200600_302600_NS4plusIhEEEE10hipError_tPvRmT2_T3_mT4_P12ihipStream_tbEUlT_E_NS1_11comp_targetILNS1_3genE9ELNS1_11target_archE1100ELNS1_3gpuE3ELNS1_3repE0EEENS1_30default_config_static_selectorELNS0_4arch9wavefront6targetE1EEEvT1_,@function
_ZN7rocprim17ROCPRIM_400000_NS6detail17trampoline_kernelINS0_14default_configENS1_35adjacent_difference_config_selectorILb0EhEEZNS1_24adjacent_difference_implIS3_Lb0ELb0EPKhPhN6thrust23THRUST_200600_302600_NS4plusIhEEEE10hipError_tPvRmT2_T3_mT4_P12ihipStream_tbEUlT_E_NS1_11comp_targetILNS1_3genE9ELNS1_11target_archE1100ELNS1_3gpuE3ELNS1_3repE0EEENS1_30default_config_static_selectorELNS0_4arch9wavefront6targetE1EEEvT1_: ; @_ZN7rocprim17ROCPRIM_400000_NS6detail17trampoline_kernelINS0_14default_configENS1_35adjacent_difference_config_selectorILb0EhEEZNS1_24adjacent_difference_implIS3_Lb0ELb0EPKhPhN6thrust23THRUST_200600_302600_NS4plusIhEEEE10hipError_tPvRmT2_T3_mT4_P12ihipStream_tbEUlT_E_NS1_11comp_targetILNS1_3genE9ELNS1_11target_archE1100ELNS1_3gpuE3ELNS1_3repE0EEENS1_30default_config_static_selectorELNS0_4arch9wavefront6targetE1EEEvT1_
; %bb.0:
	.section	.rodata,"a",@progbits
	.p2align	6, 0x0
	.amdhsa_kernel _ZN7rocprim17ROCPRIM_400000_NS6detail17trampoline_kernelINS0_14default_configENS1_35adjacent_difference_config_selectorILb0EhEEZNS1_24adjacent_difference_implIS3_Lb0ELb0EPKhPhN6thrust23THRUST_200600_302600_NS4plusIhEEEE10hipError_tPvRmT2_T3_mT4_P12ihipStream_tbEUlT_E_NS1_11comp_targetILNS1_3genE9ELNS1_11target_archE1100ELNS1_3gpuE3ELNS1_3repE0EEENS1_30default_config_static_selectorELNS0_4arch9wavefront6targetE1EEEvT1_
		.amdhsa_group_segment_fixed_size 0
		.amdhsa_private_segment_fixed_size 0
		.amdhsa_kernarg_size 56
		.amdhsa_user_sgpr_count 2
		.amdhsa_user_sgpr_dispatch_ptr 0
		.amdhsa_user_sgpr_queue_ptr 0
		.amdhsa_user_sgpr_kernarg_segment_ptr 1
		.amdhsa_user_sgpr_dispatch_id 0
		.amdhsa_user_sgpr_kernarg_preload_length 0
		.amdhsa_user_sgpr_kernarg_preload_offset 0
		.amdhsa_user_sgpr_private_segment_size 0
		.amdhsa_uses_dynamic_stack 0
		.amdhsa_enable_private_segment 0
		.amdhsa_system_sgpr_workgroup_id_x 1
		.amdhsa_system_sgpr_workgroup_id_y 0
		.amdhsa_system_sgpr_workgroup_id_z 0
		.amdhsa_system_sgpr_workgroup_info 0
		.amdhsa_system_vgpr_workitem_id 0
		.amdhsa_next_free_vgpr 1
		.amdhsa_next_free_sgpr 0
		.amdhsa_accum_offset 4
		.amdhsa_reserve_vcc 0
		.amdhsa_float_round_mode_32 0
		.amdhsa_float_round_mode_16_64 0
		.amdhsa_float_denorm_mode_32 3
		.amdhsa_float_denorm_mode_16_64 3
		.amdhsa_dx10_clamp 1
		.amdhsa_ieee_mode 1
		.amdhsa_fp16_overflow 0
		.amdhsa_tg_split 0
		.amdhsa_exception_fp_ieee_invalid_op 0
		.amdhsa_exception_fp_denorm_src 0
		.amdhsa_exception_fp_ieee_div_zero 0
		.amdhsa_exception_fp_ieee_overflow 0
		.amdhsa_exception_fp_ieee_underflow 0
		.amdhsa_exception_fp_ieee_inexact 0
		.amdhsa_exception_int_div_zero 0
	.end_amdhsa_kernel
	.section	.text._ZN7rocprim17ROCPRIM_400000_NS6detail17trampoline_kernelINS0_14default_configENS1_35adjacent_difference_config_selectorILb0EhEEZNS1_24adjacent_difference_implIS3_Lb0ELb0EPKhPhN6thrust23THRUST_200600_302600_NS4plusIhEEEE10hipError_tPvRmT2_T3_mT4_P12ihipStream_tbEUlT_E_NS1_11comp_targetILNS1_3genE9ELNS1_11target_archE1100ELNS1_3gpuE3ELNS1_3repE0EEENS1_30default_config_static_selectorELNS0_4arch9wavefront6targetE1EEEvT1_,"axG",@progbits,_ZN7rocprim17ROCPRIM_400000_NS6detail17trampoline_kernelINS0_14default_configENS1_35adjacent_difference_config_selectorILb0EhEEZNS1_24adjacent_difference_implIS3_Lb0ELb0EPKhPhN6thrust23THRUST_200600_302600_NS4plusIhEEEE10hipError_tPvRmT2_T3_mT4_P12ihipStream_tbEUlT_E_NS1_11comp_targetILNS1_3genE9ELNS1_11target_archE1100ELNS1_3gpuE3ELNS1_3repE0EEENS1_30default_config_static_selectorELNS0_4arch9wavefront6targetE1EEEvT1_,comdat
.Lfunc_end497:
	.size	_ZN7rocprim17ROCPRIM_400000_NS6detail17trampoline_kernelINS0_14default_configENS1_35adjacent_difference_config_selectorILb0EhEEZNS1_24adjacent_difference_implIS3_Lb0ELb0EPKhPhN6thrust23THRUST_200600_302600_NS4plusIhEEEE10hipError_tPvRmT2_T3_mT4_P12ihipStream_tbEUlT_E_NS1_11comp_targetILNS1_3genE9ELNS1_11target_archE1100ELNS1_3gpuE3ELNS1_3repE0EEENS1_30default_config_static_selectorELNS0_4arch9wavefront6targetE1EEEvT1_, .Lfunc_end497-_ZN7rocprim17ROCPRIM_400000_NS6detail17trampoline_kernelINS0_14default_configENS1_35adjacent_difference_config_selectorILb0EhEEZNS1_24adjacent_difference_implIS3_Lb0ELb0EPKhPhN6thrust23THRUST_200600_302600_NS4plusIhEEEE10hipError_tPvRmT2_T3_mT4_P12ihipStream_tbEUlT_E_NS1_11comp_targetILNS1_3genE9ELNS1_11target_archE1100ELNS1_3gpuE3ELNS1_3repE0EEENS1_30default_config_static_selectorELNS0_4arch9wavefront6targetE1EEEvT1_
                                        ; -- End function
	.section	.AMDGPU.csdata,"",@progbits
; Kernel info:
; codeLenInByte = 0
; NumSgprs: 6
; NumVgprs: 0
; NumAgprs: 0
; TotalNumVgprs: 0
; ScratchSize: 0
; MemoryBound: 0
; FloatMode: 240
; IeeeMode: 1
; LDSByteSize: 0 bytes/workgroup (compile time only)
; SGPRBlocks: 0
; VGPRBlocks: 0
; NumSGPRsForWavesPerEU: 6
; NumVGPRsForWavesPerEU: 1
; AccumOffset: 4
; Occupancy: 8
; WaveLimiterHint : 0
; COMPUTE_PGM_RSRC2:SCRATCH_EN: 0
; COMPUTE_PGM_RSRC2:USER_SGPR: 2
; COMPUTE_PGM_RSRC2:TRAP_HANDLER: 0
; COMPUTE_PGM_RSRC2:TGID_X_EN: 1
; COMPUTE_PGM_RSRC2:TGID_Y_EN: 0
; COMPUTE_PGM_RSRC2:TGID_Z_EN: 0
; COMPUTE_PGM_RSRC2:TIDIG_COMP_CNT: 0
; COMPUTE_PGM_RSRC3_GFX90A:ACCUM_OFFSET: 0
; COMPUTE_PGM_RSRC3_GFX90A:TG_SPLIT: 0
	.section	.text._ZN7rocprim17ROCPRIM_400000_NS6detail17trampoline_kernelINS0_14default_configENS1_35adjacent_difference_config_selectorILb0EhEEZNS1_24adjacent_difference_implIS3_Lb0ELb0EPKhPhN6thrust23THRUST_200600_302600_NS4plusIhEEEE10hipError_tPvRmT2_T3_mT4_P12ihipStream_tbEUlT_E_NS1_11comp_targetILNS1_3genE8ELNS1_11target_archE1030ELNS1_3gpuE2ELNS1_3repE0EEENS1_30default_config_static_selectorELNS0_4arch9wavefront6targetE1EEEvT1_,"axG",@progbits,_ZN7rocprim17ROCPRIM_400000_NS6detail17trampoline_kernelINS0_14default_configENS1_35adjacent_difference_config_selectorILb0EhEEZNS1_24adjacent_difference_implIS3_Lb0ELb0EPKhPhN6thrust23THRUST_200600_302600_NS4plusIhEEEE10hipError_tPvRmT2_T3_mT4_P12ihipStream_tbEUlT_E_NS1_11comp_targetILNS1_3genE8ELNS1_11target_archE1030ELNS1_3gpuE2ELNS1_3repE0EEENS1_30default_config_static_selectorELNS0_4arch9wavefront6targetE1EEEvT1_,comdat
	.protected	_ZN7rocprim17ROCPRIM_400000_NS6detail17trampoline_kernelINS0_14default_configENS1_35adjacent_difference_config_selectorILb0EhEEZNS1_24adjacent_difference_implIS3_Lb0ELb0EPKhPhN6thrust23THRUST_200600_302600_NS4plusIhEEEE10hipError_tPvRmT2_T3_mT4_P12ihipStream_tbEUlT_E_NS1_11comp_targetILNS1_3genE8ELNS1_11target_archE1030ELNS1_3gpuE2ELNS1_3repE0EEENS1_30default_config_static_selectorELNS0_4arch9wavefront6targetE1EEEvT1_ ; -- Begin function _ZN7rocprim17ROCPRIM_400000_NS6detail17trampoline_kernelINS0_14default_configENS1_35adjacent_difference_config_selectorILb0EhEEZNS1_24adjacent_difference_implIS3_Lb0ELb0EPKhPhN6thrust23THRUST_200600_302600_NS4plusIhEEEE10hipError_tPvRmT2_T3_mT4_P12ihipStream_tbEUlT_E_NS1_11comp_targetILNS1_3genE8ELNS1_11target_archE1030ELNS1_3gpuE2ELNS1_3repE0EEENS1_30default_config_static_selectorELNS0_4arch9wavefront6targetE1EEEvT1_
	.globl	_ZN7rocprim17ROCPRIM_400000_NS6detail17trampoline_kernelINS0_14default_configENS1_35adjacent_difference_config_selectorILb0EhEEZNS1_24adjacent_difference_implIS3_Lb0ELb0EPKhPhN6thrust23THRUST_200600_302600_NS4plusIhEEEE10hipError_tPvRmT2_T3_mT4_P12ihipStream_tbEUlT_E_NS1_11comp_targetILNS1_3genE8ELNS1_11target_archE1030ELNS1_3gpuE2ELNS1_3repE0EEENS1_30default_config_static_selectorELNS0_4arch9wavefront6targetE1EEEvT1_
	.p2align	8
	.type	_ZN7rocprim17ROCPRIM_400000_NS6detail17trampoline_kernelINS0_14default_configENS1_35adjacent_difference_config_selectorILb0EhEEZNS1_24adjacent_difference_implIS3_Lb0ELb0EPKhPhN6thrust23THRUST_200600_302600_NS4plusIhEEEE10hipError_tPvRmT2_T3_mT4_P12ihipStream_tbEUlT_E_NS1_11comp_targetILNS1_3genE8ELNS1_11target_archE1030ELNS1_3gpuE2ELNS1_3repE0EEENS1_30default_config_static_selectorELNS0_4arch9wavefront6targetE1EEEvT1_,@function
_ZN7rocprim17ROCPRIM_400000_NS6detail17trampoline_kernelINS0_14default_configENS1_35adjacent_difference_config_selectorILb0EhEEZNS1_24adjacent_difference_implIS3_Lb0ELb0EPKhPhN6thrust23THRUST_200600_302600_NS4plusIhEEEE10hipError_tPvRmT2_T3_mT4_P12ihipStream_tbEUlT_E_NS1_11comp_targetILNS1_3genE8ELNS1_11target_archE1030ELNS1_3gpuE2ELNS1_3repE0EEENS1_30default_config_static_selectorELNS0_4arch9wavefront6targetE1EEEvT1_: ; @_ZN7rocprim17ROCPRIM_400000_NS6detail17trampoline_kernelINS0_14default_configENS1_35adjacent_difference_config_selectorILb0EhEEZNS1_24adjacent_difference_implIS3_Lb0ELb0EPKhPhN6thrust23THRUST_200600_302600_NS4plusIhEEEE10hipError_tPvRmT2_T3_mT4_P12ihipStream_tbEUlT_E_NS1_11comp_targetILNS1_3genE8ELNS1_11target_archE1030ELNS1_3gpuE2ELNS1_3repE0EEENS1_30default_config_static_selectorELNS0_4arch9wavefront6targetE1EEEvT1_
; %bb.0:
	.section	.rodata,"a",@progbits
	.p2align	6, 0x0
	.amdhsa_kernel _ZN7rocprim17ROCPRIM_400000_NS6detail17trampoline_kernelINS0_14default_configENS1_35adjacent_difference_config_selectorILb0EhEEZNS1_24adjacent_difference_implIS3_Lb0ELb0EPKhPhN6thrust23THRUST_200600_302600_NS4plusIhEEEE10hipError_tPvRmT2_T3_mT4_P12ihipStream_tbEUlT_E_NS1_11comp_targetILNS1_3genE8ELNS1_11target_archE1030ELNS1_3gpuE2ELNS1_3repE0EEENS1_30default_config_static_selectorELNS0_4arch9wavefront6targetE1EEEvT1_
		.amdhsa_group_segment_fixed_size 0
		.amdhsa_private_segment_fixed_size 0
		.amdhsa_kernarg_size 56
		.amdhsa_user_sgpr_count 2
		.amdhsa_user_sgpr_dispatch_ptr 0
		.amdhsa_user_sgpr_queue_ptr 0
		.amdhsa_user_sgpr_kernarg_segment_ptr 1
		.amdhsa_user_sgpr_dispatch_id 0
		.amdhsa_user_sgpr_kernarg_preload_length 0
		.amdhsa_user_sgpr_kernarg_preload_offset 0
		.amdhsa_user_sgpr_private_segment_size 0
		.amdhsa_uses_dynamic_stack 0
		.amdhsa_enable_private_segment 0
		.amdhsa_system_sgpr_workgroup_id_x 1
		.amdhsa_system_sgpr_workgroup_id_y 0
		.amdhsa_system_sgpr_workgroup_id_z 0
		.amdhsa_system_sgpr_workgroup_info 0
		.amdhsa_system_vgpr_workitem_id 0
		.amdhsa_next_free_vgpr 1
		.amdhsa_next_free_sgpr 0
		.amdhsa_accum_offset 4
		.amdhsa_reserve_vcc 0
		.amdhsa_float_round_mode_32 0
		.amdhsa_float_round_mode_16_64 0
		.amdhsa_float_denorm_mode_32 3
		.amdhsa_float_denorm_mode_16_64 3
		.amdhsa_dx10_clamp 1
		.amdhsa_ieee_mode 1
		.amdhsa_fp16_overflow 0
		.amdhsa_tg_split 0
		.amdhsa_exception_fp_ieee_invalid_op 0
		.amdhsa_exception_fp_denorm_src 0
		.amdhsa_exception_fp_ieee_div_zero 0
		.amdhsa_exception_fp_ieee_overflow 0
		.amdhsa_exception_fp_ieee_underflow 0
		.amdhsa_exception_fp_ieee_inexact 0
		.amdhsa_exception_int_div_zero 0
	.end_amdhsa_kernel
	.section	.text._ZN7rocprim17ROCPRIM_400000_NS6detail17trampoline_kernelINS0_14default_configENS1_35adjacent_difference_config_selectorILb0EhEEZNS1_24adjacent_difference_implIS3_Lb0ELb0EPKhPhN6thrust23THRUST_200600_302600_NS4plusIhEEEE10hipError_tPvRmT2_T3_mT4_P12ihipStream_tbEUlT_E_NS1_11comp_targetILNS1_3genE8ELNS1_11target_archE1030ELNS1_3gpuE2ELNS1_3repE0EEENS1_30default_config_static_selectorELNS0_4arch9wavefront6targetE1EEEvT1_,"axG",@progbits,_ZN7rocprim17ROCPRIM_400000_NS6detail17trampoline_kernelINS0_14default_configENS1_35adjacent_difference_config_selectorILb0EhEEZNS1_24adjacent_difference_implIS3_Lb0ELb0EPKhPhN6thrust23THRUST_200600_302600_NS4plusIhEEEE10hipError_tPvRmT2_T3_mT4_P12ihipStream_tbEUlT_E_NS1_11comp_targetILNS1_3genE8ELNS1_11target_archE1030ELNS1_3gpuE2ELNS1_3repE0EEENS1_30default_config_static_selectorELNS0_4arch9wavefront6targetE1EEEvT1_,comdat
.Lfunc_end498:
	.size	_ZN7rocprim17ROCPRIM_400000_NS6detail17trampoline_kernelINS0_14default_configENS1_35adjacent_difference_config_selectorILb0EhEEZNS1_24adjacent_difference_implIS3_Lb0ELb0EPKhPhN6thrust23THRUST_200600_302600_NS4plusIhEEEE10hipError_tPvRmT2_T3_mT4_P12ihipStream_tbEUlT_E_NS1_11comp_targetILNS1_3genE8ELNS1_11target_archE1030ELNS1_3gpuE2ELNS1_3repE0EEENS1_30default_config_static_selectorELNS0_4arch9wavefront6targetE1EEEvT1_, .Lfunc_end498-_ZN7rocprim17ROCPRIM_400000_NS6detail17trampoline_kernelINS0_14default_configENS1_35adjacent_difference_config_selectorILb0EhEEZNS1_24adjacent_difference_implIS3_Lb0ELb0EPKhPhN6thrust23THRUST_200600_302600_NS4plusIhEEEE10hipError_tPvRmT2_T3_mT4_P12ihipStream_tbEUlT_E_NS1_11comp_targetILNS1_3genE8ELNS1_11target_archE1030ELNS1_3gpuE2ELNS1_3repE0EEENS1_30default_config_static_selectorELNS0_4arch9wavefront6targetE1EEEvT1_
                                        ; -- End function
	.section	.AMDGPU.csdata,"",@progbits
; Kernel info:
; codeLenInByte = 0
; NumSgprs: 6
; NumVgprs: 0
; NumAgprs: 0
; TotalNumVgprs: 0
; ScratchSize: 0
; MemoryBound: 0
; FloatMode: 240
; IeeeMode: 1
; LDSByteSize: 0 bytes/workgroup (compile time only)
; SGPRBlocks: 0
; VGPRBlocks: 0
; NumSGPRsForWavesPerEU: 6
; NumVGPRsForWavesPerEU: 1
; AccumOffset: 4
; Occupancy: 8
; WaveLimiterHint : 0
; COMPUTE_PGM_RSRC2:SCRATCH_EN: 0
; COMPUTE_PGM_RSRC2:USER_SGPR: 2
; COMPUTE_PGM_RSRC2:TRAP_HANDLER: 0
; COMPUTE_PGM_RSRC2:TGID_X_EN: 1
; COMPUTE_PGM_RSRC2:TGID_Y_EN: 0
; COMPUTE_PGM_RSRC2:TGID_Z_EN: 0
; COMPUTE_PGM_RSRC2:TIDIG_COMP_CNT: 0
; COMPUTE_PGM_RSRC3_GFX90A:ACCUM_OFFSET: 0
; COMPUTE_PGM_RSRC3_GFX90A:TG_SPLIT: 0
	.section	.text._ZN7rocprim17ROCPRIM_400000_NS6detail17trampoline_kernelINS0_14default_configENS1_25transform_config_selectorIhLb0EEEZNS1_14transform_implILb0ES3_S5_NS0_18transform_iteratorINS0_17counting_iteratorImlEEZNS1_24adjacent_difference_implIS3_Lb1ELb0EPKhPhN6thrust23THRUST_200600_302600_NS4plusIhEEEE10hipError_tPvRmT2_T3_mT4_P12ihipStream_tbEUlmE_hEESD_NS0_8identityIvEEEESI_SL_SM_mSN_SP_bEUlT_E_NS1_11comp_targetILNS1_3genE0ELNS1_11target_archE4294967295ELNS1_3gpuE0ELNS1_3repE0EEENS1_30default_config_static_selectorELNS0_4arch9wavefront6targetE1EEEvT1_,"axG",@progbits,_ZN7rocprim17ROCPRIM_400000_NS6detail17trampoline_kernelINS0_14default_configENS1_25transform_config_selectorIhLb0EEEZNS1_14transform_implILb0ES3_S5_NS0_18transform_iteratorINS0_17counting_iteratorImlEEZNS1_24adjacent_difference_implIS3_Lb1ELb0EPKhPhN6thrust23THRUST_200600_302600_NS4plusIhEEEE10hipError_tPvRmT2_T3_mT4_P12ihipStream_tbEUlmE_hEESD_NS0_8identityIvEEEESI_SL_SM_mSN_SP_bEUlT_E_NS1_11comp_targetILNS1_3genE0ELNS1_11target_archE4294967295ELNS1_3gpuE0ELNS1_3repE0EEENS1_30default_config_static_selectorELNS0_4arch9wavefront6targetE1EEEvT1_,comdat
	.protected	_ZN7rocprim17ROCPRIM_400000_NS6detail17trampoline_kernelINS0_14default_configENS1_25transform_config_selectorIhLb0EEEZNS1_14transform_implILb0ES3_S5_NS0_18transform_iteratorINS0_17counting_iteratorImlEEZNS1_24adjacent_difference_implIS3_Lb1ELb0EPKhPhN6thrust23THRUST_200600_302600_NS4plusIhEEEE10hipError_tPvRmT2_T3_mT4_P12ihipStream_tbEUlmE_hEESD_NS0_8identityIvEEEESI_SL_SM_mSN_SP_bEUlT_E_NS1_11comp_targetILNS1_3genE0ELNS1_11target_archE4294967295ELNS1_3gpuE0ELNS1_3repE0EEENS1_30default_config_static_selectorELNS0_4arch9wavefront6targetE1EEEvT1_ ; -- Begin function _ZN7rocprim17ROCPRIM_400000_NS6detail17trampoline_kernelINS0_14default_configENS1_25transform_config_selectorIhLb0EEEZNS1_14transform_implILb0ES3_S5_NS0_18transform_iteratorINS0_17counting_iteratorImlEEZNS1_24adjacent_difference_implIS3_Lb1ELb0EPKhPhN6thrust23THRUST_200600_302600_NS4plusIhEEEE10hipError_tPvRmT2_T3_mT4_P12ihipStream_tbEUlmE_hEESD_NS0_8identityIvEEEESI_SL_SM_mSN_SP_bEUlT_E_NS1_11comp_targetILNS1_3genE0ELNS1_11target_archE4294967295ELNS1_3gpuE0ELNS1_3repE0EEENS1_30default_config_static_selectorELNS0_4arch9wavefront6targetE1EEEvT1_
	.globl	_ZN7rocprim17ROCPRIM_400000_NS6detail17trampoline_kernelINS0_14default_configENS1_25transform_config_selectorIhLb0EEEZNS1_14transform_implILb0ES3_S5_NS0_18transform_iteratorINS0_17counting_iteratorImlEEZNS1_24adjacent_difference_implIS3_Lb1ELb0EPKhPhN6thrust23THRUST_200600_302600_NS4plusIhEEEE10hipError_tPvRmT2_T3_mT4_P12ihipStream_tbEUlmE_hEESD_NS0_8identityIvEEEESI_SL_SM_mSN_SP_bEUlT_E_NS1_11comp_targetILNS1_3genE0ELNS1_11target_archE4294967295ELNS1_3gpuE0ELNS1_3repE0EEENS1_30default_config_static_selectorELNS0_4arch9wavefront6targetE1EEEvT1_
	.p2align	8
	.type	_ZN7rocprim17ROCPRIM_400000_NS6detail17trampoline_kernelINS0_14default_configENS1_25transform_config_selectorIhLb0EEEZNS1_14transform_implILb0ES3_S5_NS0_18transform_iteratorINS0_17counting_iteratorImlEEZNS1_24adjacent_difference_implIS3_Lb1ELb0EPKhPhN6thrust23THRUST_200600_302600_NS4plusIhEEEE10hipError_tPvRmT2_T3_mT4_P12ihipStream_tbEUlmE_hEESD_NS0_8identityIvEEEESI_SL_SM_mSN_SP_bEUlT_E_NS1_11comp_targetILNS1_3genE0ELNS1_11target_archE4294967295ELNS1_3gpuE0ELNS1_3repE0EEENS1_30default_config_static_selectorELNS0_4arch9wavefront6targetE1EEEvT1_,@function
_ZN7rocprim17ROCPRIM_400000_NS6detail17trampoline_kernelINS0_14default_configENS1_25transform_config_selectorIhLb0EEEZNS1_14transform_implILb0ES3_S5_NS0_18transform_iteratorINS0_17counting_iteratorImlEEZNS1_24adjacent_difference_implIS3_Lb1ELb0EPKhPhN6thrust23THRUST_200600_302600_NS4plusIhEEEE10hipError_tPvRmT2_T3_mT4_P12ihipStream_tbEUlmE_hEESD_NS0_8identityIvEEEESI_SL_SM_mSN_SP_bEUlT_E_NS1_11comp_targetILNS1_3genE0ELNS1_11target_archE4294967295ELNS1_3gpuE0ELNS1_3repE0EEENS1_30default_config_static_selectorELNS0_4arch9wavefront6targetE1EEEvT1_: ; @_ZN7rocprim17ROCPRIM_400000_NS6detail17trampoline_kernelINS0_14default_configENS1_25transform_config_selectorIhLb0EEEZNS1_14transform_implILb0ES3_S5_NS0_18transform_iteratorINS0_17counting_iteratorImlEEZNS1_24adjacent_difference_implIS3_Lb1ELb0EPKhPhN6thrust23THRUST_200600_302600_NS4plusIhEEEE10hipError_tPvRmT2_T3_mT4_P12ihipStream_tbEUlmE_hEESD_NS0_8identityIvEEEESI_SL_SM_mSN_SP_bEUlT_E_NS1_11comp_targetILNS1_3genE0ELNS1_11target_archE4294967295ELNS1_3gpuE0ELNS1_3repE0EEENS1_30default_config_static_selectorELNS0_4arch9wavefront6targetE1EEEvT1_
; %bb.0:
	.section	.rodata,"a",@progbits
	.p2align	6, 0x0
	.amdhsa_kernel _ZN7rocprim17ROCPRIM_400000_NS6detail17trampoline_kernelINS0_14default_configENS1_25transform_config_selectorIhLb0EEEZNS1_14transform_implILb0ES3_S5_NS0_18transform_iteratorINS0_17counting_iteratorImlEEZNS1_24adjacent_difference_implIS3_Lb1ELb0EPKhPhN6thrust23THRUST_200600_302600_NS4plusIhEEEE10hipError_tPvRmT2_T3_mT4_P12ihipStream_tbEUlmE_hEESD_NS0_8identityIvEEEESI_SL_SM_mSN_SP_bEUlT_E_NS1_11comp_targetILNS1_3genE0ELNS1_11target_archE4294967295ELNS1_3gpuE0ELNS1_3repE0EEENS1_30default_config_static_selectorELNS0_4arch9wavefront6targetE1EEEvT1_
		.amdhsa_group_segment_fixed_size 0
		.amdhsa_private_segment_fixed_size 0
		.amdhsa_kernarg_size 56
		.amdhsa_user_sgpr_count 2
		.amdhsa_user_sgpr_dispatch_ptr 0
		.amdhsa_user_sgpr_queue_ptr 0
		.amdhsa_user_sgpr_kernarg_segment_ptr 1
		.amdhsa_user_sgpr_dispatch_id 0
		.amdhsa_user_sgpr_kernarg_preload_length 0
		.amdhsa_user_sgpr_kernarg_preload_offset 0
		.amdhsa_user_sgpr_private_segment_size 0
		.amdhsa_uses_dynamic_stack 0
		.amdhsa_enable_private_segment 0
		.amdhsa_system_sgpr_workgroup_id_x 1
		.amdhsa_system_sgpr_workgroup_id_y 0
		.amdhsa_system_sgpr_workgroup_id_z 0
		.amdhsa_system_sgpr_workgroup_info 0
		.amdhsa_system_vgpr_workitem_id 0
		.amdhsa_next_free_vgpr 1
		.amdhsa_next_free_sgpr 0
		.amdhsa_accum_offset 4
		.amdhsa_reserve_vcc 0
		.amdhsa_float_round_mode_32 0
		.amdhsa_float_round_mode_16_64 0
		.amdhsa_float_denorm_mode_32 3
		.amdhsa_float_denorm_mode_16_64 3
		.amdhsa_dx10_clamp 1
		.amdhsa_ieee_mode 1
		.amdhsa_fp16_overflow 0
		.amdhsa_tg_split 0
		.amdhsa_exception_fp_ieee_invalid_op 0
		.amdhsa_exception_fp_denorm_src 0
		.amdhsa_exception_fp_ieee_div_zero 0
		.amdhsa_exception_fp_ieee_overflow 0
		.amdhsa_exception_fp_ieee_underflow 0
		.amdhsa_exception_fp_ieee_inexact 0
		.amdhsa_exception_int_div_zero 0
	.end_amdhsa_kernel
	.section	.text._ZN7rocprim17ROCPRIM_400000_NS6detail17trampoline_kernelINS0_14default_configENS1_25transform_config_selectorIhLb0EEEZNS1_14transform_implILb0ES3_S5_NS0_18transform_iteratorINS0_17counting_iteratorImlEEZNS1_24adjacent_difference_implIS3_Lb1ELb0EPKhPhN6thrust23THRUST_200600_302600_NS4plusIhEEEE10hipError_tPvRmT2_T3_mT4_P12ihipStream_tbEUlmE_hEESD_NS0_8identityIvEEEESI_SL_SM_mSN_SP_bEUlT_E_NS1_11comp_targetILNS1_3genE0ELNS1_11target_archE4294967295ELNS1_3gpuE0ELNS1_3repE0EEENS1_30default_config_static_selectorELNS0_4arch9wavefront6targetE1EEEvT1_,"axG",@progbits,_ZN7rocprim17ROCPRIM_400000_NS6detail17trampoline_kernelINS0_14default_configENS1_25transform_config_selectorIhLb0EEEZNS1_14transform_implILb0ES3_S5_NS0_18transform_iteratorINS0_17counting_iteratorImlEEZNS1_24adjacent_difference_implIS3_Lb1ELb0EPKhPhN6thrust23THRUST_200600_302600_NS4plusIhEEEE10hipError_tPvRmT2_T3_mT4_P12ihipStream_tbEUlmE_hEESD_NS0_8identityIvEEEESI_SL_SM_mSN_SP_bEUlT_E_NS1_11comp_targetILNS1_3genE0ELNS1_11target_archE4294967295ELNS1_3gpuE0ELNS1_3repE0EEENS1_30default_config_static_selectorELNS0_4arch9wavefront6targetE1EEEvT1_,comdat
.Lfunc_end499:
	.size	_ZN7rocprim17ROCPRIM_400000_NS6detail17trampoline_kernelINS0_14default_configENS1_25transform_config_selectorIhLb0EEEZNS1_14transform_implILb0ES3_S5_NS0_18transform_iteratorINS0_17counting_iteratorImlEEZNS1_24adjacent_difference_implIS3_Lb1ELb0EPKhPhN6thrust23THRUST_200600_302600_NS4plusIhEEEE10hipError_tPvRmT2_T3_mT4_P12ihipStream_tbEUlmE_hEESD_NS0_8identityIvEEEESI_SL_SM_mSN_SP_bEUlT_E_NS1_11comp_targetILNS1_3genE0ELNS1_11target_archE4294967295ELNS1_3gpuE0ELNS1_3repE0EEENS1_30default_config_static_selectorELNS0_4arch9wavefront6targetE1EEEvT1_, .Lfunc_end499-_ZN7rocprim17ROCPRIM_400000_NS6detail17trampoline_kernelINS0_14default_configENS1_25transform_config_selectorIhLb0EEEZNS1_14transform_implILb0ES3_S5_NS0_18transform_iteratorINS0_17counting_iteratorImlEEZNS1_24adjacent_difference_implIS3_Lb1ELb0EPKhPhN6thrust23THRUST_200600_302600_NS4plusIhEEEE10hipError_tPvRmT2_T3_mT4_P12ihipStream_tbEUlmE_hEESD_NS0_8identityIvEEEESI_SL_SM_mSN_SP_bEUlT_E_NS1_11comp_targetILNS1_3genE0ELNS1_11target_archE4294967295ELNS1_3gpuE0ELNS1_3repE0EEENS1_30default_config_static_selectorELNS0_4arch9wavefront6targetE1EEEvT1_
                                        ; -- End function
	.section	.AMDGPU.csdata,"",@progbits
; Kernel info:
; codeLenInByte = 0
; NumSgprs: 6
; NumVgprs: 0
; NumAgprs: 0
; TotalNumVgprs: 0
; ScratchSize: 0
; MemoryBound: 0
; FloatMode: 240
; IeeeMode: 1
; LDSByteSize: 0 bytes/workgroup (compile time only)
; SGPRBlocks: 0
; VGPRBlocks: 0
; NumSGPRsForWavesPerEU: 6
; NumVGPRsForWavesPerEU: 1
; AccumOffset: 4
; Occupancy: 8
; WaveLimiterHint : 0
; COMPUTE_PGM_RSRC2:SCRATCH_EN: 0
; COMPUTE_PGM_RSRC2:USER_SGPR: 2
; COMPUTE_PGM_RSRC2:TRAP_HANDLER: 0
; COMPUTE_PGM_RSRC2:TGID_X_EN: 1
; COMPUTE_PGM_RSRC2:TGID_Y_EN: 0
; COMPUTE_PGM_RSRC2:TGID_Z_EN: 0
; COMPUTE_PGM_RSRC2:TIDIG_COMP_CNT: 0
; COMPUTE_PGM_RSRC3_GFX90A:ACCUM_OFFSET: 0
; COMPUTE_PGM_RSRC3_GFX90A:TG_SPLIT: 0
	.section	.text._ZN7rocprim17ROCPRIM_400000_NS6detail17trampoline_kernelINS0_14default_configENS1_25transform_config_selectorIhLb0EEEZNS1_14transform_implILb0ES3_S5_NS0_18transform_iteratorINS0_17counting_iteratorImlEEZNS1_24adjacent_difference_implIS3_Lb1ELb0EPKhPhN6thrust23THRUST_200600_302600_NS4plusIhEEEE10hipError_tPvRmT2_T3_mT4_P12ihipStream_tbEUlmE_hEESD_NS0_8identityIvEEEESI_SL_SM_mSN_SP_bEUlT_E_NS1_11comp_targetILNS1_3genE5ELNS1_11target_archE942ELNS1_3gpuE9ELNS1_3repE0EEENS1_30default_config_static_selectorELNS0_4arch9wavefront6targetE1EEEvT1_,"axG",@progbits,_ZN7rocprim17ROCPRIM_400000_NS6detail17trampoline_kernelINS0_14default_configENS1_25transform_config_selectorIhLb0EEEZNS1_14transform_implILb0ES3_S5_NS0_18transform_iteratorINS0_17counting_iteratorImlEEZNS1_24adjacent_difference_implIS3_Lb1ELb0EPKhPhN6thrust23THRUST_200600_302600_NS4plusIhEEEE10hipError_tPvRmT2_T3_mT4_P12ihipStream_tbEUlmE_hEESD_NS0_8identityIvEEEESI_SL_SM_mSN_SP_bEUlT_E_NS1_11comp_targetILNS1_3genE5ELNS1_11target_archE942ELNS1_3gpuE9ELNS1_3repE0EEENS1_30default_config_static_selectorELNS0_4arch9wavefront6targetE1EEEvT1_,comdat
	.protected	_ZN7rocprim17ROCPRIM_400000_NS6detail17trampoline_kernelINS0_14default_configENS1_25transform_config_selectorIhLb0EEEZNS1_14transform_implILb0ES3_S5_NS0_18transform_iteratorINS0_17counting_iteratorImlEEZNS1_24adjacent_difference_implIS3_Lb1ELb0EPKhPhN6thrust23THRUST_200600_302600_NS4plusIhEEEE10hipError_tPvRmT2_T3_mT4_P12ihipStream_tbEUlmE_hEESD_NS0_8identityIvEEEESI_SL_SM_mSN_SP_bEUlT_E_NS1_11comp_targetILNS1_3genE5ELNS1_11target_archE942ELNS1_3gpuE9ELNS1_3repE0EEENS1_30default_config_static_selectorELNS0_4arch9wavefront6targetE1EEEvT1_ ; -- Begin function _ZN7rocprim17ROCPRIM_400000_NS6detail17trampoline_kernelINS0_14default_configENS1_25transform_config_selectorIhLb0EEEZNS1_14transform_implILb0ES3_S5_NS0_18transform_iteratorINS0_17counting_iteratorImlEEZNS1_24adjacent_difference_implIS3_Lb1ELb0EPKhPhN6thrust23THRUST_200600_302600_NS4plusIhEEEE10hipError_tPvRmT2_T3_mT4_P12ihipStream_tbEUlmE_hEESD_NS0_8identityIvEEEESI_SL_SM_mSN_SP_bEUlT_E_NS1_11comp_targetILNS1_3genE5ELNS1_11target_archE942ELNS1_3gpuE9ELNS1_3repE0EEENS1_30default_config_static_selectorELNS0_4arch9wavefront6targetE1EEEvT1_
	.globl	_ZN7rocprim17ROCPRIM_400000_NS6detail17trampoline_kernelINS0_14default_configENS1_25transform_config_selectorIhLb0EEEZNS1_14transform_implILb0ES3_S5_NS0_18transform_iteratorINS0_17counting_iteratorImlEEZNS1_24adjacent_difference_implIS3_Lb1ELb0EPKhPhN6thrust23THRUST_200600_302600_NS4plusIhEEEE10hipError_tPvRmT2_T3_mT4_P12ihipStream_tbEUlmE_hEESD_NS0_8identityIvEEEESI_SL_SM_mSN_SP_bEUlT_E_NS1_11comp_targetILNS1_3genE5ELNS1_11target_archE942ELNS1_3gpuE9ELNS1_3repE0EEENS1_30default_config_static_selectorELNS0_4arch9wavefront6targetE1EEEvT1_
	.p2align	8
	.type	_ZN7rocprim17ROCPRIM_400000_NS6detail17trampoline_kernelINS0_14default_configENS1_25transform_config_selectorIhLb0EEEZNS1_14transform_implILb0ES3_S5_NS0_18transform_iteratorINS0_17counting_iteratorImlEEZNS1_24adjacent_difference_implIS3_Lb1ELb0EPKhPhN6thrust23THRUST_200600_302600_NS4plusIhEEEE10hipError_tPvRmT2_T3_mT4_P12ihipStream_tbEUlmE_hEESD_NS0_8identityIvEEEESI_SL_SM_mSN_SP_bEUlT_E_NS1_11comp_targetILNS1_3genE5ELNS1_11target_archE942ELNS1_3gpuE9ELNS1_3repE0EEENS1_30default_config_static_selectorELNS0_4arch9wavefront6targetE1EEEvT1_,@function
_ZN7rocprim17ROCPRIM_400000_NS6detail17trampoline_kernelINS0_14default_configENS1_25transform_config_selectorIhLb0EEEZNS1_14transform_implILb0ES3_S5_NS0_18transform_iteratorINS0_17counting_iteratorImlEEZNS1_24adjacent_difference_implIS3_Lb1ELb0EPKhPhN6thrust23THRUST_200600_302600_NS4plusIhEEEE10hipError_tPvRmT2_T3_mT4_P12ihipStream_tbEUlmE_hEESD_NS0_8identityIvEEEESI_SL_SM_mSN_SP_bEUlT_E_NS1_11comp_targetILNS1_3genE5ELNS1_11target_archE942ELNS1_3gpuE9ELNS1_3repE0EEENS1_30default_config_static_selectorELNS0_4arch9wavefront6targetE1EEEvT1_: ; @_ZN7rocprim17ROCPRIM_400000_NS6detail17trampoline_kernelINS0_14default_configENS1_25transform_config_selectorIhLb0EEEZNS1_14transform_implILb0ES3_S5_NS0_18transform_iteratorINS0_17counting_iteratorImlEEZNS1_24adjacent_difference_implIS3_Lb1ELb0EPKhPhN6thrust23THRUST_200600_302600_NS4plusIhEEEE10hipError_tPvRmT2_T3_mT4_P12ihipStream_tbEUlmE_hEESD_NS0_8identityIvEEEESI_SL_SM_mSN_SP_bEUlT_E_NS1_11comp_targetILNS1_3genE5ELNS1_11target_archE942ELNS1_3gpuE9ELNS1_3repE0EEENS1_30default_config_static_selectorELNS0_4arch9wavefront6targetE1EEEvT1_
; %bb.0:
	s_load_dwordx4 s[4:7], s[0:1], 0x18
	s_load_dwordx2 s[8:9], s[0:1], 0x28
	s_load_dword s3, s[0:1], 0x38
	s_load_dwordx4 s[12:15], s[0:1], 0x0
	s_load_dword s18, s[0:1], 0x10
	s_mov_b32 s19, 0
	s_waitcnt lgkmcnt(0)
	s_add_u32 s24, s8, s4
	s_addc_u32 s25, s9, s5
	s_lshl_b32 s26, s2, 13
	s_add_i32 s3, s3, -1
	s_add_u32 s0, s12, s26
	s_addc_u32 s1, s13, 0
	s_add_u32 s20, s0, s4
	s_addc_u32 s21, s1, s5
	s_cmp_lg_u32 s2, s3
	s_cbranch_scc0 .LBB500_2
; %bb.1:
	v_mov_b32_e32 v1, 0
	v_lshl_add_u64 v[2:3], s[20:21], 0, v[0:1]
	v_mov_b64_e32 v[4:5], s[14:15]
	v_mad_u64_u32 v[4:5], s[0:1], v2, s18, v[4:5]
	v_mov_b32_e32 v2, v5
	v_mad_u64_u32 v[2:3], s[0:1], v3, s18, v[2:3]
	v_mov_b32_e32 v5, v2
	s_lshl_b64 s[0:1], s[18:19], 10
	v_lshl_add_u64 v[2:3], v[4:5], 0, s[0:1]
	global_load_ubyte v10, v[4:5], off
	v_lshl_add_u64 v[4:5], v[2:3], 0, s[0:1]
	v_lshl_add_u64 v[6:7], v[4:5], 0, s[0:1]
	;; [unrolled: 1-line block ×3, first 2 shown]
	global_load_ubyte v11, v[2:3], off
	global_load_ubyte v12, v[4:5], off
	global_load_ubyte v13, v[6:7], off
	global_load_ubyte v14, v[8:9], off
	v_lshl_add_u64 v[2:3], v[8:9], 0, s[0:1]
	global_load_ubyte v4, v[2:3], off
	v_lshl_add_u64 v[2:3], v[2:3], 0, s[0:1]
	global_load_ubyte v8, v[2:3], off
	;; [unrolled: 2-line block ×3, first 2 shown]
	s_add_u32 s2, s24, s26
	s_addc_u32 s3, s25, 0
	v_lshl_add_u64 v[2:3], s[2:3], 0, v[0:1]
	v_add_co_u32_e32 v6, vcc, 0x1000, v2
	s_nop 1
	v_addc_co_u32_e32 v7, vcc, 0, v3, vcc
	s_mov_b64 s[16:17], -1
	s_waitcnt vmcnt(7)
	global_store_byte v0, v10, s[2:3]
	s_waitcnt vmcnt(7)
	global_store_byte v0, v11, s[2:3] offset:1024
	s_waitcnt vmcnt(7)
	global_store_byte v0, v12, s[2:3] offset:2048
	;; [unrolled: 2-line block ×3, first 2 shown]
	s_waitcnt vmcnt(7)
	global_store_byte v[6:7], v14, off
	s_waitcnt vmcnt(7)
	global_store_byte v[6:7], v4, off offset:1024
	s_waitcnt vmcnt(7)
	global_store_byte v[6:7], v8, off offset:2048
	s_cbranch_execz .LBB500_3
	s_branch .LBB500_36
.LBB500_2:
	s_mov_b64 s[16:17], 0
                                        ; implicit-def: $vgpr5
                                        ; implicit-def: $vgpr2_vgpr3
.LBB500_3:
	s_sub_i32 s19, s6, s26
	v_cmp_gt_u32_e32 vcc, s19, v0
                                        ; implicit-def: $vgpr1
	s_and_saveexec_b64 s[0:1], vcc
	s_cbranch_execz .LBB500_5
; %bb.4:
	v_mov_b32_e32 v1, 0
	v_lshl_add_u64 v[2:3], s[20:21], 0, v[0:1]
	s_waitcnt vmcnt(7)
	v_mov_b64_e32 v[4:5], s[14:15]
	v_mad_u64_u32 v[4:5], s[2:3], v2, s18, v[4:5]
	v_mov_b32_e32 v2, v5
	v_mad_u64_u32 v[2:3], s[2:3], v3, s18, v[2:3]
	v_mov_b32_e32 v5, v2
	global_load_ubyte v1, v[4:5], off
.LBB500_5:
	s_or_b64 exec, exec, s[0:1]
	v_or_b32_e32 v2, 0x400, v0
	v_cmp_gt_u32_e64 s[0:1], s19, v2
                                        ; implicit-def: $vgpr4
	s_and_saveexec_b64 s[2:3], s[0:1]
	s_cbranch_execz .LBB500_7
; %bb.6:
	v_mov_b32_e32 v3, 0
	v_lshl_add_u64 v[2:3], s[20:21], 0, v[2:3]
	s_waitcnt vmcnt(7)
	v_mov_b64_e32 v[4:5], s[14:15]
	v_mad_u64_u32 v[4:5], s[4:5], v2, s18, v[4:5]
	v_mov_b32_e32 v2, v5
	v_mad_u64_u32 v[2:3], s[4:5], v3, s18, v[2:3]
	v_mov_b32_e32 v5, v2
	global_load_ubyte v4, v[4:5], off
.LBB500_7:
	s_or_b64 exec, exec, s[2:3]
	v_or_b32_e32 v2, 0x800, v0
	v_cmp_gt_u32_e64 s[2:3], s19, v2
                                        ; implicit-def: $vgpr5
	s_and_saveexec_b64 s[4:5], s[2:3]
	s_cbranch_execz .LBB500_9
; %bb.8:
	v_mov_b32_e32 v3, 0
	v_lshl_add_u64 v[2:3], s[20:21], 0, v[2:3]
	v_mov_b64_e32 v[6:7], s[14:15]
	v_mad_u64_u32 v[6:7], s[6:7], v2, s18, v[6:7]
	v_mov_b32_e32 v2, v7
	v_mad_u64_u32 v[2:3], s[6:7], v3, s18, v[2:3]
	v_mov_b32_e32 v7, v2
	global_load_ubyte v5, v[6:7], off
.LBB500_9:
	s_or_b64 exec, exec, s[4:5]
	v_or_b32_e32 v2, 0xc00, v0
	v_cmp_gt_u32_e64 s[4:5], s19, v2
                                        ; implicit-def: $vgpr6
	s_and_saveexec_b64 s[6:7], s[4:5]
	s_cbranch_execz .LBB500_11
; %bb.10:
	v_mov_b32_e32 v3, 0
	v_lshl_add_u64 v[2:3], s[20:21], 0, v[2:3]
	v_mov_b64_e32 v[6:7], s[14:15]
	v_mad_u64_u32 v[6:7], s[8:9], v2, s18, v[6:7]
	v_mov_b32_e32 v2, v7
	v_mad_u64_u32 v[2:3], s[8:9], v3, s18, v[2:3]
	v_mov_b32_e32 v7, v2
	global_load_ubyte v6, v[6:7], off
.LBB500_11:
	s_or_b64 exec, exec, s[6:7]
	v_or_b32_e32 v2, 0x1000, v0
	v_cmp_gt_u32_e64 s[6:7], s19, v2
                                        ; implicit-def: $vgpr7
	s_and_saveexec_b64 s[8:9], s[6:7]
	s_cbranch_execz .LBB500_13
; %bb.12:
	v_mov_b32_e32 v3, 0
	v_lshl_add_u64 v[2:3], s[20:21], 0, v[2:3]
	v_mov_b64_e32 v[8:9], s[14:15]
	v_mad_u64_u32 v[8:9], s[10:11], v2, s18, v[8:9]
	v_mov_b32_e32 v2, v9
	v_mad_u64_u32 v[2:3], s[10:11], v3, s18, v[2:3]
	v_mov_b32_e32 v9, v2
	global_load_ubyte v7, v[8:9], off
.LBB500_13:
	s_or_b64 exec, exec, s[8:9]
	v_or_b32_e32 v2, 0x1400, v0
	v_cmp_gt_u32_e64 s[8:9], s19, v2
                                        ; implicit-def: $vgpr8
	s_and_saveexec_b64 s[10:11], s[8:9]
	s_cbranch_execz .LBB500_15
; %bb.14:
	v_mov_b32_e32 v3, 0
	v_lshl_add_u64 v[2:3], s[20:21], 0, v[2:3]
	v_mov_b64_e32 v[8:9], s[14:15]
	v_mad_u64_u32 v[8:9], s[12:13], v2, s18, v[8:9]
	v_mov_b32_e32 v2, v9
	v_mad_u64_u32 v[2:3], s[12:13], v3, s18, v[2:3]
	v_mov_b32_e32 v9, v2
	global_load_ubyte v8, v[8:9], off
.LBB500_15:
	s_or_b64 exec, exec, s[10:11]
	v_or_b32_e32 v2, 0x1800, v0
	v_cmp_gt_u32_e64 s[10:11], s19, v2
                                        ; implicit-def: $vgpr9
	s_and_saveexec_b64 s[12:13], s[10:11]
	s_cbranch_execz .LBB500_17
; %bb.16:
	v_mov_b32_e32 v3, 0
	v_lshl_add_u64 v[2:3], s[20:21], 0, v[2:3]
	v_mov_b64_e32 v[10:11], s[14:15]
	v_mad_u64_u32 v[10:11], s[22:23], v2, s18, v[10:11]
	v_mov_b32_e32 v2, v11
	v_mad_u64_u32 v[2:3], s[22:23], v3, s18, v[2:3]
	v_mov_b32_e32 v11, v2
	global_load_ubyte v9, v[10:11], off
.LBB500_17:
	s_or_b64 exec, exec, s[12:13]
	v_or_b32_e32 v2, 0x1c00, v0
	v_cmp_gt_u32_e64 s[12:13], s19, v2
                                        ; implicit-def: $vgpr3
	s_and_saveexec_b64 s[22:23], s[12:13]
	s_cbranch_execz .LBB500_19
; %bb.18:
	v_mov_b32_e32 v3, 0
	v_lshl_add_u64 v[2:3], s[20:21], 0, v[2:3]
	v_mov_b64_e32 v[10:11], s[14:15]
	v_mad_u64_u32 v[10:11], s[14:15], v2, s18, v[10:11]
	v_mov_b32_e32 v2, v11
	v_mad_u64_u32 v[2:3], s[14:15], v3, s18, v[2:3]
	v_mov_b32_e32 v11, v2
	global_load_ubyte v3, v[10:11], off
.LBB500_19:
	s_or_b64 exec, exec, s[22:23]
	s_waitcnt vmcnt(0)
	v_lshlrev_b16_e32 v2, 8, v4
	v_or_b32_sdwa v1, v1, v2 dst_sel:DWORD dst_unused:UNUSED_PAD src0_sel:BYTE_0 src1_sel:DWORD
	v_lshlrev_b16_e32 v2, 8, v6
	v_or_b32_sdwa v2, v5, v2 dst_sel:WORD_1 dst_unused:UNUSED_PAD src0_sel:BYTE_0 src1_sel:DWORD
	s_add_u32 s14, s24, s26
	v_or_b32_sdwa v5, v1, v2 dst_sel:DWORD dst_unused:UNUSED_PAD src0_sel:WORD_0 src1_sel:DWORD
	v_lshlrev_b16_e32 v1, 8, v8
	v_lshlrev_b16_e32 v2, 8, v3
	v_or_b32_sdwa v1, v7, v1 dst_sel:DWORD dst_unused:UNUSED_PAD src0_sel:BYTE_0 src1_sel:DWORD
	v_or_b32_sdwa v2, v9, v2 dst_sel:WORD_1 dst_unused:UNUSED_PAD src0_sel:BYTE_0 src1_sel:DWORD
	s_addc_u32 s15, s25, 0
	v_or_b32_sdwa v4, v1, v2 dst_sel:DWORD dst_unused:UNUSED_PAD src0_sel:WORD_0 src1_sel:DWORD
	v_mov_b32_e32 v1, 0
	v_lshl_add_u64 v[2:3], s[14:15], 0, v[0:1]
	s_and_saveexec_b64 s[14:15], vcc
	s_cbranch_execz .LBB500_21
; %bb.20:
	global_store_byte v[2:3], v5, off
.LBB500_21:
	s_or_b64 exec, exec, s[14:15]
	s_and_saveexec_b64 s[14:15], s[0:1]
	s_cbranch_execz .LBB500_23
; %bb.22:
	v_lshrrev_b32_e32 v0, 8, v5
	global_store_byte v[2:3], v0, off offset:1024
.LBB500_23:
	s_or_b64 exec, exec, s[14:15]
	s_mov_b32 s0, 0x7060104
	v_perm_b32 v0, v5, v5, s0
	s_movk_i32 s15, 0xff
	s_mov_b32 s14, 0xffff
	v_cndmask_b32_e64 v1, v0, v5, s[2:3]
	s_and_saveexec_b64 s[0:1], s[2:3]
	s_cbranch_execz .LBB500_25
; %bb.24:
	global_store_byte_d16_hi v[2:3], v1, off offset:2048
.LBB500_25:
	s_or_b64 exec, exec, s[0:1]
	s_movk_i32 s0, 0xff00
	v_and_b32_sdwa v6, v0, s0 dst_sel:DWORD dst_unused:UNUSED_PAD src0_sel:WORD_1 src1_sel:DWORD
	v_and_b32_sdwa v1, v1, s15 dst_sel:DWORD dst_unused:UNUSED_PAD src0_sel:WORD_1 src1_sel:DWORD
	v_or_b32_sdwa v1, v1, v6 dst_sel:WORD_1 dst_unused:UNUSED_PAD src0_sel:DWORD src1_sel:DWORD
	s_nop 0
	v_and_or_b32 v0, v0, s14, v1
	v_cndmask_b32_e64 v0, v0, v5, s[4:5]
	s_and_saveexec_b64 s[0:1], s[4:5]
	s_cbranch_execz .LBB500_27
; %bb.26:
	v_lshrrev_b32_e32 v0, 24, v0
	global_store_byte v[2:3], v0, off offset:3072
.LBB500_27:
	s_or_b64 exec, exec, s[0:1]
	s_and_saveexec_b64 s[0:1], s[6:7]
	s_cbranch_execz .LBB500_29
; %bb.28:
	v_add_co_u32_e32 v0, vcc, 0x1000, v2
	s_nop 1
	v_addc_co_u32_e32 v1, vcc, 0, v3, vcc
	global_store_byte v[0:1], v4, off
.LBB500_29:
	s_or_b64 exec, exec, s[0:1]
	s_mov_b32 s0, 0x3020104
	v_perm_b32 v1, v4, v4, s0
	v_cndmask_b32_e64 v0, v1, v4, s[8:9]
	s_and_saveexec_b64 s[0:1], s[8:9]
	s_cbranch_execz .LBB500_31
; %bb.30:
	v_add_co_u32_e32 v6, vcc, 0x1000, v2
	v_lshrrev_b32_e32 v5, 8, v0
	s_nop 0
	v_addc_co_u32_e32 v7, vcc, 0, v3, vcc
	global_store_byte v[6:7], v5, off offset:1024
.LBB500_31:
	s_or_b64 exec, exec, s[0:1]
	s_mov_b32 s0, 0x7060104
	v_perm_b32 v0, v1, v0, s0
	s_and_saveexec_b64 s[0:1], s[10:11]
	s_cbranch_execz .LBB500_33
; %bb.32:
	v_add_co_u32_e32 v6, vcc, 0x1000, v2
	v_cndmask_b32_e64 v1, v0, v4, s[10:11]
	s_nop 0
	v_addc_co_u32_e32 v7, vcc, 0, v3, vcc
	global_store_byte_d16_hi v[6:7], v1, off offset:2048
.LBB500_33:
	s_or_b64 exec, exec, s[0:1]
                                        ; implicit-def: $vgpr5
	s_and_saveexec_b64 s[0:1], s[12:13]
; %bb.34:
	v_cndmask_b32_e64 v0, v0, v4, s[12:13]
	v_lshrrev_b32_e32 v5, 24, v0
	s_or_b64 s[16:17], s[16:17], exec
; %bb.35:
	s_or_b64 exec, exec, s[0:1]
.LBB500_36:
	s_and_saveexec_b64 s[0:1], s[16:17]
	s_cbranch_execnz .LBB500_38
; %bb.37:
	s_endpgm
.LBB500_38:
	v_add_co_u32_e32 v0, vcc, 0x1000, v2
	s_nop 1
	v_addc_co_u32_e32 v1, vcc, 0, v3, vcc
	s_waitcnt vmcnt(7)
	global_store_byte v[0:1], v5, off offset:3072
	s_endpgm
	.section	.rodata,"a",@progbits
	.p2align	6, 0x0
	.amdhsa_kernel _ZN7rocprim17ROCPRIM_400000_NS6detail17trampoline_kernelINS0_14default_configENS1_25transform_config_selectorIhLb0EEEZNS1_14transform_implILb0ES3_S5_NS0_18transform_iteratorINS0_17counting_iteratorImlEEZNS1_24adjacent_difference_implIS3_Lb1ELb0EPKhPhN6thrust23THRUST_200600_302600_NS4plusIhEEEE10hipError_tPvRmT2_T3_mT4_P12ihipStream_tbEUlmE_hEESD_NS0_8identityIvEEEESI_SL_SM_mSN_SP_bEUlT_E_NS1_11comp_targetILNS1_3genE5ELNS1_11target_archE942ELNS1_3gpuE9ELNS1_3repE0EEENS1_30default_config_static_selectorELNS0_4arch9wavefront6targetE1EEEvT1_
		.amdhsa_group_segment_fixed_size 0
		.amdhsa_private_segment_fixed_size 0
		.amdhsa_kernarg_size 312
		.amdhsa_user_sgpr_count 2
		.amdhsa_user_sgpr_dispatch_ptr 0
		.amdhsa_user_sgpr_queue_ptr 0
		.amdhsa_user_sgpr_kernarg_segment_ptr 1
		.amdhsa_user_sgpr_dispatch_id 0
		.amdhsa_user_sgpr_kernarg_preload_length 0
		.amdhsa_user_sgpr_kernarg_preload_offset 0
		.amdhsa_user_sgpr_private_segment_size 0
		.amdhsa_uses_dynamic_stack 0
		.amdhsa_enable_private_segment 0
		.amdhsa_system_sgpr_workgroup_id_x 1
		.amdhsa_system_sgpr_workgroup_id_y 0
		.amdhsa_system_sgpr_workgroup_id_z 0
		.amdhsa_system_sgpr_workgroup_info 0
		.amdhsa_system_vgpr_workitem_id 0
		.amdhsa_next_free_vgpr 15
		.amdhsa_next_free_sgpr 27
		.amdhsa_accum_offset 16
		.amdhsa_reserve_vcc 1
		.amdhsa_float_round_mode_32 0
		.amdhsa_float_round_mode_16_64 0
		.amdhsa_float_denorm_mode_32 3
		.amdhsa_float_denorm_mode_16_64 3
		.amdhsa_dx10_clamp 1
		.amdhsa_ieee_mode 1
		.amdhsa_fp16_overflow 0
		.amdhsa_tg_split 0
		.amdhsa_exception_fp_ieee_invalid_op 0
		.amdhsa_exception_fp_denorm_src 0
		.amdhsa_exception_fp_ieee_div_zero 0
		.amdhsa_exception_fp_ieee_overflow 0
		.amdhsa_exception_fp_ieee_underflow 0
		.amdhsa_exception_fp_ieee_inexact 0
		.amdhsa_exception_int_div_zero 0
	.end_amdhsa_kernel
	.section	.text._ZN7rocprim17ROCPRIM_400000_NS6detail17trampoline_kernelINS0_14default_configENS1_25transform_config_selectorIhLb0EEEZNS1_14transform_implILb0ES3_S5_NS0_18transform_iteratorINS0_17counting_iteratorImlEEZNS1_24adjacent_difference_implIS3_Lb1ELb0EPKhPhN6thrust23THRUST_200600_302600_NS4plusIhEEEE10hipError_tPvRmT2_T3_mT4_P12ihipStream_tbEUlmE_hEESD_NS0_8identityIvEEEESI_SL_SM_mSN_SP_bEUlT_E_NS1_11comp_targetILNS1_3genE5ELNS1_11target_archE942ELNS1_3gpuE9ELNS1_3repE0EEENS1_30default_config_static_selectorELNS0_4arch9wavefront6targetE1EEEvT1_,"axG",@progbits,_ZN7rocprim17ROCPRIM_400000_NS6detail17trampoline_kernelINS0_14default_configENS1_25transform_config_selectorIhLb0EEEZNS1_14transform_implILb0ES3_S5_NS0_18transform_iteratorINS0_17counting_iteratorImlEEZNS1_24adjacent_difference_implIS3_Lb1ELb0EPKhPhN6thrust23THRUST_200600_302600_NS4plusIhEEEE10hipError_tPvRmT2_T3_mT4_P12ihipStream_tbEUlmE_hEESD_NS0_8identityIvEEEESI_SL_SM_mSN_SP_bEUlT_E_NS1_11comp_targetILNS1_3genE5ELNS1_11target_archE942ELNS1_3gpuE9ELNS1_3repE0EEENS1_30default_config_static_selectorELNS0_4arch9wavefront6targetE1EEEvT1_,comdat
.Lfunc_end500:
	.size	_ZN7rocprim17ROCPRIM_400000_NS6detail17trampoline_kernelINS0_14default_configENS1_25transform_config_selectorIhLb0EEEZNS1_14transform_implILb0ES3_S5_NS0_18transform_iteratorINS0_17counting_iteratorImlEEZNS1_24adjacent_difference_implIS3_Lb1ELb0EPKhPhN6thrust23THRUST_200600_302600_NS4plusIhEEEE10hipError_tPvRmT2_T3_mT4_P12ihipStream_tbEUlmE_hEESD_NS0_8identityIvEEEESI_SL_SM_mSN_SP_bEUlT_E_NS1_11comp_targetILNS1_3genE5ELNS1_11target_archE942ELNS1_3gpuE9ELNS1_3repE0EEENS1_30default_config_static_selectorELNS0_4arch9wavefront6targetE1EEEvT1_, .Lfunc_end500-_ZN7rocprim17ROCPRIM_400000_NS6detail17trampoline_kernelINS0_14default_configENS1_25transform_config_selectorIhLb0EEEZNS1_14transform_implILb0ES3_S5_NS0_18transform_iteratorINS0_17counting_iteratorImlEEZNS1_24adjacent_difference_implIS3_Lb1ELb0EPKhPhN6thrust23THRUST_200600_302600_NS4plusIhEEEE10hipError_tPvRmT2_T3_mT4_P12ihipStream_tbEUlmE_hEESD_NS0_8identityIvEEEESI_SL_SM_mSN_SP_bEUlT_E_NS1_11comp_targetILNS1_3genE5ELNS1_11target_archE942ELNS1_3gpuE9ELNS1_3repE0EEENS1_30default_config_static_selectorELNS0_4arch9wavefront6targetE1EEEvT1_
                                        ; -- End function
	.section	.AMDGPU.csdata,"",@progbits
; Kernel info:
; codeLenInByte = 1480
; NumSgprs: 33
; NumVgprs: 15
; NumAgprs: 0
; TotalNumVgprs: 15
; ScratchSize: 0
; MemoryBound: 0
; FloatMode: 240
; IeeeMode: 1
; LDSByteSize: 0 bytes/workgroup (compile time only)
; SGPRBlocks: 4
; VGPRBlocks: 1
; NumSGPRsForWavesPerEU: 33
; NumVGPRsForWavesPerEU: 15
; AccumOffset: 16
; Occupancy: 8
; WaveLimiterHint : 1
; COMPUTE_PGM_RSRC2:SCRATCH_EN: 0
; COMPUTE_PGM_RSRC2:USER_SGPR: 2
; COMPUTE_PGM_RSRC2:TRAP_HANDLER: 0
; COMPUTE_PGM_RSRC2:TGID_X_EN: 1
; COMPUTE_PGM_RSRC2:TGID_Y_EN: 0
; COMPUTE_PGM_RSRC2:TGID_Z_EN: 0
; COMPUTE_PGM_RSRC2:TIDIG_COMP_CNT: 0
; COMPUTE_PGM_RSRC3_GFX90A:ACCUM_OFFSET: 3
; COMPUTE_PGM_RSRC3_GFX90A:TG_SPLIT: 0
	.section	.text._ZN7rocprim17ROCPRIM_400000_NS6detail17trampoline_kernelINS0_14default_configENS1_25transform_config_selectorIhLb0EEEZNS1_14transform_implILb0ES3_S5_NS0_18transform_iteratorINS0_17counting_iteratorImlEEZNS1_24adjacent_difference_implIS3_Lb1ELb0EPKhPhN6thrust23THRUST_200600_302600_NS4plusIhEEEE10hipError_tPvRmT2_T3_mT4_P12ihipStream_tbEUlmE_hEESD_NS0_8identityIvEEEESI_SL_SM_mSN_SP_bEUlT_E_NS1_11comp_targetILNS1_3genE4ELNS1_11target_archE910ELNS1_3gpuE8ELNS1_3repE0EEENS1_30default_config_static_selectorELNS0_4arch9wavefront6targetE1EEEvT1_,"axG",@progbits,_ZN7rocprim17ROCPRIM_400000_NS6detail17trampoline_kernelINS0_14default_configENS1_25transform_config_selectorIhLb0EEEZNS1_14transform_implILb0ES3_S5_NS0_18transform_iteratorINS0_17counting_iteratorImlEEZNS1_24adjacent_difference_implIS3_Lb1ELb0EPKhPhN6thrust23THRUST_200600_302600_NS4plusIhEEEE10hipError_tPvRmT2_T3_mT4_P12ihipStream_tbEUlmE_hEESD_NS0_8identityIvEEEESI_SL_SM_mSN_SP_bEUlT_E_NS1_11comp_targetILNS1_3genE4ELNS1_11target_archE910ELNS1_3gpuE8ELNS1_3repE0EEENS1_30default_config_static_selectorELNS0_4arch9wavefront6targetE1EEEvT1_,comdat
	.protected	_ZN7rocprim17ROCPRIM_400000_NS6detail17trampoline_kernelINS0_14default_configENS1_25transform_config_selectorIhLb0EEEZNS1_14transform_implILb0ES3_S5_NS0_18transform_iteratorINS0_17counting_iteratorImlEEZNS1_24adjacent_difference_implIS3_Lb1ELb0EPKhPhN6thrust23THRUST_200600_302600_NS4plusIhEEEE10hipError_tPvRmT2_T3_mT4_P12ihipStream_tbEUlmE_hEESD_NS0_8identityIvEEEESI_SL_SM_mSN_SP_bEUlT_E_NS1_11comp_targetILNS1_3genE4ELNS1_11target_archE910ELNS1_3gpuE8ELNS1_3repE0EEENS1_30default_config_static_selectorELNS0_4arch9wavefront6targetE1EEEvT1_ ; -- Begin function _ZN7rocprim17ROCPRIM_400000_NS6detail17trampoline_kernelINS0_14default_configENS1_25transform_config_selectorIhLb0EEEZNS1_14transform_implILb0ES3_S5_NS0_18transform_iteratorINS0_17counting_iteratorImlEEZNS1_24adjacent_difference_implIS3_Lb1ELb0EPKhPhN6thrust23THRUST_200600_302600_NS4plusIhEEEE10hipError_tPvRmT2_T3_mT4_P12ihipStream_tbEUlmE_hEESD_NS0_8identityIvEEEESI_SL_SM_mSN_SP_bEUlT_E_NS1_11comp_targetILNS1_3genE4ELNS1_11target_archE910ELNS1_3gpuE8ELNS1_3repE0EEENS1_30default_config_static_selectorELNS0_4arch9wavefront6targetE1EEEvT1_
	.globl	_ZN7rocprim17ROCPRIM_400000_NS6detail17trampoline_kernelINS0_14default_configENS1_25transform_config_selectorIhLb0EEEZNS1_14transform_implILb0ES3_S5_NS0_18transform_iteratorINS0_17counting_iteratorImlEEZNS1_24adjacent_difference_implIS3_Lb1ELb0EPKhPhN6thrust23THRUST_200600_302600_NS4plusIhEEEE10hipError_tPvRmT2_T3_mT4_P12ihipStream_tbEUlmE_hEESD_NS0_8identityIvEEEESI_SL_SM_mSN_SP_bEUlT_E_NS1_11comp_targetILNS1_3genE4ELNS1_11target_archE910ELNS1_3gpuE8ELNS1_3repE0EEENS1_30default_config_static_selectorELNS0_4arch9wavefront6targetE1EEEvT1_
	.p2align	8
	.type	_ZN7rocprim17ROCPRIM_400000_NS6detail17trampoline_kernelINS0_14default_configENS1_25transform_config_selectorIhLb0EEEZNS1_14transform_implILb0ES3_S5_NS0_18transform_iteratorINS0_17counting_iteratorImlEEZNS1_24adjacent_difference_implIS3_Lb1ELb0EPKhPhN6thrust23THRUST_200600_302600_NS4plusIhEEEE10hipError_tPvRmT2_T3_mT4_P12ihipStream_tbEUlmE_hEESD_NS0_8identityIvEEEESI_SL_SM_mSN_SP_bEUlT_E_NS1_11comp_targetILNS1_3genE4ELNS1_11target_archE910ELNS1_3gpuE8ELNS1_3repE0EEENS1_30default_config_static_selectorELNS0_4arch9wavefront6targetE1EEEvT1_,@function
_ZN7rocprim17ROCPRIM_400000_NS6detail17trampoline_kernelINS0_14default_configENS1_25transform_config_selectorIhLb0EEEZNS1_14transform_implILb0ES3_S5_NS0_18transform_iteratorINS0_17counting_iteratorImlEEZNS1_24adjacent_difference_implIS3_Lb1ELb0EPKhPhN6thrust23THRUST_200600_302600_NS4plusIhEEEE10hipError_tPvRmT2_T3_mT4_P12ihipStream_tbEUlmE_hEESD_NS0_8identityIvEEEESI_SL_SM_mSN_SP_bEUlT_E_NS1_11comp_targetILNS1_3genE4ELNS1_11target_archE910ELNS1_3gpuE8ELNS1_3repE0EEENS1_30default_config_static_selectorELNS0_4arch9wavefront6targetE1EEEvT1_: ; @_ZN7rocprim17ROCPRIM_400000_NS6detail17trampoline_kernelINS0_14default_configENS1_25transform_config_selectorIhLb0EEEZNS1_14transform_implILb0ES3_S5_NS0_18transform_iteratorINS0_17counting_iteratorImlEEZNS1_24adjacent_difference_implIS3_Lb1ELb0EPKhPhN6thrust23THRUST_200600_302600_NS4plusIhEEEE10hipError_tPvRmT2_T3_mT4_P12ihipStream_tbEUlmE_hEESD_NS0_8identityIvEEEESI_SL_SM_mSN_SP_bEUlT_E_NS1_11comp_targetILNS1_3genE4ELNS1_11target_archE910ELNS1_3gpuE8ELNS1_3repE0EEENS1_30default_config_static_selectorELNS0_4arch9wavefront6targetE1EEEvT1_
; %bb.0:
	.section	.rodata,"a",@progbits
	.p2align	6, 0x0
	.amdhsa_kernel _ZN7rocprim17ROCPRIM_400000_NS6detail17trampoline_kernelINS0_14default_configENS1_25transform_config_selectorIhLb0EEEZNS1_14transform_implILb0ES3_S5_NS0_18transform_iteratorINS0_17counting_iteratorImlEEZNS1_24adjacent_difference_implIS3_Lb1ELb0EPKhPhN6thrust23THRUST_200600_302600_NS4plusIhEEEE10hipError_tPvRmT2_T3_mT4_P12ihipStream_tbEUlmE_hEESD_NS0_8identityIvEEEESI_SL_SM_mSN_SP_bEUlT_E_NS1_11comp_targetILNS1_3genE4ELNS1_11target_archE910ELNS1_3gpuE8ELNS1_3repE0EEENS1_30default_config_static_selectorELNS0_4arch9wavefront6targetE1EEEvT1_
		.amdhsa_group_segment_fixed_size 0
		.amdhsa_private_segment_fixed_size 0
		.amdhsa_kernarg_size 56
		.amdhsa_user_sgpr_count 2
		.amdhsa_user_sgpr_dispatch_ptr 0
		.amdhsa_user_sgpr_queue_ptr 0
		.amdhsa_user_sgpr_kernarg_segment_ptr 1
		.amdhsa_user_sgpr_dispatch_id 0
		.amdhsa_user_sgpr_kernarg_preload_length 0
		.amdhsa_user_sgpr_kernarg_preload_offset 0
		.amdhsa_user_sgpr_private_segment_size 0
		.amdhsa_uses_dynamic_stack 0
		.amdhsa_enable_private_segment 0
		.amdhsa_system_sgpr_workgroup_id_x 1
		.amdhsa_system_sgpr_workgroup_id_y 0
		.amdhsa_system_sgpr_workgroup_id_z 0
		.amdhsa_system_sgpr_workgroup_info 0
		.amdhsa_system_vgpr_workitem_id 0
		.amdhsa_next_free_vgpr 1
		.amdhsa_next_free_sgpr 0
		.amdhsa_accum_offset 4
		.amdhsa_reserve_vcc 0
		.amdhsa_float_round_mode_32 0
		.amdhsa_float_round_mode_16_64 0
		.amdhsa_float_denorm_mode_32 3
		.amdhsa_float_denorm_mode_16_64 3
		.amdhsa_dx10_clamp 1
		.amdhsa_ieee_mode 1
		.amdhsa_fp16_overflow 0
		.amdhsa_tg_split 0
		.amdhsa_exception_fp_ieee_invalid_op 0
		.amdhsa_exception_fp_denorm_src 0
		.amdhsa_exception_fp_ieee_div_zero 0
		.amdhsa_exception_fp_ieee_overflow 0
		.amdhsa_exception_fp_ieee_underflow 0
		.amdhsa_exception_fp_ieee_inexact 0
		.amdhsa_exception_int_div_zero 0
	.end_amdhsa_kernel
	.section	.text._ZN7rocprim17ROCPRIM_400000_NS6detail17trampoline_kernelINS0_14default_configENS1_25transform_config_selectorIhLb0EEEZNS1_14transform_implILb0ES3_S5_NS0_18transform_iteratorINS0_17counting_iteratorImlEEZNS1_24adjacent_difference_implIS3_Lb1ELb0EPKhPhN6thrust23THRUST_200600_302600_NS4plusIhEEEE10hipError_tPvRmT2_T3_mT4_P12ihipStream_tbEUlmE_hEESD_NS0_8identityIvEEEESI_SL_SM_mSN_SP_bEUlT_E_NS1_11comp_targetILNS1_3genE4ELNS1_11target_archE910ELNS1_3gpuE8ELNS1_3repE0EEENS1_30default_config_static_selectorELNS0_4arch9wavefront6targetE1EEEvT1_,"axG",@progbits,_ZN7rocprim17ROCPRIM_400000_NS6detail17trampoline_kernelINS0_14default_configENS1_25transform_config_selectorIhLb0EEEZNS1_14transform_implILb0ES3_S5_NS0_18transform_iteratorINS0_17counting_iteratorImlEEZNS1_24adjacent_difference_implIS3_Lb1ELb0EPKhPhN6thrust23THRUST_200600_302600_NS4plusIhEEEE10hipError_tPvRmT2_T3_mT4_P12ihipStream_tbEUlmE_hEESD_NS0_8identityIvEEEESI_SL_SM_mSN_SP_bEUlT_E_NS1_11comp_targetILNS1_3genE4ELNS1_11target_archE910ELNS1_3gpuE8ELNS1_3repE0EEENS1_30default_config_static_selectorELNS0_4arch9wavefront6targetE1EEEvT1_,comdat
.Lfunc_end501:
	.size	_ZN7rocprim17ROCPRIM_400000_NS6detail17trampoline_kernelINS0_14default_configENS1_25transform_config_selectorIhLb0EEEZNS1_14transform_implILb0ES3_S5_NS0_18transform_iteratorINS0_17counting_iteratorImlEEZNS1_24adjacent_difference_implIS3_Lb1ELb0EPKhPhN6thrust23THRUST_200600_302600_NS4plusIhEEEE10hipError_tPvRmT2_T3_mT4_P12ihipStream_tbEUlmE_hEESD_NS0_8identityIvEEEESI_SL_SM_mSN_SP_bEUlT_E_NS1_11comp_targetILNS1_3genE4ELNS1_11target_archE910ELNS1_3gpuE8ELNS1_3repE0EEENS1_30default_config_static_selectorELNS0_4arch9wavefront6targetE1EEEvT1_, .Lfunc_end501-_ZN7rocprim17ROCPRIM_400000_NS6detail17trampoline_kernelINS0_14default_configENS1_25transform_config_selectorIhLb0EEEZNS1_14transform_implILb0ES3_S5_NS0_18transform_iteratorINS0_17counting_iteratorImlEEZNS1_24adjacent_difference_implIS3_Lb1ELb0EPKhPhN6thrust23THRUST_200600_302600_NS4plusIhEEEE10hipError_tPvRmT2_T3_mT4_P12ihipStream_tbEUlmE_hEESD_NS0_8identityIvEEEESI_SL_SM_mSN_SP_bEUlT_E_NS1_11comp_targetILNS1_3genE4ELNS1_11target_archE910ELNS1_3gpuE8ELNS1_3repE0EEENS1_30default_config_static_selectorELNS0_4arch9wavefront6targetE1EEEvT1_
                                        ; -- End function
	.section	.AMDGPU.csdata,"",@progbits
; Kernel info:
; codeLenInByte = 0
; NumSgprs: 6
; NumVgprs: 0
; NumAgprs: 0
; TotalNumVgprs: 0
; ScratchSize: 0
; MemoryBound: 0
; FloatMode: 240
; IeeeMode: 1
; LDSByteSize: 0 bytes/workgroup (compile time only)
; SGPRBlocks: 0
; VGPRBlocks: 0
; NumSGPRsForWavesPerEU: 6
; NumVGPRsForWavesPerEU: 1
; AccumOffset: 4
; Occupancy: 8
; WaveLimiterHint : 0
; COMPUTE_PGM_RSRC2:SCRATCH_EN: 0
; COMPUTE_PGM_RSRC2:USER_SGPR: 2
; COMPUTE_PGM_RSRC2:TRAP_HANDLER: 0
; COMPUTE_PGM_RSRC2:TGID_X_EN: 1
; COMPUTE_PGM_RSRC2:TGID_Y_EN: 0
; COMPUTE_PGM_RSRC2:TGID_Z_EN: 0
; COMPUTE_PGM_RSRC2:TIDIG_COMP_CNT: 0
; COMPUTE_PGM_RSRC3_GFX90A:ACCUM_OFFSET: 0
; COMPUTE_PGM_RSRC3_GFX90A:TG_SPLIT: 0
	.section	.text._ZN7rocprim17ROCPRIM_400000_NS6detail17trampoline_kernelINS0_14default_configENS1_25transform_config_selectorIhLb0EEEZNS1_14transform_implILb0ES3_S5_NS0_18transform_iteratorINS0_17counting_iteratorImlEEZNS1_24adjacent_difference_implIS3_Lb1ELb0EPKhPhN6thrust23THRUST_200600_302600_NS4plusIhEEEE10hipError_tPvRmT2_T3_mT4_P12ihipStream_tbEUlmE_hEESD_NS0_8identityIvEEEESI_SL_SM_mSN_SP_bEUlT_E_NS1_11comp_targetILNS1_3genE3ELNS1_11target_archE908ELNS1_3gpuE7ELNS1_3repE0EEENS1_30default_config_static_selectorELNS0_4arch9wavefront6targetE1EEEvT1_,"axG",@progbits,_ZN7rocprim17ROCPRIM_400000_NS6detail17trampoline_kernelINS0_14default_configENS1_25transform_config_selectorIhLb0EEEZNS1_14transform_implILb0ES3_S5_NS0_18transform_iteratorINS0_17counting_iteratorImlEEZNS1_24adjacent_difference_implIS3_Lb1ELb0EPKhPhN6thrust23THRUST_200600_302600_NS4plusIhEEEE10hipError_tPvRmT2_T3_mT4_P12ihipStream_tbEUlmE_hEESD_NS0_8identityIvEEEESI_SL_SM_mSN_SP_bEUlT_E_NS1_11comp_targetILNS1_3genE3ELNS1_11target_archE908ELNS1_3gpuE7ELNS1_3repE0EEENS1_30default_config_static_selectorELNS0_4arch9wavefront6targetE1EEEvT1_,comdat
	.protected	_ZN7rocprim17ROCPRIM_400000_NS6detail17trampoline_kernelINS0_14default_configENS1_25transform_config_selectorIhLb0EEEZNS1_14transform_implILb0ES3_S5_NS0_18transform_iteratorINS0_17counting_iteratorImlEEZNS1_24adjacent_difference_implIS3_Lb1ELb0EPKhPhN6thrust23THRUST_200600_302600_NS4plusIhEEEE10hipError_tPvRmT2_T3_mT4_P12ihipStream_tbEUlmE_hEESD_NS0_8identityIvEEEESI_SL_SM_mSN_SP_bEUlT_E_NS1_11comp_targetILNS1_3genE3ELNS1_11target_archE908ELNS1_3gpuE7ELNS1_3repE0EEENS1_30default_config_static_selectorELNS0_4arch9wavefront6targetE1EEEvT1_ ; -- Begin function _ZN7rocprim17ROCPRIM_400000_NS6detail17trampoline_kernelINS0_14default_configENS1_25transform_config_selectorIhLb0EEEZNS1_14transform_implILb0ES3_S5_NS0_18transform_iteratorINS0_17counting_iteratorImlEEZNS1_24adjacent_difference_implIS3_Lb1ELb0EPKhPhN6thrust23THRUST_200600_302600_NS4plusIhEEEE10hipError_tPvRmT2_T3_mT4_P12ihipStream_tbEUlmE_hEESD_NS0_8identityIvEEEESI_SL_SM_mSN_SP_bEUlT_E_NS1_11comp_targetILNS1_3genE3ELNS1_11target_archE908ELNS1_3gpuE7ELNS1_3repE0EEENS1_30default_config_static_selectorELNS0_4arch9wavefront6targetE1EEEvT1_
	.globl	_ZN7rocprim17ROCPRIM_400000_NS6detail17trampoline_kernelINS0_14default_configENS1_25transform_config_selectorIhLb0EEEZNS1_14transform_implILb0ES3_S5_NS0_18transform_iteratorINS0_17counting_iteratorImlEEZNS1_24adjacent_difference_implIS3_Lb1ELb0EPKhPhN6thrust23THRUST_200600_302600_NS4plusIhEEEE10hipError_tPvRmT2_T3_mT4_P12ihipStream_tbEUlmE_hEESD_NS0_8identityIvEEEESI_SL_SM_mSN_SP_bEUlT_E_NS1_11comp_targetILNS1_3genE3ELNS1_11target_archE908ELNS1_3gpuE7ELNS1_3repE0EEENS1_30default_config_static_selectorELNS0_4arch9wavefront6targetE1EEEvT1_
	.p2align	8
	.type	_ZN7rocprim17ROCPRIM_400000_NS6detail17trampoline_kernelINS0_14default_configENS1_25transform_config_selectorIhLb0EEEZNS1_14transform_implILb0ES3_S5_NS0_18transform_iteratorINS0_17counting_iteratorImlEEZNS1_24adjacent_difference_implIS3_Lb1ELb0EPKhPhN6thrust23THRUST_200600_302600_NS4plusIhEEEE10hipError_tPvRmT2_T3_mT4_P12ihipStream_tbEUlmE_hEESD_NS0_8identityIvEEEESI_SL_SM_mSN_SP_bEUlT_E_NS1_11comp_targetILNS1_3genE3ELNS1_11target_archE908ELNS1_3gpuE7ELNS1_3repE0EEENS1_30default_config_static_selectorELNS0_4arch9wavefront6targetE1EEEvT1_,@function
_ZN7rocprim17ROCPRIM_400000_NS6detail17trampoline_kernelINS0_14default_configENS1_25transform_config_selectorIhLb0EEEZNS1_14transform_implILb0ES3_S5_NS0_18transform_iteratorINS0_17counting_iteratorImlEEZNS1_24adjacent_difference_implIS3_Lb1ELb0EPKhPhN6thrust23THRUST_200600_302600_NS4plusIhEEEE10hipError_tPvRmT2_T3_mT4_P12ihipStream_tbEUlmE_hEESD_NS0_8identityIvEEEESI_SL_SM_mSN_SP_bEUlT_E_NS1_11comp_targetILNS1_3genE3ELNS1_11target_archE908ELNS1_3gpuE7ELNS1_3repE0EEENS1_30default_config_static_selectorELNS0_4arch9wavefront6targetE1EEEvT1_: ; @_ZN7rocprim17ROCPRIM_400000_NS6detail17trampoline_kernelINS0_14default_configENS1_25transform_config_selectorIhLb0EEEZNS1_14transform_implILb0ES3_S5_NS0_18transform_iteratorINS0_17counting_iteratorImlEEZNS1_24adjacent_difference_implIS3_Lb1ELb0EPKhPhN6thrust23THRUST_200600_302600_NS4plusIhEEEE10hipError_tPvRmT2_T3_mT4_P12ihipStream_tbEUlmE_hEESD_NS0_8identityIvEEEESI_SL_SM_mSN_SP_bEUlT_E_NS1_11comp_targetILNS1_3genE3ELNS1_11target_archE908ELNS1_3gpuE7ELNS1_3repE0EEENS1_30default_config_static_selectorELNS0_4arch9wavefront6targetE1EEEvT1_
; %bb.0:
	.section	.rodata,"a",@progbits
	.p2align	6, 0x0
	.amdhsa_kernel _ZN7rocprim17ROCPRIM_400000_NS6detail17trampoline_kernelINS0_14default_configENS1_25transform_config_selectorIhLb0EEEZNS1_14transform_implILb0ES3_S5_NS0_18transform_iteratorINS0_17counting_iteratorImlEEZNS1_24adjacent_difference_implIS3_Lb1ELb0EPKhPhN6thrust23THRUST_200600_302600_NS4plusIhEEEE10hipError_tPvRmT2_T3_mT4_P12ihipStream_tbEUlmE_hEESD_NS0_8identityIvEEEESI_SL_SM_mSN_SP_bEUlT_E_NS1_11comp_targetILNS1_3genE3ELNS1_11target_archE908ELNS1_3gpuE7ELNS1_3repE0EEENS1_30default_config_static_selectorELNS0_4arch9wavefront6targetE1EEEvT1_
		.amdhsa_group_segment_fixed_size 0
		.amdhsa_private_segment_fixed_size 0
		.amdhsa_kernarg_size 56
		.amdhsa_user_sgpr_count 2
		.amdhsa_user_sgpr_dispatch_ptr 0
		.amdhsa_user_sgpr_queue_ptr 0
		.amdhsa_user_sgpr_kernarg_segment_ptr 1
		.amdhsa_user_sgpr_dispatch_id 0
		.amdhsa_user_sgpr_kernarg_preload_length 0
		.amdhsa_user_sgpr_kernarg_preload_offset 0
		.amdhsa_user_sgpr_private_segment_size 0
		.amdhsa_uses_dynamic_stack 0
		.amdhsa_enable_private_segment 0
		.amdhsa_system_sgpr_workgroup_id_x 1
		.amdhsa_system_sgpr_workgroup_id_y 0
		.amdhsa_system_sgpr_workgroup_id_z 0
		.amdhsa_system_sgpr_workgroup_info 0
		.amdhsa_system_vgpr_workitem_id 0
		.amdhsa_next_free_vgpr 1
		.amdhsa_next_free_sgpr 0
		.amdhsa_accum_offset 4
		.amdhsa_reserve_vcc 0
		.amdhsa_float_round_mode_32 0
		.amdhsa_float_round_mode_16_64 0
		.amdhsa_float_denorm_mode_32 3
		.amdhsa_float_denorm_mode_16_64 3
		.amdhsa_dx10_clamp 1
		.amdhsa_ieee_mode 1
		.amdhsa_fp16_overflow 0
		.amdhsa_tg_split 0
		.amdhsa_exception_fp_ieee_invalid_op 0
		.amdhsa_exception_fp_denorm_src 0
		.amdhsa_exception_fp_ieee_div_zero 0
		.amdhsa_exception_fp_ieee_overflow 0
		.amdhsa_exception_fp_ieee_underflow 0
		.amdhsa_exception_fp_ieee_inexact 0
		.amdhsa_exception_int_div_zero 0
	.end_amdhsa_kernel
	.section	.text._ZN7rocprim17ROCPRIM_400000_NS6detail17trampoline_kernelINS0_14default_configENS1_25transform_config_selectorIhLb0EEEZNS1_14transform_implILb0ES3_S5_NS0_18transform_iteratorINS0_17counting_iteratorImlEEZNS1_24adjacent_difference_implIS3_Lb1ELb0EPKhPhN6thrust23THRUST_200600_302600_NS4plusIhEEEE10hipError_tPvRmT2_T3_mT4_P12ihipStream_tbEUlmE_hEESD_NS0_8identityIvEEEESI_SL_SM_mSN_SP_bEUlT_E_NS1_11comp_targetILNS1_3genE3ELNS1_11target_archE908ELNS1_3gpuE7ELNS1_3repE0EEENS1_30default_config_static_selectorELNS0_4arch9wavefront6targetE1EEEvT1_,"axG",@progbits,_ZN7rocprim17ROCPRIM_400000_NS6detail17trampoline_kernelINS0_14default_configENS1_25transform_config_selectorIhLb0EEEZNS1_14transform_implILb0ES3_S5_NS0_18transform_iteratorINS0_17counting_iteratorImlEEZNS1_24adjacent_difference_implIS3_Lb1ELb0EPKhPhN6thrust23THRUST_200600_302600_NS4plusIhEEEE10hipError_tPvRmT2_T3_mT4_P12ihipStream_tbEUlmE_hEESD_NS0_8identityIvEEEESI_SL_SM_mSN_SP_bEUlT_E_NS1_11comp_targetILNS1_3genE3ELNS1_11target_archE908ELNS1_3gpuE7ELNS1_3repE0EEENS1_30default_config_static_selectorELNS0_4arch9wavefront6targetE1EEEvT1_,comdat
.Lfunc_end502:
	.size	_ZN7rocprim17ROCPRIM_400000_NS6detail17trampoline_kernelINS0_14default_configENS1_25transform_config_selectorIhLb0EEEZNS1_14transform_implILb0ES3_S5_NS0_18transform_iteratorINS0_17counting_iteratorImlEEZNS1_24adjacent_difference_implIS3_Lb1ELb0EPKhPhN6thrust23THRUST_200600_302600_NS4plusIhEEEE10hipError_tPvRmT2_T3_mT4_P12ihipStream_tbEUlmE_hEESD_NS0_8identityIvEEEESI_SL_SM_mSN_SP_bEUlT_E_NS1_11comp_targetILNS1_3genE3ELNS1_11target_archE908ELNS1_3gpuE7ELNS1_3repE0EEENS1_30default_config_static_selectorELNS0_4arch9wavefront6targetE1EEEvT1_, .Lfunc_end502-_ZN7rocprim17ROCPRIM_400000_NS6detail17trampoline_kernelINS0_14default_configENS1_25transform_config_selectorIhLb0EEEZNS1_14transform_implILb0ES3_S5_NS0_18transform_iteratorINS0_17counting_iteratorImlEEZNS1_24adjacent_difference_implIS3_Lb1ELb0EPKhPhN6thrust23THRUST_200600_302600_NS4plusIhEEEE10hipError_tPvRmT2_T3_mT4_P12ihipStream_tbEUlmE_hEESD_NS0_8identityIvEEEESI_SL_SM_mSN_SP_bEUlT_E_NS1_11comp_targetILNS1_3genE3ELNS1_11target_archE908ELNS1_3gpuE7ELNS1_3repE0EEENS1_30default_config_static_selectorELNS0_4arch9wavefront6targetE1EEEvT1_
                                        ; -- End function
	.section	.AMDGPU.csdata,"",@progbits
; Kernel info:
; codeLenInByte = 0
; NumSgprs: 6
; NumVgprs: 0
; NumAgprs: 0
; TotalNumVgprs: 0
; ScratchSize: 0
; MemoryBound: 0
; FloatMode: 240
; IeeeMode: 1
; LDSByteSize: 0 bytes/workgroup (compile time only)
; SGPRBlocks: 0
; VGPRBlocks: 0
; NumSGPRsForWavesPerEU: 6
; NumVGPRsForWavesPerEU: 1
; AccumOffset: 4
; Occupancy: 8
; WaveLimiterHint : 0
; COMPUTE_PGM_RSRC2:SCRATCH_EN: 0
; COMPUTE_PGM_RSRC2:USER_SGPR: 2
; COMPUTE_PGM_RSRC2:TRAP_HANDLER: 0
; COMPUTE_PGM_RSRC2:TGID_X_EN: 1
; COMPUTE_PGM_RSRC2:TGID_Y_EN: 0
; COMPUTE_PGM_RSRC2:TGID_Z_EN: 0
; COMPUTE_PGM_RSRC2:TIDIG_COMP_CNT: 0
; COMPUTE_PGM_RSRC3_GFX90A:ACCUM_OFFSET: 0
; COMPUTE_PGM_RSRC3_GFX90A:TG_SPLIT: 0
	.section	.text._ZN7rocprim17ROCPRIM_400000_NS6detail17trampoline_kernelINS0_14default_configENS1_25transform_config_selectorIhLb0EEEZNS1_14transform_implILb0ES3_S5_NS0_18transform_iteratorINS0_17counting_iteratorImlEEZNS1_24adjacent_difference_implIS3_Lb1ELb0EPKhPhN6thrust23THRUST_200600_302600_NS4plusIhEEEE10hipError_tPvRmT2_T3_mT4_P12ihipStream_tbEUlmE_hEESD_NS0_8identityIvEEEESI_SL_SM_mSN_SP_bEUlT_E_NS1_11comp_targetILNS1_3genE2ELNS1_11target_archE906ELNS1_3gpuE6ELNS1_3repE0EEENS1_30default_config_static_selectorELNS0_4arch9wavefront6targetE1EEEvT1_,"axG",@progbits,_ZN7rocprim17ROCPRIM_400000_NS6detail17trampoline_kernelINS0_14default_configENS1_25transform_config_selectorIhLb0EEEZNS1_14transform_implILb0ES3_S5_NS0_18transform_iteratorINS0_17counting_iteratorImlEEZNS1_24adjacent_difference_implIS3_Lb1ELb0EPKhPhN6thrust23THRUST_200600_302600_NS4plusIhEEEE10hipError_tPvRmT2_T3_mT4_P12ihipStream_tbEUlmE_hEESD_NS0_8identityIvEEEESI_SL_SM_mSN_SP_bEUlT_E_NS1_11comp_targetILNS1_3genE2ELNS1_11target_archE906ELNS1_3gpuE6ELNS1_3repE0EEENS1_30default_config_static_selectorELNS0_4arch9wavefront6targetE1EEEvT1_,comdat
	.protected	_ZN7rocprim17ROCPRIM_400000_NS6detail17trampoline_kernelINS0_14default_configENS1_25transform_config_selectorIhLb0EEEZNS1_14transform_implILb0ES3_S5_NS0_18transform_iteratorINS0_17counting_iteratorImlEEZNS1_24adjacent_difference_implIS3_Lb1ELb0EPKhPhN6thrust23THRUST_200600_302600_NS4plusIhEEEE10hipError_tPvRmT2_T3_mT4_P12ihipStream_tbEUlmE_hEESD_NS0_8identityIvEEEESI_SL_SM_mSN_SP_bEUlT_E_NS1_11comp_targetILNS1_3genE2ELNS1_11target_archE906ELNS1_3gpuE6ELNS1_3repE0EEENS1_30default_config_static_selectorELNS0_4arch9wavefront6targetE1EEEvT1_ ; -- Begin function _ZN7rocprim17ROCPRIM_400000_NS6detail17trampoline_kernelINS0_14default_configENS1_25transform_config_selectorIhLb0EEEZNS1_14transform_implILb0ES3_S5_NS0_18transform_iteratorINS0_17counting_iteratorImlEEZNS1_24adjacent_difference_implIS3_Lb1ELb0EPKhPhN6thrust23THRUST_200600_302600_NS4plusIhEEEE10hipError_tPvRmT2_T3_mT4_P12ihipStream_tbEUlmE_hEESD_NS0_8identityIvEEEESI_SL_SM_mSN_SP_bEUlT_E_NS1_11comp_targetILNS1_3genE2ELNS1_11target_archE906ELNS1_3gpuE6ELNS1_3repE0EEENS1_30default_config_static_selectorELNS0_4arch9wavefront6targetE1EEEvT1_
	.globl	_ZN7rocprim17ROCPRIM_400000_NS6detail17trampoline_kernelINS0_14default_configENS1_25transform_config_selectorIhLb0EEEZNS1_14transform_implILb0ES3_S5_NS0_18transform_iteratorINS0_17counting_iteratorImlEEZNS1_24adjacent_difference_implIS3_Lb1ELb0EPKhPhN6thrust23THRUST_200600_302600_NS4plusIhEEEE10hipError_tPvRmT2_T3_mT4_P12ihipStream_tbEUlmE_hEESD_NS0_8identityIvEEEESI_SL_SM_mSN_SP_bEUlT_E_NS1_11comp_targetILNS1_3genE2ELNS1_11target_archE906ELNS1_3gpuE6ELNS1_3repE0EEENS1_30default_config_static_selectorELNS0_4arch9wavefront6targetE1EEEvT1_
	.p2align	8
	.type	_ZN7rocprim17ROCPRIM_400000_NS6detail17trampoline_kernelINS0_14default_configENS1_25transform_config_selectorIhLb0EEEZNS1_14transform_implILb0ES3_S5_NS0_18transform_iteratorINS0_17counting_iteratorImlEEZNS1_24adjacent_difference_implIS3_Lb1ELb0EPKhPhN6thrust23THRUST_200600_302600_NS4plusIhEEEE10hipError_tPvRmT2_T3_mT4_P12ihipStream_tbEUlmE_hEESD_NS0_8identityIvEEEESI_SL_SM_mSN_SP_bEUlT_E_NS1_11comp_targetILNS1_3genE2ELNS1_11target_archE906ELNS1_3gpuE6ELNS1_3repE0EEENS1_30default_config_static_selectorELNS0_4arch9wavefront6targetE1EEEvT1_,@function
_ZN7rocprim17ROCPRIM_400000_NS6detail17trampoline_kernelINS0_14default_configENS1_25transform_config_selectorIhLb0EEEZNS1_14transform_implILb0ES3_S5_NS0_18transform_iteratorINS0_17counting_iteratorImlEEZNS1_24adjacent_difference_implIS3_Lb1ELb0EPKhPhN6thrust23THRUST_200600_302600_NS4plusIhEEEE10hipError_tPvRmT2_T3_mT4_P12ihipStream_tbEUlmE_hEESD_NS0_8identityIvEEEESI_SL_SM_mSN_SP_bEUlT_E_NS1_11comp_targetILNS1_3genE2ELNS1_11target_archE906ELNS1_3gpuE6ELNS1_3repE0EEENS1_30default_config_static_selectorELNS0_4arch9wavefront6targetE1EEEvT1_: ; @_ZN7rocprim17ROCPRIM_400000_NS6detail17trampoline_kernelINS0_14default_configENS1_25transform_config_selectorIhLb0EEEZNS1_14transform_implILb0ES3_S5_NS0_18transform_iteratorINS0_17counting_iteratorImlEEZNS1_24adjacent_difference_implIS3_Lb1ELb0EPKhPhN6thrust23THRUST_200600_302600_NS4plusIhEEEE10hipError_tPvRmT2_T3_mT4_P12ihipStream_tbEUlmE_hEESD_NS0_8identityIvEEEESI_SL_SM_mSN_SP_bEUlT_E_NS1_11comp_targetILNS1_3genE2ELNS1_11target_archE906ELNS1_3gpuE6ELNS1_3repE0EEENS1_30default_config_static_selectorELNS0_4arch9wavefront6targetE1EEEvT1_
; %bb.0:
	.section	.rodata,"a",@progbits
	.p2align	6, 0x0
	.amdhsa_kernel _ZN7rocprim17ROCPRIM_400000_NS6detail17trampoline_kernelINS0_14default_configENS1_25transform_config_selectorIhLb0EEEZNS1_14transform_implILb0ES3_S5_NS0_18transform_iteratorINS0_17counting_iteratorImlEEZNS1_24adjacent_difference_implIS3_Lb1ELb0EPKhPhN6thrust23THRUST_200600_302600_NS4plusIhEEEE10hipError_tPvRmT2_T3_mT4_P12ihipStream_tbEUlmE_hEESD_NS0_8identityIvEEEESI_SL_SM_mSN_SP_bEUlT_E_NS1_11comp_targetILNS1_3genE2ELNS1_11target_archE906ELNS1_3gpuE6ELNS1_3repE0EEENS1_30default_config_static_selectorELNS0_4arch9wavefront6targetE1EEEvT1_
		.amdhsa_group_segment_fixed_size 0
		.amdhsa_private_segment_fixed_size 0
		.amdhsa_kernarg_size 56
		.amdhsa_user_sgpr_count 2
		.amdhsa_user_sgpr_dispatch_ptr 0
		.amdhsa_user_sgpr_queue_ptr 0
		.amdhsa_user_sgpr_kernarg_segment_ptr 1
		.amdhsa_user_sgpr_dispatch_id 0
		.amdhsa_user_sgpr_kernarg_preload_length 0
		.amdhsa_user_sgpr_kernarg_preload_offset 0
		.amdhsa_user_sgpr_private_segment_size 0
		.amdhsa_uses_dynamic_stack 0
		.amdhsa_enable_private_segment 0
		.amdhsa_system_sgpr_workgroup_id_x 1
		.amdhsa_system_sgpr_workgroup_id_y 0
		.amdhsa_system_sgpr_workgroup_id_z 0
		.amdhsa_system_sgpr_workgroup_info 0
		.amdhsa_system_vgpr_workitem_id 0
		.amdhsa_next_free_vgpr 1
		.amdhsa_next_free_sgpr 0
		.amdhsa_accum_offset 4
		.amdhsa_reserve_vcc 0
		.amdhsa_float_round_mode_32 0
		.amdhsa_float_round_mode_16_64 0
		.amdhsa_float_denorm_mode_32 3
		.amdhsa_float_denorm_mode_16_64 3
		.amdhsa_dx10_clamp 1
		.amdhsa_ieee_mode 1
		.amdhsa_fp16_overflow 0
		.amdhsa_tg_split 0
		.amdhsa_exception_fp_ieee_invalid_op 0
		.amdhsa_exception_fp_denorm_src 0
		.amdhsa_exception_fp_ieee_div_zero 0
		.amdhsa_exception_fp_ieee_overflow 0
		.amdhsa_exception_fp_ieee_underflow 0
		.amdhsa_exception_fp_ieee_inexact 0
		.amdhsa_exception_int_div_zero 0
	.end_amdhsa_kernel
	.section	.text._ZN7rocprim17ROCPRIM_400000_NS6detail17trampoline_kernelINS0_14default_configENS1_25transform_config_selectorIhLb0EEEZNS1_14transform_implILb0ES3_S5_NS0_18transform_iteratorINS0_17counting_iteratorImlEEZNS1_24adjacent_difference_implIS3_Lb1ELb0EPKhPhN6thrust23THRUST_200600_302600_NS4plusIhEEEE10hipError_tPvRmT2_T3_mT4_P12ihipStream_tbEUlmE_hEESD_NS0_8identityIvEEEESI_SL_SM_mSN_SP_bEUlT_E_NS1_11comp_targetILNS1_3genE2ELNS1_11target_archE906ELNS1_3gpuE6ELNS1_3repE0EEENS1_30default_config_static_selectorELNS0_4arch9wavefront6targetE1EEEvT1_,"axG",@progbits,_ZN7rocprim17ROCPRIM_400000_NS6detail17trampoline_kernelINS0_14default_configENS1_25transform_config_selectorIhLb0EEEZNS1_14transform_implILb0ES3_S5_NS0_18transform_iteratorINS0_17counting_iteratorImlEEZNS1_24adjacent_difference_implIS3_Lb1ELb0EPKhPhN6thrust23THRUST_200600_302600_NS4plusIhEEEE10hipError_tPvRmT2_T3_mT4_P12ihipStream_tbEUlmE_hEESD_NS0_8identityIvEEEESI_SL_SM_mSN_SP_bEUlT_E_NS1_11comp_targetILNS1_3genE2ELNS1_11target_archE906ELNS1_3gpuE6ELNS1_3repE0EEENS1_30default_config_static_selectorELNS0_4arch9wavefront6targetE1EEEvT1_,comdat
.Lfunc_end503:
	.size	_ZN7rocprim17ROCPRIM_400000_NS6detail17trampoline_kernelINS0_14default_configENS1_25transform_config_selectorIhLb0EEEZNS1_14transform_implILb0ES3_S5_NS0_18transform_iteratorINS0_17counting_iteratorImlEEZNS1_24adjacent_difference_implIS3_Lb1ELb0EPKhPhN6thrust23THRUST_200600_302600_NS4plusIhEEEE10hipError_tPvRmT2_T3_mT4_P12ihipStream_tbEUlmE_hEESD_NS0_8identityIvEEEESI_SL_SM_mSN_SP_bEUlT_E_NS1_11comp_targetILNS1_3genE2ELNS1_11target_archE906ELNS1_3gpuE6ELNS1_3repE0EEENS1_30default_config_static_selectorELNS0_4arch9wavefront6targetE1EEEvT1_, .Lfunc_end503-_ZN7rocprim17ROCPRIM_400000_NS6detail17trampoline_kernelINS0_14default_configENS1_25transform_config_selectorIhLb0EEEZNS1_14transform_implILb0ES3_S5_NS0_18transform_iteratorINS0_17counting_iteratorImlEEZNS1_24adjacent_difference_implIS3_Lb1ELb0EPKhPhN6thrust23THRUST_200600_302600_NS4plusIhEEEE10hipError_tPvRmT2_T3_mT4_P12ihipStream_tbEUlmE_hEESD_NS0_8identityIvEEEESI_SL_SM_mSN_SP_bEUlT_E_NS1_11comp_targetILNS1_3genE2ELNS1_11target_archE906ELNS1_3gpuE6ELNS1_3repE0EEENS1_30default_config_static_selectorELNS0_4arch9wavefront6targetE1EEEvT1_
                                        ; -- End function
	.section	.AMDGPU.csdata,"",@progbits
; Kernel info:
; codeLenInByte = 0
; NumSgprs: 6
; NumVgprs: 0
; NumAgprs: 0
; TotalNumVgprs: 0
; ScratchSize: 0
; MemoryBound: 0
; FloatMode: 240
; IeeeMode: 1
; LDSByteSize: 0 bytes/workgroup (compile time only)
; SGPRBlocks: 0
; VGPRBlocks: 0
; NumSGPRsForWavesPerEU: 6
; NumVGPRsForWavesPerEU: 1
; AccumOffset: 4
; Occupancy: 8
; WaveLimiterHint : 0
; COMPUTE_PGM_RSRC2:SCRATCH_EN: 0
; COMPUTE_PGM_RSRC2:USER_SGPR: 2
; COMPUTE_PGM_RSRC2:TRAP_HANDLER: 0
; COMPUTE_PGM_RSRC2:TGID_X_EN: 1
; COMPUTE_PGM_RSRC2:TGID_Y_EN: 0
; COMPUTE_PGM_RSRC2:TGID_Z_EN: 0
; COMPUTE_PGM_RSRC2:TIDIG_COMP_CNT: 0
; COMPUTE_PGM_RSRC3_GFX90A:ACCUM_OFFSET: 0
; COMPUTE_PGM_RSRC3_GFX90A:TG_SPLIT: 0
	.section	.text._ZN7rocprim17ROCPRIM_400000_NS6detail17trampoline_kernelINS0_14default_configENS1_25transform_config_selectorIhLb0EEEZNS1_14transform_implILb0ES3_S5_NS0_18transform_iteratorINS0_17counting_iteratorImlEEZNS1_24adjacent_difference_implIS3_Lb1ELb0EPKhPhN6thrust23THRUST_200600_302600_NS4plusIhEEEE10hipError_tPvRmT2_T3_mT4_P12ihipStream_tbEUlmE_hEESD_NS0_8identityIvEEEESI_SL_SM_mSN_SP_bEUlT_E_NS1_11comp_targetILNS1_3genE10ELNS1_11target_archE1201ELNS1_3gpuE5ELNS1_3repE0EEENS1_30default_config_static_selectorELNS0_4arch9wavefront6targetE1EEEvT1_,"axG",@progbits,_ZN7rocprim17ROCPRIM_400000_NS6detail17trampoline_kernelINS0_14default_configENS1_25transform_config_selectorIhLb0EEEZNS1_14transform_implILb0ES3_S5_NS0_18transform_iteratorINS0_17counting_iteratorImlEEZNS1_24adjacent_difference_implIS3_Lb1ELb0EPKhPhN6thrust23THRUST_200600_302600_NS4plusIhEEEE10hipError_tPvRmT2_T3_mT4_P12ihipStream_tbEUlmE_hEESD_NS0_8identityIvEEEESI_SL_SM_mSN_SP_bEUlT_E_NS1_11comp_targetILNS1_3genE10ELNS1_11target_archE1201ELNS1_3gpuE5ELNS1_3repE0EEENS1_30default_config_static_selectorELNS0_4arch9wavefront6targetE1EEEvT1_,comdat
	.protected	_ZN7rocprim17ROCPRIM_400000_NS6detail17trampoline_kernelINS0_14default_configENS1_25transform_config_selectorIhLb0EEEZNS1_14transform_implILb0ES3_S5_NS0_18transform_iteratorINS0_17counting_iteratorImlEEZNS1_24adjacent_difference_implIS3_Lb1ELb0EPKhPhN6thrust23THRUST_200600_302600_NS4plusIhEEEE10hipError_tPvRmT2_T3_mT4_P12ihipStream_tbEUlmE_hEESD_NS0_8identityIvEEEESI_SL_SM_mSN_SP_bEUlT_E_NS1_11comp_targetILNS1_3genE10ELNS1_11target_archE1201ELNS1_3gpuE5ELNS1_3repE0EEENS1_30default_config_static_selectorELNS0_4arch9wavefront6targetE1EEEvT1_ ; -- Begin function _ZN7rocprim17ROCPRIM_400000_NS6detail17trampoline_kernelINS0_14default_configENS1_25transform_config_selectorIhLb0EEEZNS1_14transform_implILb0ES3_S5_NS0_18transform_iteratorINS0_17counting_iteratorImlEEZNS1_24adjacent_difference_implIS3_Lb1ELb0EPKhPhN6thrust23THRUST_200600_302600_NS4plusIhEEEE10hipError_tPvRmT2_T3_mT4_P12ihipStream_tbEUlmE_hEESD_NS0_8identityIvEEEESI_SL_SM_mSN_SP_bEUlT_E_NS1_11comp_targetILNS1_3genE10ELNS1_11target_archE1201ELNS1_3gpuE5ELNS1_3repE0EEENS1_30default_config_static_selectorELNS0_4arch9wavefront6targetE1EEEvT1_
	.globl	_ZN7rocprim17ROCPRIM_400000_NS6detail17trampoline_kernelINS0_14default_configENS1_25transform_config_selectorIhLb0EEEZNS1_14transform_implILb0ES3_S5_NS0_18transform_iteratorINS0_17counting_iteratorImlEEZNS1_24adjacent_difference_implIS3_Lb1ELb0EPKhPhN6thrust23THRUST_200600_302600_NS4plusIhEEEE10hipError_tPvRmT2_T3_mT4_P12ihipStream_tbEUlmE_hEESD_NS0_8identityIvEEEESI_SL_SM_mSN_SP_bEUlT_E_NS1_11comp_targetILNS1_3genE10ELNS1_11target_archE1201ELNS1_3gpuE5ELNS1_3repE0EEENS1_30default_config_static_selectorELNS0_4arch9wavefront6targetE1EEEvT1_
	.p2align	8
	.type	_ZN7rocprim17ROCPRIM_400000_NS6detail17trampoline_kernelINS0_14default_configENS1_25transform_config_selectorIhLb0EEEZNS1_14transform_implILb0ES3_S5_NS0_18transform_iteratorINS0_17counting_iteratorImlEEZNS1_24adjacent_difference_implIS3_Lb1ELb0EPKhPhN6thrust23THRUST_200600_302600_NS4plusIhEEEE10hipError_tPvRmT2_T3_mT4_P12ihipStream_tbEUlmE_hEESD_NS0_8identityIvEEEESI_SL_SM_mSN_SP_bEUlT_E_NS1_11comp_targetILNS1_3genE10ELNS1_11target_archE1201ELNS1_3gpuE5ELNS1_3repE0EEENS1_30default_config_static_selectorELNS0_4arch9wavefront6targetE1EEEvT1_,@function
_ZN7rocprim17ROCPRIM_400000_NS6detail17trampoline_kernelINS0_14default_configENS1_25transform_config_selectorIhLb0EEEZNS1_14transform_implILb0ES3_S5_NS0_18transform_iteratorINS0_17counting_iteratorImlEEZNS1_24adjacent_difference_implIS3_Lb1ELb0EPKhPhN6thrust23THRUST_200600_302600_NS4plusIhEEEE10hipError_tPvRmT2_T3_mT4_P12ihipStream_tbEUlmE_hEESD_NS0_8identityIvEEEESI_SL_SM_mSN_SP_bEUlT_E_NS1_11comp_targetILNS1_3genE10ELNS1_11target_archE1201ELNS1_3gpuE5ELNS1_3repE0EEENS1_30default_config_static_selectorELNS0_4arch9wavefront6targetE1EEEvT1_: ; @_ZN7rocprim17ROCPRIM_400000_NS6detail17trampoline_kernelINS0_14default_configENS1_25transform_config_selectorIhLb0EEEZNS1_14transform_implILb0ES3_S5_NS0_18transform_iteratorINS0_17counting_iteratorImlEEZNS1_24adjacent_difference_implIS3_Lb1ELb0EPKhPhN6thrust23THRUST_200600_302600_NS4plusIhEEEE10hipError_tPvRmT2_T3_mT4_P12ihipStream_tbEUlmE_hEESD_NS0_8identityIvEEEESI_SL_SM_mSN_SP_bEUlT_E_NS1_11comp_targetILNS1_3genE10ELNS1_11target_archE1201ELNS1_3gpuE5ELNS1_3repE0EEENS1_30default_config_static_selectorELNS0_4arch9wavefront6targetE1EEEvT1_
; %bb.0:
	.section	.rodata,"a",@progbits
	.p2align	6, 0x0
	.amdhsa_kernel _ZN7rocprim17ROCPRIM_400000_NS6detail17trampoline_kernelINS0_14default_configENS1_25transform_config_selectorIhLb0EEEZNS1_14transform_implILb0ES3_S5_NS0_18transform_iteratorINS0_17counting_iteratorImlEEZNS1_24adjacent_difference_implIS3_Lb1ELb0EPKhPhN6thrust23THRUST_200600_302600_NS4plusIhEEEE10hipError_tPvRmT2_T3_mT4_P12ihipStream_tbEUlmE_hEESD_NS0_8identityIvEEEESI_SL_SM_mSN_SP_bEUlT_E_NS1_11comp_targetILNS1_3genE10ELNS1_11target_archE1201ELNS1_3gpuE5ELNS1_3repE0EEENS1_30default_config_static_selectorELNS0_4arch9wavefront6targetE1EEEvT1_
		.amdhsa_group_segment_fixed_size 0
		.amdhsa_private_segment_fixed_size 0
		.amdhsa_kernarg_size 56
		.amdhsa_user_sgpr_count 2
		.amdhsa_user_sgpr_dispatch_ptr 0
		.amdhsa_user_sgpr_queue_ptr 0
		.amdhsa_user_sgpr_kernarg_segment_ptr 1
		.amdhsa_user_sgpr_dispatch_id 0
		.amdhsa_user_sgpr_kernarg_preload_length 0
		.amdhsa_user_sgpr_kernarg_preload_offset 0
		.amdhsa_user_sgpr_private_segment_size 0
		.amdhsa_uses_dynamic_stack 0
		.amdhsa_enable_private_segment 0
		.amdhsa_system_sgpr_workgroup_id_x 1
		.amdhsa_system_sgpr_workgroup_id_y 0
		.amdhsa_system_sgpr_workgroup_id_z 0
		.amdhsa_system_sgpr_workgroup_info 0
		.amdhsa_system_vgpr_workitem_id 0
		.amdhsa_next_free_vgpr 1
		.amdhsa_next_free_sgpr 0
		.amdhsa_accum_offset 4
		.amdhsa_reserve_vcc 0
		.amdhsa_float_round_mode_32 0
		.amdhsa_float_round_mode_16_64 0
		.amdhsa_float_denorm_mode_32 3
		.amdhsa_float_denorm_mode_16_64 3
		.amdhsa_dx10_clamp 1
		.amdhsa_ieee_mode 1
		.amdhsa_fp16_overflow 0
		.amdhsa_tg_split 0
		.amdhsa_exception_fp_ieee_invalid_op 0
		.amdhsa_exception_fp_denorm_src 0
		.amdhsa_exception_fp_ieee_div_zero 0
		.amdhsa_exception_fp_ieee_overflow 0
		.amdhsa_exception_fp_ieee_underflow 0
		.amdhsa_exception_fp_ieee_inexact 0
		.amdhsa_exception_int_div_zero 0
	.end_amdhsa_kernel
	.section	.text._ZN7rocprim17ROCPRIM_400000_NS6detail17trampoline_kernelINS0_14default_configENS1_25transform_config_selectorIhLb0EEEZNS1_14transform_implILb0ES3_S5_NS0_18transform_iteratorINS0_17counting_iteratorImlEEZNS1_24adjacent_difference_implIS3_Lb1ELb0EPKhPhN6thrust23THRUST_200600_302600_NS4plusIhEEEE10hipError_tPvRmT2_T3_mT4_P12ihipStream_tbEUlmE_hEESD_NS0_8identityIvEEEESI_SL_SM_mSN_SP_bEUlT_E_NS1_11comp_targetILNS1_3genE10ELNS1_11target_archE1201ELNS1_3gpuE5ELNS1_3repE0EEENS1_30default_config_static_selectorELNS0_4arch9wavefront6targetE1EEEvT1_,"axG",@progbits,_ZN7rocprim17ROCPRIM_400000_NS6detail17trampoline_kernelINS0_14default_configENS1_25transform_config_selectorIhLb0EEEZNS1_14transform_implILb0ES3_S5_NS0_18transform_iteratorINS0_17counting_iteratorImlEEZNS1_24adjacent_difference_implIS3_Lb1ELb0EPKhPhN6thrust23THRUST_200600_302600_NS4plusIhEEEE10hipError_tPvRmT2_T3_mT4_P12ihipStream_tbEUlmE_hEESD_NS0_8identityIvEEEESI_SL_SM_mSN_SP_bEUlT_E_NS1_11comp_targetILNS1_3genE10ELNS1_11target_archE1201ELNS1_3gpuE5ELNS1_3repE0EEENS1_30default_config_static_selectorELNS0_4arch9wavefront6targetE1EEEvT1_,comdat
.Lfunc_end504:
	.size	_ZN7rocprim17ROCPRIM_400000_NS6detail17trampoline_kernelINS0_14default_configENS1_25transform_config_selectorIhLb0EEEZNS1_14transform_implILb0ES3_S5_NS0_18transform_iteratorINS0_17counting_iteratorImlEEZNS1_24adjacent_difference_implIS3_Lb1ELb0EPKhPhN6thrust23THRUST_200600_302600_NS4plusIhEEEE10hipError_tPvRmT2_T3_mT4_P12ihipStream_tbEUlmE_hEESD_NS0_8identityIvEEEESI_SL_SM_mSN_SP_bEUlT_E_NS1_11comp_targetILNS1_3genE10ELNS1_11target_archE1201ELNS1_3gpuE5ELNS1_3repE0EEENS1_30default_config_static_selectorELNS0_4arch9wavefront6targetE1EEEvT1_, .Lfunc_end504-_ZN7rocprim17ROCPRIM_400000_NS6detail17trampoline_kernelINS0_14default_configENS1_25transform_config_selectorIhLb0EEEZNS1_14transform_implILb0ES3_S5_NS0_18transform_iteratorINS0_17counting_iteratorImlEEZNS1_24adjacent_difference_implIS3_Lb1ELb0EPKhPhN6thrust23THRUST_200600_302600_NS4plusIhEEEE10hipError_tPvRmT2_T3_mT4_P12ihipStream_tbEUlmE_hEESD_NS0_8identityIvEEEESI_SL_SM_mSN_SP_bEUlT_E_NS1_11comp_targetILNS1_3genE10ELNS1_11target_archE1201ELNS1_3gpuE5ELNS1_3repE0EEENS1_30default_config_static_selectorELNS0_4arch9wavefront6targetE1EEEvT1_
                                        ; -- End function
	.section	.AMDGPU.csdata,"",@progbits
; Kernel info:
; codeLenInByte = 0
; NumSgprs: 6
; NumVgprs: 0
; NumAgprs: 0
; TotalNumVgprs: 0
; ScratchSize: 0
; MemoryBound: 0
; FloatMode: 240
; IeeeMode: 1
; LDSByteSize: 0 bytes/workgroup (compile time only)
; SGPRBlocks: 0
; VGPRBlocks: 0
; NumSGPRsForWavesPerEU: 6
; NumVGPRsForWavesPerEU: 1
; AccumOffset: 4
; Occupancy: 8
; WaveLimiterHint : 0
; COMPUTE_PGM_RSRC2:SCRATCH_EN: 0
; COMPUTE_PGM_RSRC2:USER_SGPR: 2
; COMPUTE_PGM_RSRC2:TRAP_HANDLER: 0
; COMPUTE_PGM_RSRC2:TGID_X_EN: 1
; COMPUTE_PGM_RSRC2:TGID_Y_EN: 0
; COMPUTE_PGM_RSRC2:TGID_Z_EN: 0
; COMPUTE_PGM_RSRC2:TIDIG_COMP_CNT: 0
; COMPUTE_PGM_RSRC3_GFX90A:ACCUM_OFFSET: 0
; COMPUTE_PGM_RSRC3_GFX90A:TG_SPLIT: 0
	.section	.text._ZN7rocprim17ROCPRIM_400000_NS6detail17trampoline_kernelINS0_14default_configENS1_25transform_config_selectorIhLb0EEEZNS1_14transform_implILb0ES3_S5_NS0_18transform_iteratorINS0_17counting_iteratorImlEEZNS1_24adjacent_difference_implIS3_Lb1ELb0EPKhPhN6thrust23THRUST_200600_302600_NS4plusIhEEEE10hipError_tPvRmT2_T3_mT4_P12ihipStream_tbEUlmE_hEESD_NS0_8identityIvEEEESI_SL_SM_mSN_SP_bEUlT_E_NS1_11comp_targetILNS1_3genE10ELNS1_11target_archE1200ELNS1_3gpuE4ELNS1_3repE0EEENS1_30default_config_static_selectorELNS0_4arch9wavefront6targetE1EEEvT1_,"axG",@progbits,_ZN7rocprim17ROCPRIM_400000_NS6detail17trampoline_kernelINS0_14default_configENS1_25transform_config_selectorIhLb0EEEZNS1_14transform_implILb0ES3_S5_NS0_18transform_iteratorINS0_17counting_iteratorImlEEZNS1_24adjacent_difference_implIS3_Lb1ELb0EPKhPhN6thrust23THRUST_200600_302600_NS4plusIhEEEE10hipError_tPvRmT2_T3_mT4_P12ihipStream_tbEUlmE_hEESD_NS0_8identityIvEEEESI_SL_SM_mSN_SP_bEUlT_E_NS1_11comp_targetILNS1_3genE10ELNS1_11target_archE1200ELNS1_3gpuE4ELNS1_3repE0EEENS1_30default_config_static_selectorELNS0_4arch9wavefront6targetE1EEEvT1_,comdat
	.protected	_ZN7rocprim17ROCPRIM_400000_NS6detail17trampoline_kernelINS0_14default_configENS1_25transform_config_selectorIhLb0EEEZNS1_14transform_implILb0ES3_S5_NS0_18transform_iteratorINS0_17counting_iteratorImlEEZNS1_24adjacent_difference_implIS3_Lb1ELb0EPKhPhN6thrust23THRUST_200600_302600_NS4plusIhEEEE10hipError_tPvRmT2_T3_mT4_P12ihipStream_tbEUlmE_hEESD_NS0_8identityIvEEEESI_SL_SM_mSN_SP_bEUlT_E_NS1_11comp_targetILNS1_3genE10ELNS1_11target_archE1200ELNS1_3gpuE4ELNS1_3repE0EEENS1_30default_config_static_selectorELNS0_4arch9wavefront6targetE1EEEvT1_ ; -- Begin function _ZN7rocprim17ROCPRIM_400000_NS6detail17trampoline_kernelINS0_14default_configENS1_25transform_config_selectorIhLb0EEEZNS1_14transform_implILb0ES3_S5_NS0_18transform_iteratorINS0_17counting_iteratorImlEEZNS1_24adjacent_difference_implIS3_Lb1ELb0EPKhPhN6thrust23THRUST_200600_302600_NS4plusIhEEEE10hipError_tPvRmT2_T3_mT4_P12ihipStream_tbEUlmE_hEESD_NS0_8identityIvEEEESI_SL_SM_mSN_SP_bEUlT_E_NS1_11comp_targetILNS1_3genE10ELNS1_11target_archE1200ELNS1_3gpuE4ELNS1_3repE0EEENS1_30default_config_static_selectorELNS0_4arch9wavefront6targetE1EEEvT1_
	.globl	_ZN7rocprim17ROCPRIM_400000_NS6detail17trampoline_kernelINS0_14default_configENS1_25transform_config_selectorIhLb0EEEZNS1_14transform_implILb0ES3_S5_NS0_18transform_iteratorINS0_17counting_iteratorImlEEZNS1_24adjacent_difference_implIS3_Lb1ELb0EPKhPhN6thrust23THRUST_200600_302600_NS4plusIhEEEE10hipError_tPvRmT2_T3_mT4_P12ihipStream_tbEUlmE_hEESD_NS0_8identityIvEEEESI_SL_SM_mSN_SP_bEUlT_E_NS1_11comp_targetILNS1_3genE10ELNS1_11target_archE1200ELNS1_3gpuE4ELNS1_3repE0EEENS1_30default_config_static_selectorELNS0_4arch9wavefront6targetE1EEEvT1_
	.p2align	8
	.type	_ZN7rocprim17ROCPRIM_400000_NS6detail17trampoline_kernelINS0_14default_configENS1_25transform_config_selectorIhLb0EEEZNS1_14transform_implILb0ES3_S5_NS0_18transform_iteratorINS0_17counting_iteratorImlEEZNS1_24adjacent_difference_implIS3_Lb1ELb0EPKhPhN6thrust23THRUST_200600_302600_NS4plusIhEEEE10hipError_tPvRmT2_T3_mT4_P12ihipStream_tbEUlmE_hEESD_NS0_8identityIvEEEESI_SL_SM_mSN_SP_bEUlT_E_NS1_11comp_targetILNS1_3genE10ELNS1_11target_archE1200ELNS1_3gpuE4ELNS1_3repE0EEENS1_30default_config_static_selectorELNS0_4arch9wavefront6targetE1EEEvT1_,@function
_ZN7rocprim17ROCPRIM_400000_NS6detail17trampoline_kernelINS0_14default_configENS1_25transform_config_selectorIhLb0EEEZNS1_14transform_implILb0ES3_S5_NS0_18transform_iteratorINS0_17counting_iteratorImlEEZNS1_24adjacent_difference_implIS3_Lb1ELb0EPKhPhN6thrust23THRUST_200600_302600_NS4plusIhEEEE10hipError_tPvRmT2_T3_mT4_P12ihipStream_tbEUlmE_hEESD_NS0_8identityIvEEEESI_SL_SM_mSN_SP_bEUlT_E_NS1_11comp_targetILNS1_3genE10ELNS1_11target_archE1200ELNS1_3gpuE4ELNS1_3repE0EEENS1_30default_config_static_selectorELNS0_4arch9wavefront6targetE1EEEvT1_: ; @_ZN7rocprim17ROCPRIM_400000_NS6detail17trampoline_kernelINS0_14default_configENS1_25transform_config_selectorIhLb0EEEZNS1_14transform_implILb0ES3_S5_NS0_18transform_iteratorINS0_17counting_iteratorImlEEZNS1_24adjacent_difference_implIS3_Lb1ELb0EPKhPhN6thrust23THRUST_200600_302600_NS4plusIhEEEE10hipError_tPvRmT2_T3_mT4_P12ihipStream_tbEUlmE_hEESD_NS0_8identityIvEEEESI_SL_SM_mSN_SP_bEUlT_E_NS1_11comp_targetILNS1_3genE10ELNS1_11target_archE1200ELNS1_3gpuE4ELNS1_3repE0EEENS1_30default_config_static_selectorELNS0_4arch9wavefront6targetE1EEEvT1_
; %bb.0:
	.section	.rodata,"a",@progbits
	.p2align	6, 0x0
	.amdhsa_kernel _ZN7rocprim17ROCPRIM_400000_NS6detail17trampoline_kernelINS0_14default_configENS1_25transform_config_selectorIhLb0EEEZNS1_14transform_implILb0ES3_S5_NS0_18transform_iteratorINS0_17counting_iteratorImlEEZNS1_24adjacent_difference_implIS3_Lb1ELb0EPKhPhN6thrust23THRUST_200600_302600_NS4plusIhEEEE10hipError_tPvRmT2_T3_mT4_P12ihipStream_tbEUlmE_hEESD_NS0_8identityIvEEEESI_SL_SM_mSN_SP_bEUlT_E_NS1_11comp_targetILNS1_3genE10ELNS1_11target_archE1200ELNS1_3gpuE4ELNS1_3repE0EEENS1_30default_config_static_selectorELNS0_4arch9wavefront6targetE1EEEvT1_
		.amdhsa_group_segment_fixed_size 0
		.amdhsa_private_segment_fixed_size 0
		.amdhsa_kernarg_size 56
		.amdhsa_user_sgpr_count 2
		.amdhsa_user_sgpr_dispatch_ptr 0
		.amdhsa_user_sgpr_queue_ptr 0
		.amdhsa_user_sgpr_kernarg_segment_ptr 1
		.amdhsa_user_sgpr_dispatch_id 0
		.amdhsa_user_sgpr_kernarg_preload_length 0
		.amdhsa_user_sgpr_kernarg_preload_offset 0
		.amdhsa_user_sgpr_private_segment_size 0
		.amdhsa_uses_dynamic_stack 0
		.amdhsa_enable_private_segment 0
		.amdhsa_system_sgpr_workgroup_id_x 1
		.amdhsa_system_sgpr_workgroup_id_y 0
		.amdhsa_system_sgpr_workgroup_id_z 0
		.amdhsa_system_sgpr_workgroup_info 0
		.amdhsa_system_vgpr_workitem_id 0
		.amdhsa_next_free_vgpr 1
		.amdhsa_next_free_sgpr 0
		.amdhsa_accum_offset 4
		.amdhsa_reserve_vcc 0
		.amdhsa_float_round_mode_32 0
		.amdhsa_float_round_mode_16_64 0
		.amdhsa_float_denorm_mode_32 3
		.amdhsa_float_denorm_mode_16_64 3
		.amdhsa_dx10_clamp 1
		.amdhsa_ieee_mode 1
		.amdhsa_fp16_overflow 0
		.amdhsa_tg_split 0
		.amdhsa_exception_fp_ieee_invalid_op 0
		.amdhsa_exception_fp_denorm_src 0
		.amdhsa_exception_fp_ieee_div_zero 0
		.amdhsa_exception_fp_ieee_overflow 0
		.amdhsa_exception_fp_ieee_underflow 0
		.amdhsa_exception_fp_ieee_inexact 0
		.amdhsa_exception_int_div_zero 0
	.end_amdhsa_kernel
	.section	.text._ZN7rocprim17ROCPRIM_400000_NS6detail17trampoline_kernelINS0_14default_configENS1_25transform_config_selectorIhLb0EEEZNS1_14transform_implILb0ES3_S5_NS0_18transform_iteratorINS0_17counting_iteratorImlEEZNS1_24adjacent_difference_implIS3_Lb1ELb0EPKhPhN6thrust23THRUST_200600_302600_NS4plusIhEEEE10hipError_tPvRmT2_T3_mT4_P12ihipStream_tbEUlmE_hEESD_NS0_8identityIvEEEESI_SL_SM_mSN_SP_bEUlT_E_NS1_11comp_targetILNS1_3genE10ELNS1_11target_archE1200ELNS1_3gpuE4ELNS1_3repE0EEENS1_30default_config_static_selectorELNS0_4arch9wavefront6targetE1EEEvT1_,"axG",@progbits,_ZN7rocprim17ROCPRIM_400000_NS6detail17trampoline_kernelINS0_14default_configENS1_25transform_config_selectorIhLb0EEEZNS1_14transform_implILb0ES3_S5_NS0_18transform_iteratorINS0_17counting_iteratorImlEEZNS1_24adjacent_difference_implIS3_Lb1ELb0EPKhPhN6thrust23THRUST_200600_302600_NS4plusIhEEEE10hipError_tPvRmT2_T3_mT4_P12ihipStream_tbEUlmE_hEESD_NS0_8identityIvEEEESI_SL_SM_mSN_SP_bEUlT_E_NS1_11comp_targetILNS1_3genE10ELNS1_11target_archE1200ELNS1_3gpuE4ELNS1_3repE0EEENS1_30default_config_static_selectorELNS0_4arch9wavefront6targetE1EEEvT1_,comdat
.Lfunc_end505:
	.size	_ZN7rocprim17ROCPRIM_400000_NS6detail17trampoline_kernelINS0_14default_configENS1_25transform_config_selectorIhLb0EEEZNS1_14transform_implILb0ES3_S5_NS0_18transform_iteratorINS0_17counting_iteratorImlEEZNS1_24adjacent_difference_implIS3_Lb1ELb0EPKhPhN6thrust23THRUST_200600_302600_NS4plusIhEEEE10hipError_tPvRmT2_T3_mT4_P12ihipStream_tbEUlmE_hEESD_NS0_8identityIvEEEESI_SL_SM_mSN_SP_bEUlT_E_NS1_11comp_targetILNS1_3genE10ELNS1_11target_archE1200ELNS1_3gpuE4ELNS1_3repE0EEENS1_30default_config_static_selectorELNS0_4arch9wavefront6targetE1EEEvT1_, .Lfunc_end505-_ZN7rocprim17ROCPRIM_400000_NS6detail17trampoline_kernelINS0_14default_configENS1_25transform_config_selectorIhLb0EEEZNS1_14transform_implILb0ES3_S5_NS0_18transform_iteratorINS0_17counting_iteratorImlEEZNS1_24adjacent_difference_implIS3_Lb1ELb0EPKhPhN6thrust23THRUST_200600_302600_NS4plusIhEEEE10hipError_tPvRmT2_T3_mT4_P12ihipStream_tbEUlmE_hEESD_NS0_8identityIvEEEESI_SL_SM_mSN_SP_bEUlT_E_NS1_11comp_targetILNS1_3genE10ELNS1_11target_archE1200ELNS1_3gpuE4ELNS1_3repE0EEENS1_30default_config_static_selectorELNS0_4arch9wavefront6targetE1EEEvT1_
                                        ; -- End function
	.section	.AMDGPU.csdata,"",@progbits
; Kernel info:
; codeLenInByte = 0
; NumSgprs: 6
; NumVgprs: 0
; NumAgprs: 0
; TotalNumVgprs: 0
; ScratchSize: 0
; MemoryBound: 0
; FloatMode: 240
; IeeeMode: 1
; LDSByteSize: 0 bytes/workgroup (compile time only)
; SGPRBlocks: 0
; VGPRBlocks: 0
; NumSGPRsForWavesPerEU: 6
; NumVGPRsForWavesPerEU: 1
; AccumOffset: 4
; Occupancy: 8
; WaveLimiterHint : 0
; COMPUTE_PGM_RSRC2:SCRATCH_EN: 0
; COMPUTE_PGM_RSRC2:USER_SGPR: 2
; COMPUTE_PGM_RSRC2:TRAP_HANDLER: 0
; COMPUTE_PGM_RSRC2:TGID_X_EN: 1
; COMPUTE_PGM_RSRC2:TGID_Y_EN: 0
; COMPUTE_PGM_RSRC2:TGID_Z_EN: 0
; COMPUTE_PGM_RSRC2:TIDIG_COMP_CNT: 0
; COMPUTE_PGM_RSRC3_GFX90A:ACCUM_OFFSET: 0
; COMPUTE_PGM_RSRC3_GFX90A:TG_SPLIT: 0
	.section	.text._ZN7rocprim17ROCPRIM_400000_NS6detail17trampoline_kernelINS0_14default_configENS1_25transform_config_selectorIhLb0EEEZNS1_14transform_implILb0ES3_S5_NS0_18transform_iteratorINS0_17counting_iteratorImlEEZNS1_24adjacent_difference_implIS3_Lb1ELb0EPKhPhN6thrust23THRUST_200600_302600_NS4plusIhEEEE10hipError_tPvRmT2_T3_mT4_P12ihipStream_tbEUlmE_hEESD_NS0_8identityIvEEEESI_SL_SM_mSN_SP_bEUlT_E_NS1_11comp_targetILNS1_3genE9ELNS1_11target_archE1100ELNS1_3gpuE3ELNS1_3repE0EEENS1_30default_config_static_selectorELNS0_4arch9wavefront6targetE1EEEvT1_,"axG",@progbits,_ZN7rocprim17ROCPRIM_400000_NS6detail17trampoline_kernelINS0_14default_configENS1_25transform_config_selectorIhLb0EEEZNS1_14transform_implILb0ES3_S5_NS0_18transform_iteratorINS0_17counting_iteratorImlEEZNS1_24adjacent_difference_implIS3_Lb1ELb0EPKhPhN6thrust23THRUST_200600_302600_NS4plusIhEEEE10hipError_tPvRmT2_T3_mT4_P12ihipStream_tbEUlmE_hEESD_NS0_8identityIvEEEESI_SL_SM_mSN_SP_bEUlT_E_NS1_11comp_targetILNS1_3genE9ELNS1_11target_archE1100ELNS1_3gpuE3ELNS1_3repE0EEENS1_30default_config_static_selectorELNS0_4arch9wavefront6targetE1EEEvT1_,comdat
	.protected	_ZN7rocprim17ROCPRIM_400000_NS6detail17trampoline_kernelINS0_14default_configENS1_25transform_config_selectorIhLb0EEEZNS1_14transform_implILb0ES3_S5_NS0_18transform_iteratorINS0_17counting_iteratorImlEEZNS1_24adjacent_difference_implIS3_Lb1ELb0EPKhPhN6thrust23THRUST_200600_302600_NS4plusIhEEEE10hipError_tPvRmT2_T3_mT4_P12ihipStream_tbEUlmE_hEESD_NS0_8identityIvEEEESI_SL_SM_mSN_SP_bEUlT_E_NS1_11comp_targetILNS1_3genE9ELNS1_11target_archE1100ELNS1_3gpuE3ELNS1_3repE0EEENS1_30default_config_static_selectorELNS0_4arch9wavefront6targetE1EEEvT1_ ; -- Begin function _ZN7rocprim17ROCPRIM_400000_NS6detail17trampoline_kernelINS0_14default_configENS1_25transform_config_selectorIhLb0EEEZNS1_14transform_implILb0ES3_S5_NS0_18transform_iteratorINS0_17counting_iteratorImlEEZNS1_24adjacent_difference_implIS3_Lb1ELb0EPKhPhN6thrust23THRUST_200600_302600_NS4plusIhEEEE10hipError_tPvRmT2_T3_mT4_P12ihipStream_tbEUlmE_hEESD_NS0_8identityIvEEEESI_SL_SM_mSN_SP_bEUlT_E_NS1_11comp_targetILNS1_3genE9ELNS1_11target_archE1100ELNS1_3gpuE3ELNS1_3repE0EEENS1_30default_config_static_selectorELNS0_4arch9wavefront6targetE1EEEvT1_
	.globl	_ZN7rocprim17ROCPRIM_400000_NS6detail17trampoline_kernelINS0_14default_configENS1_25transform_config_selectorIhLb0EEEZNS1_14transform_implILb0ES3_S5_NS0_18transform_iteratorINS0_17counting_iteratorImlEEZNS1_24adjacent_difference_implIS3_Lb1ELb0EPKhPhN6thrust23THRUST_200600_302600_NS4plusIhEEEE10hipError_tPvRmT2_T3_mT4_P12ihipStream_tbEUlmE_hEESD_NS0_8identityIvEEEESI_SL_SM_mSN_SP_bEUlT_E_NS1_11comp_targetILNS1_3genE9ELNS1_11target_archE1100ELNS1_3gpuE3ELNS1_3repE0EEENS1_30default_config_static_selectorELNS0_4arch9wavefront6targetE1EEEvT1_
	.p2align	8
	.type	_ZN7rocprim17ROCPRIM_400000_NS6detail17trampoline_kernelINS0_14default_configENS1_25transform_config_selectorIhLb0EEEZNS1_14transform_implILb0ES3_S5_NS0_18transform_iteratorINS0_17counting_iteratorImlEEZNS1_24adjacent_difference_implIS3_Lb1ELb0EPKhPhN6thrust23THRUST_200600_302600_NS4plusIhEEEE10hipError_tPvRmT2_T3_mT4_P12ihipStream_tbEUlmE_hEESD_NS0_8identityIvEEEESI_SL_SM_mSN_SP_bEUlT_E_NS1_11comp_targetILNS1_3genE9ELNS1_11target_archE1100ELNS1_3gpuE3ELNS1_3repE0EEENS1_30default_config_static_selectorELNS0_4arch9wavefront6targetE1EEEvT1_,@function
_ZN7rocprim17ROCPRIM_400000_NS6detail17trampoline_kernelINS0_14default_configENS1_25transform_config_selectorIhLb0EEEZNS1_14transform_implILb0ES3_S5_NS0_18transform_iteratorINS0_17counting_iteratorImlEEZNS1_24adjacent_difference_implIS3_Lb1ELb0EPKhPhN6thrust23THRUST_200600_302600_NS4plusIhEEEE10hipError_tPvRmT2_T3_mT4_P12ihipStream_tbEUlmE_hEESD_NS0_8identityIvEEEESI_SL_SM_mSN_SP_bEUlT_E_NS1_11comp_targetILNS1_3genE9ELNS1_11target_archE1100ELNS1_3gpuE3ELNS1_3repE0EEENS1_30default_config_static_selectorELNS0_4arch9wavefront6targetE1EEEvT1_: ; @_ZN7rocprim17ROCPRIM_400000_NS6detail17trampoline_kernelINS0_14default_configENS1_25transform_config_selectorIhLb0EEEZNS1_14transform_implILb0ES3_S5_NS0_18transform_iteratorINS0_17counting_iteratorImlEEZNS1_24adjacent_difference_implIS3_Lb1ELb0EPKhPhN6thrust23THRUST_200600_302600_NS4plusIhEEEE10hipError_tPvRmT2_T3_mT4_P12ihipStream_tbEUlmE_hEESD_NS0_8identityIvEEEESI_SL_SM_mSN_SP_bEUlT_E_NS1_11comp_targetILNS1_3genE9ELNS1_11target_archE1100ELNS1_3gpuE3ELNS1_3repE0EEENS1_30default_config_static_selectorELNS0_4arch9wavefront6targetE1EEEvT1_
; %bb.0:
	.section	.rodata,"a",@progbits
	.p2align	6, 0x0
	.amdhsa_kernel _ZN7rocprim17ROCPRIM_400000_NS6detail17trampoline_kernelINS0_14default_configENS1_25transform_config_selectorIhLb0EEEZNS1_14transform_implILb0ES3_S5_NS0_18transform_iteratorINS0_17counting_iteratorImlEEZNS1_24adjacent_difference_implIS3_Lb1ELb0EPKhPhN6thrust23THRUST_200600_302600_NS4plusIhEEEE10hipError_tPvRmT2_T3_mT4_P12ihipStream_tbEUlmE_hEESD_NS0_8identityIvEEEESI_SL_SM_mSN_SP_bEUlT_E_NS1_11comp_targetILNS1_3genE9ELNS1_11target_archE1100ELNS1_3gpuE3ELNS1_3repE0EEENS1_30default_config_static_selectorELNS0_4arch9wavefront6targetE1EEEvT1_
		.amdhsa_group_segment_fixed_size 0
		.amdhsa_private_segment_fixed_size 0
		.amdhsa_kernarg_size 56
		.amdhsa_user_sgpr_count 2
		.amdhsa_user_sgpr_dispatch_ptr 0
		.amdhsa_user_sgpr_queue_ptr 0
		.amdhsa_user_sgpr_kernarg_segment_ptr 1
		.amdhsa_user_sgpr_dispatch_id 0
		.amdhsa_user_sgpr_kernarg_preload_length 0
		.amdhsa_user_sgpr_kernarg_preload_offset 0
		.amdhsa_user_sgpr_private_segment_size 0
		.amdhsa_uses_dynamic_stack 0
		.amdhsa_enable_private_segment 0
		.amdhsa_system_sgpr_workgroup_id_x 1
		.amdhsa_system_sgpr_workgroup_id_y 0
		.amdhsa_system_sgpr_workgroup_id_z 0
		.amdhsa_system_sgpr_workgroup_info 0
		.amdhsa_system_vgpr_workitem_id 0
		.amdhsa_next_free_vgpr 1
		.amdhsa_next_free_sgpr 0
		.amdhsa_accum_offset 4
		.amdhsa_reserve_vcc 0
		.amdhsa_float_round_mode_32 0
		.amdhsa_float_round_mode_16_64 0
		.amdhsa_float_denorm_mode_32 3
		.amdhsa_float_denorm_mode_16_64 3
		.amdhsa_dx10_clamp 1
		.amdhsa_ieee_mode 1
		.amdhsa_fp16_overflow 0
		.amdhsa_tg_split 0
		.amdhsa_exception_fp_ieee_invalid_op 0
		.amdhsa_exception_fp_denorm_src 0
		.amdhsa_exception_fp_ieee_div_zero 0
		.amdhsa_exception_fp_ieee_overflow 0
		.amdhsa_exception_fp_ieee_underflow 0
		.amdhsa_exception_fp_ieee_inexact 0
		.amdhsa_exception_int_div_zero 0
	.end_amdhsa_kernel
	.section	.text._ZN7rocprim17ROCPRIM_400000_NS6detail17trampoline_kernelINS0_14default_configENS1_25transform_config_selectorIhLb0EEEZNS1_14transform_implILb0ES3_S5_NS0_18transform_iteratorINS0_17counting_iteratorImlEEZNS1_24adjacent_difference_implIS3_Lb1ELb0EPKhPhN6thrust23THRUST_200600_302600_NS4plusIhEEEE10hipError_tPvRmT2_T3_mT4_P12ihipStream_tbEUlmE_hEESD_NS0_8identityIvEEEESI_SL_SM_mSN_SP_bEUlT_E_NS1_11comp_targetILNS1_3genE9ELNS1_11target_archE1100ELNS1_3gpuE3ELNS1_3repE0EEENS1_30default_config_static_selectorELNS0_4arch9wavefront6targetE1EEEvT1_,"axG",@progbits,_ZN7rocprim17ROCPRIM_400000_NS6detail17trampoline_kernelINS0_14default_configENS1_25transform_config_selectorIhLb0EEEZNS1_14transform_implILb0ES3_S5_NS0_18transform_iteratorINS0_17counting_iteratorImlEEZNS1_24adjacent_difference_implIS3_Lb1ELb0EPKhPhN6thrust23THRUST_200600_302600_NS4plusIhEEEE10hipError_tPvRmT2_T3_mT4_P12ihipStream_tbEUlmE_hEESD_NS0_8identityIvEEEESI_SL_SM_mSN_SP_bEUlT_E_NS1_11comp_targetILNS1_3genE9ELNS1_11target_archE1100ELNS1_3gpuE3ELNS1_3repE0EEENS1_30default_config_static_selectorELNS0_4arch9wavefront6targetE1EEEvT1_,comdat
.Lfunc_end506:
	.size	_ZN7rocprim17ROCPRIM_400000_NS6detail17trampoline_kernelINS0_14default_configENS1_25transform_config_selectorIhLb0EEEZNS1_14transform_implILb0ES3_S5_NS0_18transform_iteratorINS0_17counting_iteratorImlEEZNS1_24adjacent_difference_implIS3_Lb1ELb0EPKhPhN6thrust23THRUST_200600_302600_NS4plusIhEEEE10hipError_tPvRmT2_T3_mT4_P12ihipStream_tbEUlmE_hEESD_NS0_8identityIvEEEESI_SL_SM_mSN_SP_bEUlT_E_NS1_11comp_targetILNS1_3genE9ELNS1_11target_archE1100ELNS1_3gpuE3ELNS1_3repE0EEENS1_30default_config_static_selectorELNS0_4arch9wavefront6targetE1EEEvT1_, .Lfunc_end506-_ZN7rocprim17ROCPRIM_400000_NS6detail17trampoline_kernelINS0_14default_configENS1_25transform_config_selectorIhLb0EEEZNS1_14transform_implILb0ES3_S5_NS0_18transform_iteratorINS0_17counting_iteratorImlEEZNS1_24adjacent_difference_implIS3_Lb1ELb0EPKhPhN6thrust23THRUST_200600_302600_NS4plusIhEEEE10hipError_tPvRmT2_T3_mT4_P12ihipStream_tbEUlmE_hEESD_NS0_8identityIvEEEESI_SL_SM_mSN_SP_bEUlT_E_NS1_11comp_targetILNS1_3genE9ELNS1_11target_archE1100ELNS1_3gpuE3ELNS1_3repE0EEENS1_30default_config_static_selectorELNS0_4arch9wavefront6targetE1EEEvT1_
                                        ; -- End function
	.section	.AMDGPU.csdata,"",@progbits
; Kernel info:
; codeLenInByte = 0
; NumSgprs: 6
; NumVgprs: 0
; NumAgprs: 0
; TotalNumVgprs: 0
; ScratchSize: 0
; MemoryBound: 0
; FloatMode: 240
; IeeeMode: 1
; LDSByteSize: 0 bytes/workgroup (compile time only)
; SGPRBlocks: 0
; VGPRBlocks: 0
; NumSGPRsForWavesPerEU: 6
; NumVGPRsForWavesPerEU: 1
; AccumOffset: 4
; Occupancy: 8
; WaveLimiterHint : 0
; COMPUTE_PGM_RSRC2:SCRATCH_EN: 0
; COMPUTE_PGM_RSRC2:USER_SGPR: 2
; COMPUTE_PGM_RSRC2:TRAP_HANDLER: 0
; COMPUTE_PGM_RSRC2:TGID_X_EN: 1
; COMPUTE_PGM_RSRC2:TGID_Y_EN: 0
; COMPUTE_PGM_RSRC2:TGID_Z_EN: 0
; COMPUTE_PGM_RSRC2:TIDIG_COMP_CNT: 0
; COMPUTE_PGM_RSRC3_GFX90A:ACCUM_OFFSET: 0
; COMPUTE_PGM_RSRC3_GFX90A:TG_SPLIT: 0
	.section	.text._ZN7rocprim17ROCPRIM_400000_NS6detail17trampoline_kernelINS0_14default_configENS1_25transform_config_selectorIhLb0EEEZNS1_14transform_implILb0ES3_S5_NS0_18transform_iteratorINS0_17counting_iteratorImlEEZNS1_24adjacent_difference_implIS3_Lb1ELb0EPKhPhN6thrust23THRUST_200600_302600_NS4plusIhEEEE10hipError_tPvRmT2_T3_mT4_P12ihipStream_tbEUlmE_hEESD_NS0_8identityIvEEEESI_SL_SM_mSN_SP_bEUlT_E_NS1_11comp_targetILNS1_3genE8ELNS1_11target_archE1030ELNS1_3gpuE2ELNS1_3repE0EEENS1_30default_config_static_selectorELNS0_4arch9wavefront6targetE1EEEvT1_,"axG",@progbits,_ZN7rocprim17ROCPRIM_400000_NS6detail17trampoline_kernelINS0_14default_configENS1_25transform_config_selectorIhLb0EEEZNS1_14transform_implILb0ES3_S5_NS0_18transform_iteratorINS0_17counting_iteratorImlEEZNS1_24adjacent_difference_implIS3_Lb1ELb0EPKhPhN6thrust23THRUST_200600_302600_NS4plusIhEEEE10hipError_tPvRmT2_T3_mT4_P12ihipStream_tbEUlmE_hEESD_NS0_8identityIvEEEESI_SL_SM_mSN_SP_bEUlT_E_NS1_11comp_targetILNS1_3genE8ELNS1_11target_archE1030ELNS1_3gpuE2ELNS1_3repE0EEENS1_30default_config_static_selectorELNS0_4arch9wavefront6targetE1EEEvT1_,comdat
	.protected	_ZN7rocprim17ROCPRIM_400000_NS6detail17trampoline_kernelINS0_14default_configENS1_25transform_config_selectorIhLb0EEEZNS1_14transform_implILb0ES3_S5_NS0_18transform_iteratorINS0_17counting_iteratorImlEEZNS1_24adjacent_difference_implIS3_Lb1ELb0EPKhPhN6thrust23THRUST_200600_302600_NS4plusIhEEEE10hipError_tPvRmT2_T3_mT4_P12ihipStream_tbEUlmE_hEESD_NS0_8identityIvEEEESI_SL_SM_mSN_SP_bEUlT_E_NS1_11comp_targetILNS1_3genE8ELNS1_11target_archE1030ELNS1_3gpuE2ELNS1_3repE0EEENS1_30default_config_static_selectorELNS0_4arch9wavefront6targetE1EEEvT1_ ; -- Begin function _ZN7rocprim17ROCPRIM_400000_NS6detail17trampoline_kernelINS0_14default_configENS1_25transform_config_selectorIhLb0EEEZNS1_14transform_implILb0ES3_S5_NS0_18transform_iteratorINS0_17counting_iteratorImlEEZNS1_24adjacent_difference_implIS3_Lb1ELb0EPKhPhN6thrust23THRUST_200600_302600_NS4plusIhEEEE10hipError_tPvRmT2_T3_mT4_P12ihipStream_tbEUlmE_hEESD_NS0_8identityIvEEEESI_SL_SM_mSN_SP_bEUlT_E_NS1_11comp_targetILNS1_3genE8ELNS1_11target_archE1030ELNS1_3gpuE2ELNS1_3repE0EEENS1_30default_config_static_selectorELNS0_4arch9wavefront6targetE1EEEvT1_
	.globl	_ZN7rocprim17ROCPRIM_400000_NS6detail17trampoline_kernelINS0_14default_configENS1_25transform_config_selectorIhLb0EEEZNS1_14transform_implILb0ES3_S5_NS0_18transform_iteratorINS0_17counting_iteratorImlEEZNS1_24adjacent_difference_implIS3_Lb1ELb0EPKhPhN6thrust23THRUST_200600_302600_NS4plusIhEEEE10hipError_tPvRmT2_T3_mT4_P12ihipStream_tbEUlmE_hEESD_NS0_8identityIvEEEESI_SL_SM_mSN_SP_bEUlT_E_NS1_11comp_targetILNS1_3genE8ELNS1_11target_archE1030ELNS1_3gpuE2ELNS1_3repE0EEENS1_30default_config_static_selectorELNS0_4arch9wavefront6targetE1EEEvT1_
	.p2align	8
	.type	_ZN7rocprim17ROCPRIM_400000_NS6detail17trampoline_kernelINS0_14default_configENS1_25transform_config_selectorIhLb0EEEZNS1_14transform_implILb0ES3_S5_NS0_18transform_iteratorINS0_17counting_iteratorImlEEZNS1_24adjacent_difference_implIS3_Lb1ELb0EPKhPhN6thrust23THRUST_200600_302600_NS4plusIhEEEE10hipError_tPvRmT2_T3_mT4_P12ihipStream_tbEUlmE_hEESD_NS0_8identityIvEEEESI_SL_SM_mSN_SP_bEUlT_E_NS1_11comp_targetILNS1_3genE8ELNS1_11target_archE1030ELNS1_3gpuE2ELNS1_3repE0EEENS1_30default_config_static_selectorELNS0_4arch9wavefront6targetE1EEEvT1_,@function
_ZN7rocprim17ROCPRIM_400000_NS6detail17trampoline_kernelINS0_14default_configENS1_25transform_config_selectorIhLb0EEEZNS1_14transform_implILb0ES3_S5_NS0_18transform_iteratorINS0_17counting_iteratorImlEEZNS1_24adjacent_difference_implIS3_Lb1ELb0EPKhPhN6thrust23THRUST_200600_302600_NS4plusIhEEEE10hipError_tPvRmT2_T3_mT4_P12ihipStream_tbEUlmE_hEESD_NS0_8identityIvEEEESI_SL_SM_mSN_SP_bEUlT_E_NS1_11comp_targetILNS1_3genE8ELNS1_11target_archE1030ELNS1_3gpuE2ELNS1_3repE0EEENS1_30default_config_static_selectorELNS0_4arch9wavefront6targetE1EEEvT1_: ; @_ZN7rocprim17ROCPRIM_400000_NS6detail17trampoline_kernelINS0_14default_configENS1_25transform_config_selectorIhLb0EEEZNS1_14transform_implILb0ES3_S5_NS0_18transform_iteratorINS0_17counting_iteratorImlEEZNS1_24adjacent_difference_implIS3_Lb1ELb0EPKhPhN6thrust23THRUST_200600_302600_NS4plusIhEEEE10hipError_tPvRmT2_T3_mT4_P12ihipStream_tbEUlmE_hEESD_NS0_8identityIvEEEESI_SL_SM_mSN_SP_bEUlT_E_NS1_11comp_targetILNS1_3genE8ELNS1_11target_archE1030ELNS1_3gpuE2ELNS1_3repE0EEENS1_30default_config_static_selectorELNS0_4arch9wavefront6targetE1EEEvT1_
; %bb.0:
	.section	.rodata,"a",@progbits
	.p2align	6, 0x0
	.amdhsa_kernel _ZN7rocprim17ROCPRIM_400000_NS6detail17trampoline_kernelINS0_14default_configENS1_25transform_config_selectorIhLb0EEEZNS1_14transform_implILb0ES3_S5_NS0_18transform_iteratorINS0_17counting_iteratorImlEEZNS1_24adjacent_difference_implIS3_Lb1ELb0EPKhPhN6thrust23THRUST_200600_302600_NS4plusIhEEEE10hipError_tPvRmT2_T3_mT4_P12ihipStream_tbEUlmE_hEESD_NS0_8identityIvEEEESI_SL_SM_mSN_SP_bEUlT_E_NS1_11comp_targetILNS1_3genE8ELNS1_11target_archE1030ELNS1_3gpuE2ELNS1_3repE0EEENS1_30default_config_static_selectorELNS0_4arch9wavefront6targetE1EEEvT1_
		.amdhsa_group_segment_fixed_size 0
		.amdhsa_private_segment_fixed_size 0
		.amdhsa_kernarg_size 56
		.amdhsa_user_sgpr_count 2
		.amdhsa_user_sgpr_dispatch_ptr 0
		.amdhsa_user_sgpr_queue_ptr 0
		.amdhsa_user_sgpr_kernarg_segment_ptr 1
		.amdhsa_user_sgpr_dispatch_id 0
		.amdhsa_user_sgpr_kernarg_preload_length 0
		.amdhsa_user_sgpr_kernarg_preload_offset 0
		.amdhsa_user_sgpr_private_segment_size 0
		.amdhsa_uses_dynamic_stack 0
		.amdhsa_enable_private_segment 0
		.amdhsa_system_sgpr_workgroup_id_x 1
		.amdhsa_system_sgpr_workgroup_id_y 0
		.amdhsa_system_sgpr_workgroup_id_z 0
		.amdhsa_system_sgpr_workgroup_info 0
		.amdhsa_system_vgpr_workitem_id 0
		.amdhsa_next_free_vgpr 1
		.amdhsa_next_free_sgpr 0
		.amdhsa_accum_offset 4
		.amdhsa_reserve_vcc 0
		.amdhsa_float_round_mode_32 0
		.amdhsa_float_round_mode_16_64 0
		.amdhsa_float_denorm_mode_32 3
		.amdhsa_float_denorm_mode_16_64 3
		.amdhsa_dx10_clamp 1
		.amdhsa_ieee_mode 1
		.amdhsa_fp16_overflow 0
		.amdhsa_tg_split 0
		.amdhsa_exception_fp_ieee_invalid_op 0
		.amdhsa_exception_fp_denorm_src 0
		.amdhsa_exception_fp_ieee_div_zero 0
		.amdhsa_exception_fp_ieee_overflow 0
		.amdhsa_exception_fp_ieee_underflow 0
		.amdhsa_exception_fp_ieee_inexact 0
		.amdhsa_exception_int_div_zero 0
	.end_amdhsa_kernel
	.section	.text._ZN7rocprim17ROCPRIM_400000_NS6detail17trampoline_kernelINS0_14default_configENS1_25transform_config_selectorIhLb0EEEZNS1_14transform_implILb0ES3_S5_NS0_18transform_iteratorINS0_17counting_iteratorImlEEZNS1_24adjacent_difference_implIS3_Lb1ELb0EPKhPhN6thrust23THRUST_200600_302600_NS4plusIhEEEE10hipError_tPvRmT2_T3_mT4_P12ihipStream_tbEUlmE_hEESD_NS0_8identityIvEEEESI_SL_SM_mSN_SP_bEUlT_E_NS1_11comp_targetILNS1_3genE8ELNS1_11target_archE1030ELNS1_3gpuE2ELNS1_3repE0EEENS1_30default_config_static_selectorELNS0_4arch9wavefront6targetE1EEEvT1_,"axG",@progbits,_ZN7rocprim17ROCPRIM_400000_NS6detail17trampoline_kernelINS0_14default_configENS1_25transform_config_selectorIhLb0EEEZNS1_14transform_implILb0ES3_S5_NS0_18transform_iteratorINS0_17counting_iteratorImlEEZNS1_24adjacent_difference_implIS3_Lb1ELb0EPKhPhN6thrust23THRUST_200600_302600_NS4plusIhEEEE10hipError_tPvRmT2_T3_mT4_P12ihipStream_tbEUlmE_hEESD_NS0_8identityIvEEEESI_SL_SM_mSN_SP_bEUlT_E_NS1_11comp_targetILNS1_3genE8ELNS1_11target_archE1030ELNS1_3gpuE2ELNS1_3repE0EEENS1_30default_config_static_selectorELNS0_4arch9wavefront6targetE1EEEvT1_,comdat
.Lfunc_end507:
	.size	_ZN7rocprim17ROCPRIM_400000_NS6detail17trampoline_kernelINS0_14default_configENS1_25transform_config_selectorIhLb0EEEZNS1_14transform_implILb0ES3_S5_NS0_18transform_iteratorINS0_17counting_iteratorImlEEZNS1_24adjacent_difference_implIS3_Lb1ELb0EPKhPhN6thrust23THRUST_200600_302600_NS4plusIhEEEE10hipError_tPvRmT2_T3_mT4_P12ihipStream_tbEUlmE_hEESD_NS0_8identityIvEEEESI_SL_SM_mSN_SP_bEUlT_E_NS1_11comp_targetILNS1_3genE8ELNS1_11target_archE1030ELNS1_3gpuE2ELNS1_3repE0EEENS1_30default_config_static_selectorELNS0_4arch9wavefront6targetE1EEEvT1_, .Lfunc_end507-_ZN7rocprim17ROCPRIM_400000_NS6detail17trampoline_kernelINS0_14default_configENS1_25transform_config_selectorIhLb0EEEZNS1_14transform_implILb0ES3_S5_NS0_18transform_iteratorINS0_17counting_iteratorImlEEZNS1_24adjacent_difference_implIS3_Lb1ELb0EPKhPhN6thrust23THRUST_200600_302600_NS4plusIhEEEE10hipError_tPvRmT2_T3_mT4_P12ihipStream_tbEUlmE_hEESD_NS0_8identityIvEEEESI_SL_SM_mSN_SP_bEUlT_E_NS1_11comp_targetILNS1_3genE8ELNS1_11target_archE1030ELNS1_3gpuE2ELNS1_3repE0EEENS1_30default_config_static_selectorELNS0_4arch9wavefront6targetE1EEEvT1_
                                        ; -- End function
	.section	.AMDGPU.csdata,"",@progbits
; Kernel info:
; codeLenInByte = 0
; NumSgprs: 6
; NumVgprs: 0
; NumAgprs: 0
; TotalNumVgprs: 0
; ScratchSize: 0
; MemoryBound: 0
; FloatMode: 240
; IeeeMode: 1
; LDSByteSize: 0 bytes/workgroup (compile time only)
; SGPRBlocks: 0
; VGPRBlocks: 0
; NumSGPRsForWavesPerEU: 6
; NumVGPRsForWavesPerEU: 1
; AccumOffset: 4
; Occupancy: 8
; WaveLimiterHint : 0
; COMPUTE_PGM_RSRC2:SCRATCH_EN: 0
; COMPUTE_PGM_RSRC2:USER_SGPR: 2
; COMPUTE_PGM_RSRC2:TRAP_HANDLER: 0
; COMPUTE_PGM_RSRC2:TGID_X_EN: 1
; COMPUTE_PGM_RSRC2:TGID_Y_EN: 0
; COMPUTE_PGM_RSRC2:TGID_Z_EN: 0
; COMPUTE_PGM_RSRC2:TIDIG_COMP_CNT: 0
; COMPUTE_PGM_RSRC3_GFX90A:ACCUM_OFFSET: 0
; COMPUTE_PGM_RSRC3_GFX90A:TG_SPLIT: 0
	.section	.text._ZN7rocprim17ROCPRIM_400000_NS6detail17trampoline_kernelINS0_14default_configENS1_35adjacent_difference_config_selectorILb1EhEEZNS1_24adjacent_difference_implIS3_Lb1ELb0EPKhPhN6thrust23THRUST_200600_302600_NS4plusIhEEEE10hipError_tPvRmT2_T3_mT4_P12ihipStream_tbEUlT_E_NS1_11comp_targetILNS1_3genE0ELNS1_11target_archE4294967295ELNS1_3gpuE0ELNS1_3repE0EEENS1_30default_config_static_selectorELNS0_4arch9wavefront6targetE1EEEvT1_,"axG",@progbits,_ZN7rocprim17ROCPRIM_400000_NS6detail17trampoline_kernelINS0_14default_configENS1_35adjacent_difference_config_selectorILb1EhEEZNS1_24adjacent_difference_implIS3_Lb1ELb0EPKhPhN6thrust23THRUST_200600_302600_NS4plusIhEEEE10hipError_tPvRmT2_T3_mT4_P12ihipStream_tbEUlT_E_NS1_11comp_targetILNS1_3genE0ELNS1_11target_archE4294967295ELNS1_3gpuE0ELNS1_3repE0EEENS1_30default_config_static_selectorELNS0_4arch9wavefront6targetE1EEEvT1_,comdat
	.protected	_ZN7rocprim17ROCPRIM_400000_NS6detail17trampoline_kernelINS0_14default_configENS1_35adjacent_difference_config_selectorILb1EhEEZNS1_24adjacent_difference_implIS3_Lb1ELb0EPKhPhN6thrust23THRUST_200600_302600_NS4plusIhEEEE10hipError_tPvRmT2_T3_mT4_P12ihipStream_tbEUlT_E_NS1_11comp_targetILNS1_3genE0ELNS1_11target_archE4294967295ELNS1_3gpuE0ELNS1_3repE0EEENS1_30default_config_static_selectorELNS0_4arch9wavefront6targetE1EEEvT1_ ; -- Begin function _ZN7rocprim17ROCPRIM_400000_NS6detail17trampoline_kernelINS0_14default_configENS1_35adjacent_difference_config_selectorILb1EhEEZNS1_24adjacent_difference_implIS3_Lb1ELb0EPKhPhN6thrust23THRUST_200600_302600_NS4plusIhEEEE10hipError_tPvRmT2_T3_mT4_P12ihipStream_tbEUlT_E_NS1_11comp_targetILNS1_3genE0ELNS1_11target_archE4294967295ELNS1_3gpuE0ELNS1_3repE0EEENS1_30default_config_static_selectorELNS0_4arch9wavefront6targetE1EEEvT1_
	.globl	_ZN7rocprim17ROCPRIM_400000_NS6detail17trampoline_kernelINS0_14default_configENS1_35adjacent_difference_config_selectorILb1EhEEZNS1_24adjacent_difference_implIS3_Lb1ELb0EPKhPhN6thrust23THRUST_200600_302600_NS4plusIhEEEE10hipError_tPvRmT2_T3_mT4_P12ihipStream_tbEUlT_E_NS1_11comp_targetILNS1_3genE0ELNS1_11target_archE4294967295ELNS1_3gpuE0ELNS1_3repE0EEENS1_30default_config_static_selectorELNS0_4arch9wavefront6targetE1EEEvT1_
	.p2align	8
	.type	_ZN7rocprim17ROCPRIM_400000_NS6detail17trampoline_kernelINS0_14default_configENS1_35adjacent_difference_config_selectorILb1EhEEZNS1_24adjacent_difference_implIS3_Lb1ELb0EPKhPhN6thrust23THRUST_200600_302600_NS4plusIhEEEE10hipError_tPvRmT2_T3_mT4_P12ihipStream_tbEUlT_E_NS1_11comp_targetILNS1_3genE0ELNS1_11target_archE4294967295ELNS1_3gpuE0ELNS1_3repE0EEENS1_30default_config_static_selectorELNS0_4arch9wavefront6targetE1EEEvT1_,@function
_ZN7rocprim17ROCPRIM_400000_NS6detail17trampoline_kernelINS0_14default_configENS1_35adjacent_difference_config_selectorILb1EhEEZNS1_24adjacent_difference_implIS3_Lb1ELb0EPKhPhN6thrust23THRUST_200600_302600_NS4plusIhEEEE10hipError_tPvRmT2_T3_mT4_P12ihipStream_tbEUlT_E_NS1_11comp_targetILNS1_3genE0ELNS1_11target_archE4294967295ELNS1_3gpuE0ELNS1_3repE0EEENS1_30default_config_static_selectorELNS0_4arch9wavefront6targetE1EEEvT1_: ; @_ZN7rocprim17ROCPRIM_400000_NS6detail17trampoline_kernelINS0_14default_configENS1_35adjacent_difference_config_selectorILb1EhEEZNS1_24adjacent_difference_implIS3_Lb1ELb0EPKhPhN6thrust23THRUST_200600_302600_NS4plusIhEEEE10hipError_tPvRmT2_T3_mT4_P12ihipStream_tbEUlT_E_NS1_11comp_targetILNS1_3genE0ELNS1_11target_archE4294967295ELNS1_3gpuE0ELNS1_3repE0EEENS1_30default_config_static_selectorELNS0_4arch9wavefront6targetE1EEEvT1_
; %bb.0:
	.section	.rodata,"a",@progbits
	.p2align	6, 0x0
	.amdhsa_kernel _ZN7rocprim17ROCPRIM_400000_NS6detail17trampoline_kernelINS0_14default_configENS1_35adjacent_difference_config_selectorILb1EhEEZNS1_24adjacent_difference_implIS3_Lb1ELb0EPKhPhN6thrust23THRUST_200600_302600_NS4plusIhEEEE10hipError_tPvRmT2_T3_mT4_P12ihipStream_tbEUlT_E_NS1_11comp_targetILNS1_3genE0ELNS1_11target_archE4294967295ELNS1_3gpuE0ELNS1_3repE0EEENS1_30default_config_static_selectorELNS0_4arch9wavefront6targetE1EEEvT1_
		.amdhsa_group_segment_fixed_size 0
		.amdhsa_private_segment_fixed_size 0
		.amdhsa_kernarg_size 56
		.amdhsa_user_sgpr_count 2
		.amdhsa_user_sgpr_dispatch_ptr 0
		.amdhsa_user_sgpr_queue_ptr 0
		.amdhsa_user_sgpr_kernarg_segment_ptr 1
		.amdhsa_user_sgpr_dispatch_id 0
		.amdhsa_user_sgpr_kernarg_preload_length 0
		.amdhsa_user_sgpr_kernarg_preload_offset 0
		.amdhsa_user_sgpr_private_segment_size 0
		.amdhsa_uses_dynamic_stack 0
		.amdhsa_enable_private_segment 0
		.amdhsa_system_sgpr_workgroup_id_x 1
		.amdhsa_system_sgpr_workgroup_id_y 0
		.amdhsa_system_sgpr_workgroup_id_z 0
		.amdhsa_system_sgpr_workgroup_info 0
		.amdhsa_system_vgpr_workitem_id 0
		.amdhsa_next_free_vgpr 1
		.amdhsa_next_free_sgpr 0
		.amdhsa_accum_offset 4
		.amdhsa_reserve_vcc 0
		.amdhsa_float_round_mode_32 0
		.amdhsa_float_round_mode_16_64 0
		.amdhsa_float_denorm_mode_32 3
		.amdhsa_float_denorm_mode_16_64 3
		.amdhsa_dx10_clamp 1
		.amdhsa_ieee_mode 1
		.amdhsa_fp16_overflow 0
		.amdhsa_tg_split 0
		.amdhsa_exception_fp_ieee_invalid_op 0
		.amdhsa_exception_fp_denorm_src 0
		.amdhsa_exception_fp_ieee_div_zero 0
		.amdhsa_exception_fp_ieee_overflow 0
		.amdhsa_exception_fp_ieee_underflow 0
		.amdhsa_exception_fp_ieee_inexact 0
		.amdhsa_exception_int_div_zero 0
	.end_amdhsa_kernel
	.section	.text._ZN7rocprim17ROCPRIM_400000_NS6detail17trampoline_kernelINS0_14default_configENS1_35adjacent_difference_config_selectorILb1EhEEZNS1_24adjacent_difference_implIS3_Lb1ELb0EPKhPhN6thrust23THRUST_200600_302600_NS4plusIhEEEE10hipError_tPvRmT2_T3_mT4_P12ihipStream_tbEUlT_E_NS1_11comp_targetILNS1_3genE0ELNS1_11target_archE4294967295ELNS1_3gpuE0ELNS1_3repE0EEENS1_30default_config_static_selectorELNS0_4arch9wavefront6targetE1EEEvT1_,"axG",@progbits,_ZN7rocprim17ROCPRIM_400000_NS6detail17trampoline_kernelINS0_14default_configENS1_35adjacent_difference_config_selectorILb1EhEEZNS1_24adjacent_difference_implIS3_Lb1ELb0EPKhPhN6thrust23THRUST_200600_302600_NS4plusIhEEEE10hipError_tPvRmT2_T3_mT4_P12ihipStream_tbEUlT_E_NS1_11comp_targetILNS1_3genE0ELNS1_11target_archE4294967295ELNS1_3gpuE0ELNS1_3repE0EEENS1_30default_config_static_selectorELNS0_4arch9wavefront6targetE1EEEvT1_,comdat
.Lfunc_end508:
	.size	_ZN7rocprim17ROCPRIM_400000_NS6detail17trampoline_kernelINS0_14default_configENS1_35adjacent_difference_config_selectorILb1EhEEZNS1_24adjacent_difference_implIS3_Lb1ELb0EPKhPhN6thrust23THRUST_200600_302600_NS4plusIhEEEE10hipError_tPvRmT2_T3_mT4_P12ihipStream_tbEUlT_E_NS1_11comp_targetILNS1_3genE0ELNS1_11target_archE4294967295ELNS1_3gpuE0ELNS1_3repE0EEENS1_30default_config_static_selectorELNS0_4arch9wavefront6targetE1EEEvT1_, .Lfunc_end508-_ZN7rocprim17ROCPRIM_400000_NS6detail17trampoline_kernelINS0_14default_configENS1_35adjacent_difference_config_selectorILb1EhEEZNS1_24adjacent_difference_implIS3_Lb1ELb0EPKhPhN6thrust23THRUST_200600_302600_NS4plusIhEEEE10hipError_tPvRmT2_T3_mT4_P12ihipStream_tbEUlT_E_NS1_11comp_targetILNS1_3genE0ELNS1_11target_archE4294967295ELNS1_3gpuE0ELNS1_3repE0EEENS1_30default_config_static_selectorELNS0_4arch9wavefront6targetE1EEEvT1_
                                        ; -- End function
	.section	.AMDGPU.csdata,"",@progbits
; Kernel info:
; codeLenInByte = 0
; NumSgprs: 6
; NumVgprs: 0
; NumAgprs: 0
; TotalNumVgprs: 0
; ScratchSize: 0
; MemoryBound: 0
; FloatMode: 240
; IeeeMode: 1
; LDSByteSize: 0 bytes/workgroup (compile time only)
; SGPRBlocks: 0
; VGPRBlocks: 0
; NumSGPRsForWavesPerEU: 6
; NumVGPRsForWavesPerEU: 1
; AccumOffset: 4
; Occupancy: 8
; WaveLimiterHint : 0
; COMPUTE_PGM_RSRC2:SCRATCH_EN: 0
; COMPUTE_PGM_RSRC2:USER_SGPR: 2
; COMPUTE_PGM_RSRC2:TRAP_HANDLER: 0
; COMPUTE_PGM_RSRC2:TGID_X_EN: 1
; COMPUTE_PGM_RSRC2:TGID_Y_EN: 0
; COMPUTE_PGM_RSRC2:TGID_Z_EN: 0
; COMPUTE_PGM_RSRC2:TIDIG_COMP_CNT: 0
; COMPUTE_PGM_RSRC3_GFX90A:ACCUM_OFFSET: 0
; COMPUTE_PGM_RSRC3_GFX90A:TG_SPLIT: 0
	.section	.text._ZN7rocprim17ROCPRIM_400000_NS6detail17trampoline_kernelINS0_14default_configENS1_35adjacent_difference_config_selectorILb1EhEEZNS1_24adjacent_difference_implIS3_Lb1ELb0EPKhPhN6thrust23THRUST_200600_302600_NS4plusIhEEEE10hipError_tPvRmT2_T3_mT4_P12ihipStream_tbEUlT_E_NS1_11comp_targetILNS1_3genE10ELNS1_11target_archE1201ELNS1_3gpuE5ELNS1_3repE0EEENS1_30default_config_static_selectorELNS0_4arch9wavefront6targetE1EEEvT1_,"axG",@progbits,_ZN7rocprim17ROCPRIM_400000_NS6detail17trampoline_kernelINS0_14default_configENS1_35adjacent_difference_config_selectorILb1EhEEZNS1_24adjacent_difference_implIS3_Lb1ELb0EPKhPhN6thrust23THRUST_200600_302600_NS4plusIhEEEE10hipError_tPvRmT2_T3_mT4_P12ihipStream_tbEUlT_E_NS1_11comp_targetILNS1_3genE10ELNS1_11target_archE1201ELNS1_3gpuE5ELNS1_3repE0EEENS1_30default_config_static_selectorELNS0_4arch9wavefront6targetE1EEEvT1_,comdat
	.protected	_ZN7rocprim17ROCPRIM_400000_NS6detail17trampoline_kernelINS0_14default_configENS1_35adjacent_difference_config_selectorILb1EhEEZNS1_24adjacent_difference_implIS3_Lb1ELb0EPKhPhN6thrust23THRUST_200600_302600_NS4plusIhEEEE10hipError_tPvRmT2_T3_mT4_P12ihipStream_tbEUlT_E_NS1_11comp_targetILNS1_3genE10ELNS1_11target_archE1201ELNS1_3gpuE5ELNS1_3repE0EEENS1_30default_config_static_selectorELNS0_4arch9wavefront6targetE1EEEvT1_ ; -- Begin function _ZN7rocprim17ROCPRIM_400000_NS6detail17trampoline_kernelINS0_14default_configENS1_35adjacent_difference_config_selectorILb1EhEEZNS1_24adjacent_difference_implIS3_Lb1ELb0EPKhPhN6thrust23THRUST_200600_302600_NS4plusIhEEEE10hipError_tPvRmT2_T3_mT4_P12ihipStream_tbEUlT_E_NS1_11comp_targetILNS1_3genE10ELNS1_11target_archE1201ELNS1_3gpuE5ELNS1_3repE0EEENS1_30default_config_static_selectorELNS0_4arch9wavefront6targetE1EEEvT1_
	.globl	_ZN7rocprim17ROCPRIM_400000_NS6detail17trampoline_kernelINS0_14default_configENS1_35adjacent_difference_config_selectorILb1EhEEZNS1_24adjacent_difference_implIS3_Lb1ELb0EPKhPhN6thrust23THRUST_200600_302600_NS4plusIhEEEE10hipError_tPvRmT2_T3_mT4_P12ihipStream_tbEUlT_E_NS1_11comp_targetILNS1_3genE10ELNS1_11target_archE1201ELNS1_3gpuE5ELNS1_3repE0EEENS1_30default_config_static_selectorELNS0_4arch9wavefront6targetE1EEEvT1_
	.p2align	8
	.type	_ZN7rocprim17ROCPRIM_400000_NS6detail17trampoline_kernelINS0_14default_configENS1_35adjacent_difference_config_selectorILb1EhEEZNS1_24adjacent_difference_implIS3_Lb1ELb0EPKhPhN6thrust23THRUST_200600_302600_NS4plusIhEEEE10hipError_tPvRmT2_T3_mT4_P12ihipStream_tbEUlT_E_NS1_11comp_targetILNS1_3genE10ELNS1_11target_archE1201ELNS1_3gpuE5ELNS1_3repE0EEENS1_30default_config_static_selectorELNS0_4arch9wavefront6targetE1EEEvT1_,@function
_ZN7rocprim17ROCPRIM_400000_NS6detail17trampoline_kernelINS0_14default_configENS1_35adjacent_difference_config_selectorILb1EhEEZNS1_24adjacent_difference_implIS3_Lb1ELb0EPKhPhN6thrust23THRUST_200600_302600_NS4plusIhEEEE10hipError_tPvRmT2_T3_mT4_P12ihipStream_tbEUlT_E_NS1_11comp_targetILNS1_3genE10ELNS1_11target_archE1201ELNS1_3gpuE5ELNS1_3repE0EEENS1_30default_config_static_selectorELNS0_4arch9wavefront6targetE1EEEvT1_: ; @_ZN7rocprim17ROCPRIM_400000_NS6detail17trampoline_kernelINS0_14default_configENS1_35adjacent_difference_config_selectorILb1EhEEZNS1_24adjacent_difference_implIS3_Lb1ELb0EPKhPhN6thrust23THRUST_200600_302600_NS4plusIhEEEE10hipError_tPvRmT2_T3_mT4_P12ihipStream_tbEUlT_E_NS1_11comp_targetILNS1_3genE10ELNS1_11target_archE1201ELNS1_3gpuE5ELNS1_3repE0EEENS1_30default_config_static_selectorELNS0_4arch9wavefront6targetE1EEEvT1_
; %bb.0:
	.section	.rodata,"a",@progbits
	.p2align	6, 0x0
	.amdhsa_kernel _ZN7rocprim17ROCPRIM_400000_NS6detail17trampoline_kernelINS0_14default_configENS1_35adjacent_difference_config_selectorILb1EhEEZNS1_24adjacent_difference_implIS3_Lb1ELb0EPKhPhN6thrust23THRUST_200600_302600_NS4plusIhEEEE10hipError_tPvRmT2_T3_mT4_P12ihipStream_tbEUlT_E_NS1_11comp_targetILNS1_3genE10ELNS1_11target_archE1201ELNS1_3gpuE5ELNS1_3repE0EEENS1_30default_config_static_selectorELNS0_4arch9wavefront6targetE1EEEvT1_
		.amdhsa_group_segment_fixed_size 0
		.amdhsa_private_segment_fixed_size 0
		.amdhsa_kernarg_size 56
		.amdhsa_user_sgpr_count 2
		.amdhsa_user_sgpr_dispatch_ptr 0
		.amdhsa_user_sgpr_queue_ptr 0
		.amdhsa_user_sgpr_kernarg_segment_ptr 1
		.amdhsa_user_sgpr_dispatch_id 0
		.amdhsa_user_sgpr_kernarg_preload_length 0
		.amdhsa_user_sgpr_kernarg_preload_offset 0
		.amdhsa_user_sgpr_private_segment_size 0
		.amdhsa_uses_dynamic_stack 0
		.amdhsa_enable_private_segment 0
		.amdhsa_system_sgpr_workgroup_id_x 1
		.amdhsa_system_sgpr_workgroup_id_y 0
		.amdhsa_system_sgpr_workgroup_id_z 0
		.amdhsa_system_sgpr_workgroup_info 0
		.amdhsa_system_vgpr_workitem_id 0
		.amdhsa_next_free_vgpr 1
		.amdhsa_next_free_sgpr 0
		.amdhsa_accum_offset 4
		.amdhsa_reserve_vcc 0
		.amdhsa_float_round_mode_32 0
		.amdhsa_float_round_mode_16_64 0
		.amdhsa_float_denorm_mode_32 3
		.amdhsa_float_denorm_mode_16_64 3
		.amdhsa_dx10_clamp 1
		.amdhsa_ieee_mode 1
		.amdhsa_fp16_overflow 0
		.amdhsa_tg_split 0
		.amdhsa_exception_fp_ieee_invalid_op 0
		.amdhsa_exception_fp_denorm_src 0
		.amdhsa_exception_fp_ieee_div_zero 0
		.amdhsa_exception_fp_ieee_overflow 0
		.amdhsa_exception_fp_ieee_underflow 0
		.amdhsa_exception_fp_ieee_inexact 0
		.amdhsa_exception_int_div_zero 0
	.end_amdhsa_kernel
	.section	.text._ZN7rocprim17ROCPRIM_400000_NS6detail17trampoline_kernelINS0_14default_configENS1_35adjacent_difference_config_selectorILb1EhEEZNS1_24adjacent_difference_implIS3_Lb1ELb0EPKhPhN6thrust23THRUST_200600_302600_NS4plusIhEEEE10hipError_tPvRmT2_T3_mT4_P12ihipStream_tbEUlT_E_NS1_11comp_targetILNS1_3genE10ELNS1_11target_archE1201ELNS1_3gpuE5ELNS1_3repE0EEENS1_30default_config_static_selectorELNS0_4arch9wavefront6targetE1EEEvT1_,"axG",@progbits,_ZN7rocprim17ROCPRIM_400000_NS6detail17trampoline_kernelINS0_14default_configENS1_35adjacent_difference_config_selectorILb1EhEEZNS1_24adjacent_difference_implIS3_Lb1ELb0EPKhPhN6thrust23THRUST_200600_302600_NS4plusIhEEEE10hipError_tPvRmT2_T3_mT4_P12ihipStream_tbEUlT_E_NS1_11comp_targetILNS1_3genE10ELNS1_11target_archE1201ELNS1_3gpuE5ELNS1_3repE0EEENS1_30default_config_static_selectorELNS0_4arch9wavefront6targetE1EEEvT1_,comdat
.Lfunc_end509:
	.size	_ZN7rocprim17ROCPRIM_400000_NS6detail17trampoline_kernelINS0_14default_configENS1_35adjacent_difference_config_selectorILb1EhEEZNS1_24adjacent_difference_implIS3_Lb1ELb0EPKhPhN6thrust23THRUST_200600_302600_NS4plusIhEEEE10hipError_tPvRmT2_T3_mT4_P12ihipStream_tbEUlT_E_NS1_11comp_targetILNS1_3genE10ELNS1_11target_archE1201ELNS1_3gpuE5ELNS1_3repE0EEENS1_30default_config_static_selectorELNS0_4arch9wavefront6targetE1EEEvT1_, .Lfunc_end509-_ZN7rocprim17ROCPRIM_400000_NS6detail17trampoline_kernelINS0_14default_configENS1_35adjacent_difference_config_selectorILb1EhEEZNS1_24adjacent_difference_implIS3_Lb1ELb0EPKhPhN6thrust23THRUST_200600_302600_NS4plusIhEEEE10hipError_tPvRmT2_T3_mT4_P12ihipStream_tbEUlT_E_NS1_11comp_targetILNS1_3genE10ELNS1_11target_archE1201ELNS1_3gpuE5ELNS1_3repE0EEENS1_30default_config_static_selectorELNS0_4arch9wavefront6targetE1EEEvT1_
                                        ; -- End function
	.section	.AMDGPU.csdata,"",@progbits
; Kernel info:
; codeLenInByte = 0
; NumSgprs: 6
; NumVgprs: 0
; NumAgprs: 0
; TotalNumVgprs: 0
; ScratchSize: 0
; MemoryBound: 0
; FloatMode: 240
; IeeeMode: 1
; LDSByteSize: 0 bytes/workgroup (compile time only)
; SGPRBlocks: 0
; VGPRBlocks: 0
; NumSGPRsForWavesPerEU: 6
; NumVGPRsForWavesPerEU: 1
; AccumOffset: 4
; Occupancy: 8
; WaveLimiterHint : 0
; COMPUTE_PGM_RSRC2:SCRATCH_EN: 0
; COMPUTE_PGM_RSRC2:USER_SGPR: 2
; COMPUTE_PGM_RSRC2:TRAP_HANDLER: 0
; COMPUTE_PGM_RSRC2:TGID_X_EN: 1
; COMPUTE_PGM_RSRC2:TGID_Y_EN: 0
; COMPUTE_PGM_RSRC2:TGID_Z_EN: 0
; COMPUTE_PGM_RSRC2:TIDIG_COMP_CNT: 0
; COMPUTE_PGM_RSRC3_GFX90A:ACCUM_OFFSET: 0
; COMPUTE_PGM_RSRC3_GFX90A:TG_SPLIT: 0
	.section	.text._ZN7rocprim17ROCPRIM_400000_NS6detail17trampoline_kernelINS0_14default_configENS1_35adjacent_difference_config_selectorILb1EhEEZNS1_24adjacent_difference_implIS3_Lb1ELb0EPKhPhN6thrust23THRUST_200600_302600_NS4plusIhEEEE10hipError_tPvRmT2_T3_mT4_P12ihipStream_tbEUlT_E_NS1_11comp_targetILNS1_3genE5ELNS1_11target_archE942ELNS1_3gpuE9ELNS1_3repE0EEENS1_30default_config_static_selectorELNS0_4arch9wavefront6targetE1EEEvT1_,"axG",@progbits,_ZN7rocprim17ROCPRIM_400000_NS6detail17trampoline_kernelINS0_14default_configENS1_35adjacent_difference_config_selectorILb1EhEEZNS1_24adjacent_difference_implIS3_Lb1ELb0EPKhPhN6thrust23THRUST_200600_302600_NS4plusIhEEEE10hipError_tPvRmT2_T3_mT4_P12ihipStream_tbEUlT_E_NS1_11comp_targetILNS1_3genE5ELNS1_11target_archE942ELNS1_3gpuE9ELNS1_3repE0EEENS1_30default_config_static_selectorELNS0_4arch9wavefront6targetE1EEEvT1_,comdat
	.protected	_ZN7rocprim17ROCPRIM_400000_NS6detail17trampoline_kernelINS0_14default_configENS1_35adjacent_difference_config_selectorILb1EhEEZNS1_24adjacent_difference_implIS3_Lb1ELb0EPKhPhN6thrust23THRUST_200600_302600_NS4plusIhEEEE10hipError_tPvRmT2_T3_mT4_P12ihipStream_tbEUlT_E_NS1_11comp_targetILNS1_3genE5ELNS1_11target_archE942ELNS1_3gpuE9ELNS1_3repE0EEENS1_30default_config_static_selectorELNS0_4arch9wavefront6targetE1EEEvT1_ ; -- Begin function _ZN7rocprim17ROCPRIM_400000_NS6detail17trampoline_kernelINS0_14default_configENS1_35adjacent_difference_config_selectorILb1EhEEZNS1_24adjacent_difference_implIS3_Lb1ELb0EPKhPhN6thrust23THRUST_200600_302600_NS4plusIhEEEE10hipError_tPvRmT2_T3_mT4_P12ihipStream_tbEUlT_E_NS1_11comp_targetILNS1_3genE5ELNS1_11target_archE942ELNS1_3gpuE9ELNS1_3repE0EEENS1_30default_config_static_selectorELNS0_4arch9wavefront6targetE1EEEvT1_
	.globl	_ZN7rocprim17ROCPRIM_400000_NS6detail17trampoline_kernelINS0_14default_configENS1_35adjacent_difference_config_selectorILb1EhEEZNS1_24adjacent_difference_implIS3_Lb1ELb0EPKhPhN6thrust23THRUST_200600_302600_NS4plusIhEEEE10hipError_tPvRmT2_T3_mT4_P12ihipStream_tbEUlT_E_NS1_11comp_targetILNS1_3genE5ELNS1_11target_archE942ELNS1_3gpuE9ELNS1_3repE0EEENS1_30default_config_static_selectorELNS0_4arch9wavefront6targetE1EEEvT1_
	.p2align	8
	.type	_ZN7rocprim17ROCPRIM_400000_NS6detail17trampoline_kernelINS0_14default_configENS1_35adjacent_difference_config_selectorILb1EhEEZNS1_24adjacent_difference_implIS3_Lb1ELb0EPKhPhN6thrust23THRUST_200600_302600_NS4plusIhEEEE10hipError_tPvRmT2_T3_mT4_P12ihipStream_tbEUlT_E_NS1_11comp_targetILNS1_3genE5ELNS1_11target_archE942ELNS1_3gpuE9ELNS1_3repE0EEENS1_30default_config_static_selectorELNS0_4arch9wavefront6targetE1EEEvT1_,@function
_ZN7rocprim17ROCPRIM_400000_NS6detail17trampoline_kernelINS0_14default_configENS1_35adjacent_difference_config_selectorILb1EhEEZNS1_24adjacent_difference_implIS3_Lb1ELb0EPKhPhN6thrust23THRUST_200600_302600_NS4plusIhEEEE10hipError_tPvRmT2_T3_mT4_P12ihipStream_tbEUlT_E_NS1_11comp_targetILNS1_3genE5ELNS1_11target_archE942ELNS1_3gpuE9ELNS1_3repE0EEENS1_30default_config_static_selectorELNS0_4arch9wavefront6targetE1EEEvT1_: ; @_ZN7rocprim17ROCPRIM_400000_NS6detail17trampoline_kernelINS0_14default_configENS1_35adjacent_difference_config_selectorILb1EhEEZNS1_24adjacent_difference_implIS3_Lb1ELb0EPKhPhN6thrust23THRUST_200600_302600_NS4plusIhEEEE10hipError_tPvRmT2_T3_mT4_P12ihipStream_tbEUlT_E_NS1_11comp_targetILNS1_3genE5ELNS1_11target_archE942ELNS1_3gpuE9ELNS1_3repE0EEENS1_30default_config_static_selectorELNS0_4arch9wavefront6targetE1EEEvT1_
; %bb.0:
	s_load_dwordx8 s[48:55], s[0:1], 0x0
	s_load_dwordx4 s[4:7], s[0:1], 0x28
	s_movk_i32 s8, 0xb80
	s_mul_i32 s33, s2, 0xb80
	s_waitcnt lgkmcnt(0)
	s_add_u32 s3, s48, s50
	s_addc_u32 s18, s49, s51
	s_add_u32 s0, 0, 0x590b2000
	s_addc_u32 s1, 0, 0
	s_add_i32 s1, s1, 0x1642c8
	s_mul_hi_u32 s12, s0, 0xfffff480
	s_sub_i32 s12, s12, s0
	s_mul_i32 s13, s1, 0xfffff480
	s_mul_i32 s9, s0, 0xfffff480
	s_add_i32 s12, s12, s13
	s_mul_hi_u32 s10, s1, s9
	s_mul_i32 s11, s1, s9
	s_mul_i32 s14, s0, s12
	s_mul_hi_u32 s9, s0, s9
	s_mul_hi_u32 s13, s0, s12
	s_add_u32 s9, s9, s14
	s_addc_u32 s13, 0, s13
	s_add_u32 s9, s9, s11
	s_mul_hi_u32 s14, s1, s12
	s_addc_u32 s9, s13, s10
	s_addc_u32 s10, s14, 0
	s_mul_i32 s11, s1, s12
	s_add_u32 s9, s9, s11
	v_mov_b32_e32 v1, s9
	s_addc_u32 s10, 0, s10
	v_add_co_u32_e32 v1, vcc, s0, v1
	s_cmp_lg_u64 vcc, 0
	s_addc_u32 s0, s1, s10
	v_readfirstlane_b32 s10, v1
	s_mul_i32 s9, s54, s0
	s_mul_hi_u32 s11, s54, s10
	s_mul_hi_u32 s1, s54, s0
	s_add_u32 s9, s11, s9
	s_addc_u32 s1, 0, s1
	s_mul_hi_u32 s12, s55, s10
	s_mul_i32 s10, s55, s10
	s_add_u32 s9, s9, s10
	s_mul_hi_u32 s11, s55, s0
	s_addc_u32 s1, s1, s12
	s_addc_u32 s9, s11, 0
	s_mul_i32 s0, s55, s0
	s_add_u32 s0, s1, s0
	s_addc_u32 s1, 0, s9
	s_add_u32 s9, s0, 1
	s_addc_u32 s10, s1, 0
	s_add_u32 s11, s0, 2
	s_mul_i32 s13, s1, 0xb80
	s_mul_hi_u32 s14, s0, 0xb80
	s_addc_u32 s12, s1, 0
	s_add_i32 s14, s14, s13
	s_mul_i32 s13, s0, 0xb80
	v_mov_b32_e32 v1, s13
	v_sub_co_u32_e32 v1, vcc, s54, v1
	s_cmp_lg_u64 vcc, 0
	s_subb_u32 s13, s55, s14
	v_subrev_co_u32_e32 v2, vcc, s8, v1
	s_cmp_lg_u64 vcc, 0
	s_subb_u32 s8, s13, 0
	v_readfirstlane_b32 s14, v2
	s_cmpk_gt_u32 s14, 0xb7f
	s_cselect_b32 s14, -1, 0
	s_cmp_eq_u32 s8, 0
	s_cselect_b32 s8, s14, -1
	s_cmp_lg_u32 s8, 0
	s_cselect_b32 s8, s11, s9
	s_cselect_b32 s9, s12, s10
	v_readfirstlane_b32 s10, v1
	s_cmpk_gt_u32 s10, 0xb7f
	s_cselect_b32 s10, -1, 0
	s_cmp_eq_u32 s13, 0
	s_cselect_b32 s10, s10, -1
	s_cmp_lg_u32 s10, 0
	s_cselect_b32 s9, s9, s1
	s_cselect_b32 s8, s8, s0
	s_mul_i32 s0, s9, 0xb80
	s_mul_hi_u32 s1, s8, 0xb80
	s_add_i32 s1, s1, s0
	s_mul_i32 s0, s8, 0xb80
	s_sub_u32 s0, s54, s0
	s_subb_u32 s1, s55, s1
	s_cmp_lg_u64 s[0:1], 0
	s_cselect_b64 s[0:1], -1, 0
	v_cndmask_b32_e64 v1, 0, 1, s[0:1]
	s_mov_b64 s[14:15], -1
	v_readfirstlane_b32 s0, v1
	s_add_u32 s8, s8, s0
	s_addc_u32 s9, s9, 0
	s_add_u32 s10, s6, s2
	s_addc_u32 s11, s7, 0
	s_add_u32 s12, s8, -1
	s_addc_u32 s13, s9, -1
	v_mov_b64_e32 v[2:3], s[12:13]
	v_cmp_ge_u64_e64 s[0:1], s[10:11], v[2:3]
	s_and_b64 vcc, exec, s[0:1]
	s_mul_i32 s55, s12, 0xfffff480
	s_cbranch_vccz .LBB510_48
; %bb.1:
	s_add_i32 s19, s55, s54
	s_add_u32 s14, s3, s33
	s_addc_u32 s15, s18, 0
	v_cmp_gt_u32_e32 vcc, s19, v0
                                        ; implicit-def: $vgpr1
	s_and_saveexec_b64 s[16:17], vcc
	s_cbranch_execz .LBB510_3
; %bb.2:
	global_load_ubyte v1, v0, s[14:15]
.LBB510_3:
	s_or_b64 exec, exec, s[16:17]
	v_or_b32_e32 v2, 0x80, v0
	v_cmp_gt_u32_e32 vcc, s19, v2
                                        ; implicit-def: $vgpr2
	s_and_saveexec_b64 s[16:17], vcc
	s_cbranch_execz .LBB510_5
; %bb.4:
	global_load_ubyte v2, v0, s[14:15] offset:128
.LBB510_5:
	s_or_b64 exec, exec, s[16:17]
	v_or_b32_e32 v3, 0x100, v0
	v_cmp_gt_u32_e32 vcc, s19, v3
                                        ; implicit-def: $vgpr3
	s_and_saveexec_b64 s[16:17], vcc
	s_cbranch_execz .LBB510_7
; %bb.6:
	global_load_ubyte v3, v0, s[14:15] offset:256
.LBB510_7:
	s_or_b64 exec, exec, s[16:17]
	v_or_b32_e32 v4, 0x180, v0
	v_cmp_gt_u32_e32 vcc, s19, v4
                                        ; implicit-def: $vgpr4
	s_and_saveexec_b64 s[16:17], vcc
	s_cbranch_execz .LBB510_9
; %bb.8:
	global_load_ubyte v4, v0, s[14:15] offset:384
.LBB510_9:
	s_or_b64 exec, exec, s[16:17]
	v_or_b32_e32 v5, 0x200, v0
	v_cmp_gt_u32_e32 vcc, s19, v5
                                        ; implicit-def: $vgpr5
	s_and_saveexec_b64 s[16:17], vcc
	s_cbranch_execz .LBB510_11
; %bb.10:
	global_load_ubyte v5, v0, s[14:15] offset:512
.LBB510_11:
	s_or_b64 exec, exec, s[16:17]
	v_or_b32_e32 v6, 0x280, v0
	v_cmp_gt_u32_e32 vcc, s19, v6
                                        ; implicit-def: $vgpr6
	s_and_saveexec_b64 s[16:17], vcc
	s_cbranch_execz .LBB510_13
; %bb.12:
	global_load_ubyte v6, v0, s[14:15] offset:640
.LBB510_13:
	s_or_b64 exec, exec, s[16:17]
	v_or_b32_e32 v7, 0x300, v0
	v_cmp_gt_u32_e32 vcc, s19, v7
                                        ; implicit-def: $vgpr7
	s_and_saveexec_b64 s[16:17], vcc
	s_cbranch_execz .LBB510_15
; %bb.14:
	global_load_ubyte v7, v0, s[14:15] offset:768
.LBB510_15:
	s_or_b64 exec, exec, s[16:17]
	v_or_b32_e32 v8, 0x380, v0
	v_cmp_gt_u32_e32 vcc, s19, v8
                                        ; implicit-def: $vgpr8
	s_and_saveexec_b64 s[16:17], vcc
	s_cbranch_execz .LBB510_17
; %bb.16:
	global_load_ubyte v8, v0, s[14:15] offset:896
.LBB510_17:
	s_or_b64 exec, exec, s[16:17]
	v_or_b32_e32 v9, 0x400, v0
	v_cmp_gt_u32_e32 vcc, s19, v9
                                        ; implicit-def: $vgpr9
	s_and_saveexec_b64 s[16:17], vcc
	s_cbranch_execz .LBB510_19
; %bb.18:
	global_load_ubyte v9, v0, s[14:15] offset:1024
.LBB510_19:
	s_or_b64 exec, exec, s[16:17]
	v_or_b32_e32 v10, 0x480, v0
	v_cmp_gt_u32_e32 vcc, s19, v10
                                        ; implicit-def: $vgpr10
	s_and_saveexec_b64 s[16:17], vcc
	s_cbranch_execz .LBB510_21
; %bb.20:
	global_load_ubyte v10, v0, s[14:15] offset:1152
.LBB510_21:
	s_or_b64 exec, exec, s[16:17]
	v_or_b32_e32 v11, 0x500, v0
	v_cmp_gt_u32_e32 vcc, s19, v11
                                        ; implicit-def: $vgpr11
	s_and_saveexec_b64 s[16:17], vcc
	s_cbranch_execz .LBB510_23
; %bb.22:
	global_load_ubyte v11, v0, s[14:15] offset:1280
.LBB510_23:
	s_or_b64 exec, exec, s[16:17]
	v_or_b32_e32 v12, 0x580, v0
	v_cmp_gt_u32_e32 vcc, s19, v12
                                        ; implicit-def: $vgpr12
	s_and_saveexec_b64 s[16:17], vcc
	s_cbranch_execz .LBB510_25
; %bb.24:
	global_load_ubyte v12, v0, s[14:15] offset:1408
.LBB510_25:
	s_or_b64 exec, exec, s[16:17]
	v_or_b32_e32 v13, 0x600, v0
	v_cmp_gt_u32_e32 vcc, s19, v13
                                        ; implicit-def: $vgpr13
	s_and_saveexec_b64 s[16:17], vcc
	s_cbranch_execz .LBB510_27
; %bb.26:
	global_load_ubyte v13, v0, s[14:15] offset:1536
.LBB510_27:
	s_or_b64 exec, exec, s[16:17]
	v_or_b32_e32 v14, 0x680, v0
	v_cmp_gt_u32_e32 vcc, s19, v14
                                        ; implicit-def: $vgpr14
	s_and_saveexec_b64 s[16:17], vcc
	s_cbranch_execz .LBB510_29
; %bb.28:
	global_load_ubyte v14, v0, s[14:15] offset:1664
.LBB510_29:
	s_or_b64 exec, exec, s[16:17]
	v_or_b32_e32 v15, 0x700, v0
	v_cmp_gt_u32_e32 vcc, s19, v15
                                        ; implicit-def: $vgpr15
	s_and_saveexec_b64 s[16:17], vcc
	s_cbranch_execz .LBB510_31
; %bb.30:
	global_load_ubyte v15, v0, s[14:15] offset:1792
.LBB510_31:
	s_or_b64 exec, exec, s[16:17]
	v_or_b32_e32 v16, 0x780, v0
	v_cmp_gt_u32_e32 vcc, s19, v16
                                        ; implicit-def: $vgpr16
	s_and_saveexec_b64 s[16:17], vcc
	s_cbranch_execz .LBB510_33
; %bb.32:
	global_load_ubyte v16, v0, s[14:15] offset:1920
.LBB510_33:
	s_or_b64 exec, exec, s[16:17]
	v_or_b32_e32 v17, 0x800, v0
	v_cmp_gt_u32_e32 vcc, s19, v17
                                        ; implicit-def: $vgpr17
	s_and_saveexec_b64 s[16:17], vcc
	s_cbranch_execz .LBB510_35
; %bb.34:
	global_load_ubyte v17, v0, s[14:15] offset:2048
.LBB510_35:
	s_or_b64 exec, exec, s[16:17]
	v_or_b32_e32 v18, 0x880, v0
	v_cmp_gt_u32_e32 vcc, s19, v18
                                        ; implicit-def: $vgpr18
	s_and_saveexec_b64 s[16:17], vcc
	s_cbranch_execz .LBB510_37
; %bb.36:
	global_load_ubyte v18, v0, s[14:15] offset:2176
.LBB510_37:
	s_or_b64 exec, exec, s[16:17]
	v_or_b32_e32 v19, 0x900, v0
	v_cmp_gt_u32_e32 vcc, s19, v19
                                        ; implicit-def: $vgpr19
	s_and_saveexec_b64 s[16:17], vcc
	s_cbranch_execz .LBB510_39
; %bb.38:
	global_load_ubyte v19, v0, s[14:15] offset:2304
.LBB510_39:
	s_or_b64 exec, exec, s[16:17]
	v_or_b32_e32 v20, 0x980, v0
	v_cmp_gt_u32_e32 vcc, s19, v20
                                        ; implicit-def: $vgpr20
	s_and_saveexec_b64 s[16:17], vcc
	s_cbranch_execz .LBB510_41
; %bb.40:
	global_load_ubyte v20, v0, s[14:15] offset:2432
.LBB510_41:
	s_or_b64 exec, exec, s[16:17]
	v_or_b32_e32 v21, 0xa00, v0
	v_cmp_gt_u32_e32 vcc, s19, v21
                                        ; implicit-def: $vgpr21
	s_and_saveexec_b64 s[16:17], vcc
	s_cbranch_execz .LBB510_43
; %bb.42:
	global_load_ubyte v21, v0, s[14:15] offset:2560
.LBB510_43:
	s_or_b64 exec, exec, s[16:17]
	v_or_b32_e32 v22, 0xa80, v0
	v_cmp_gt_u32_e32 vcc, s19, v22
                                        ; implicit-def: $vgpr22
	s_and_saveexec_b64 s[16:17], vcc
	s_cbranch_execz .LBB510_45
; %bb.44:
	global_load_ubyte v22, v0, s[14:15] offset:2688
.LBB510_45:
	s_or_b64 exec, exec, s[16:17]
	v_or_b32_e32 v23, 0xb00, v0
	v_cmp_gt_u32_e32 vcc, s19, v23
                                        ; implicit-def: $vgpr23
	s_and_saveexec_b64 s[16:17], vcc
	s_cbranch_execz .LBB510_47
; %bb.46:
	global_load_ubyte v23, v0, s[14:15] offset:2816
.LBB510_47:
	s_or_b64 exec, exec, s[16:17]
	s_mov_b64 s[14:15], 0
	s_waitcnt vmcnt(0)
	ds_write_b8 v0, v1
	ds_write_b8 v0, v2 offset:128
	ds_write_b8 v0, v3 offset:256
	;; [unrolled: 1-line block ×22, first 2 shown]
	s_waitcnt lgkmcnt(0)
	s_barrier
.LBB510_48:
	s_and_b64 vcc, exec, s[14:15]
	s_cbranch_vccz .LBB510_50
; %bb.49:
	s_add_u32 s14, s3, s33
	s_addc_u32 s15, s18, 0
	global_load_ubyte v1, v0, s[14:15]
	global_load_ubyte v2, v0, s[14:15] offset:128
	global_load_ubyte v3, v0, s[14:15] offset:256
	;; [unrolled: 1-line block ×22, first 2 shown]
	s_waitcnt vmcnt(22)
	ds_write_b8 v0, v1
	s_waitcnt vmcnt(21)
	ds_write_b8 v0, v2 offset:128
	s_waitcnt vmcnt(20)
	ds_write_b8 v0, v3 offset:256
	;; [unrolled: 2-line block ×22, first 2 shown]
	s_waitcnt lgkmcnt(0)
	s_barrier
.LBB510_50:
	v_mul_u32_u24_e32 v6, 23, v0
	ds_read_b128 v[2:5], v6
	ds_read_u8 v1, v6 offset:16
	ds_read_u8 v7, v6 offset:17
	;; [unrolled: 1-line block ×7, first 2 shown]
	s_waitcnt lgkmcnt(7)
	v_lshrrev_b32_e32 v13, 8, v2
	v_lshrrev_b32_e32 v14, 16, v2
	;; [unrolled: 1-line block ×12, first 2 shown]
	s_cmp_eq_u64 s[10:11], 0
	s_waitcnt lgkmcnt(0)
	s_barrier
	s_cbranch_scc1 .LBB510_55
; %bb.51:
	s_add_u32 s3, s4, s6
	s_addc_u32 s4, s5, s7
	s_add_u32 s2, s3, s2
	s_addc_u32 s3, s4, 0
	v_mov_b32_e32 v6, 0
	global_load_ubyte v46, v6, s[2:3] offset:-1
	s_cmp_eq_u64 s[10:11], s[12:13]
	s_cbranch_scc1 .LBB510_56
; %bb.52:
	v_cmp_ne_u32_e32 vcc, 0, v0
	s_waitcnt vmcnt(0)
	v_mov_b32_e32 v6, v46
	ds_write_b8 v0, v12
	s_waitcnt lgkmcnt(0)
	s_barrier
	s_and_saveexec_b64 s[2:3], vcc
	s_cbranch_execz .LBB510_54
; %bb.53:
	v_add_u32_e32 v6, -1, v0
	ds_read_u8 v6, v6
.LBB510_54:
	s_or_b64 exec, exec, s[2:3]
	s_waitcnt lgkmcnt(0)
	v_add_u16_e32 v6, v6, v2
	s_mov_b64 s[2:3], 0
	s_branch .LBB510_57
.LBB510_55:
                                        ; implicit-def: $vgpr6
                                        ; implicit-def: $vgpr47
                                        ; implicit-def: $vgpr45
                                        ; implicit-def: $vgpr44
                                        ; implicit-def: $vgpr43
                                        ; implicit-def: $vgpr42
                                        ; implicit-def: $vgpr41
                                        ; implicit-def: $vgpr40
                                        ; implicit-def: $vgpr39
                                        ; implicit-def: $vgpr38
                                        ; implicit-def: $vgpr37
                                        ; implicit-def: $vgpr36
                                        ; implicit-def: $vgpr34
                                        ; implicit-def: $vgpr33
                                        ; implicit-def: $vgpr32
                                        ; implicit-def: $vgpr31
                                        ; implicit-def: $vgpr30
                                        ; implicit-def: $vgpr29
                                        ; implicit-def: $vgpr28
                                        ; implicit-def: $vgpr27
                                        ; implicit-def: $vgpr26
                                        ; implicit-def: $vgpr25
                                        ; implicit-def: $vgpr35
	s_branch .LBB510_62
.LBB510_56:
	s_mov_b64 s[2:3], -1
                                        ; implicit-def: $vgpr6
.LBB510_57:
	s_and_b64 vcc, exec, s[2:3]
	v_mov_b32_e32 v47, v2
	v_mov_b32_e32 v45, v13
	;; [unrolled: 1-line block ×22, first 2 shown]
	s_cbranch_vccz .LBB510_61
; %bb.58:
	v_mul_u32_u24_e32 v6, 23, v0
	v_cmp_ne_u32_e32 vcc, 0, v0
	ds_write_b8 v0, v12
	s_waitcnt lgkmcnt(0)
	s_barrier
	s_and_saveexec_b64 s[2:3], vcc
	s_cbranch_execz .LBB510_60
; %bb.59:
	v_add_u32_e32 v25, -1, v0
	s_waitcnt vmcnt(0)
	ds_read_u8 v46, v25
.LBB510_60:
	s_or_b64 exec, exec, s[2:3]
	s_mul_i32 s2, s10, 0xfffff480
	s_add_i32 s2, s2, s54
	v_add_u32_e32 v25, 22, v6
	v_cmp_gt_u32_e32 vcc, s2, v25
	v_add_u32_e32 v25, 21, v6
	v_add_u32_e32 v26, 20, v6
	v_cndmask_b32_e32 v35, 0, v11, vcc
	v_cmp_gt_u32_e32 vcc, s2, v25
	v_add_u32_e32 v27, 19, v6
	v_add_u32_e32 v28, 18, v6
	v_cndmask_b32_e32 v25, 0, v10, vcc
	;; [unrolled: 4-line block ×10, first 2 shown]
	v_cmp_gt_u32_e32 vcc, s2, v34
	v_add_u32_e32 v47, 1, v6
	s_nop 0
	v_cndmask_b32_e32 v34, 0, v21, vcc
	v_cmp_gt_u32_e32 vcc, s2, v36
	s_nop 1
	v_cndmask_b32_e32 v36, 0, v20, vcc
	v_cmp_gt_u32_e32 vcc, s2, v37
	;; [unrolled: 3-line block ×12, first 2 shown]
	s_waitcnt vmcnt(0) lgkmcnt(0)
	s_nop 0
	v_cndmask_b32_e32 v6, 0, v46, vcc
	v_add_u16_e32 v6, v6, v2
.LBB510_61:
	s_cbranch_execnz .LBB510_72
.LBB510_62:
	s_cmp_eq_u64 s[8:9], 1
	v_cmp_ne_u32_e32 vcc, 0, v0
	s_cbranch_scc1 .LBB510_66
; %bb.63:
	v_mov_b32_e32 v6, v2
	ds_write_b8 v0, v12
	s_waitcnt lgkmcnt(0)
	s_barrier
	s_and_saveexec_b64 s[2:3], vcc
	s_cbranch_execz .LBB510_65
; %bb.64:
	v_add_u32_e32 v6, -1, v0
	ds_read_u8 v6, v6
	s_waitcnt lgkmcnt(0)
	v_add_u16_e32 v6, v6, v2
.LBB510_65:
	s_or_b64 exec, exec, s[2:3]
	s_mov_b64 s[2:3], 0
	s_branch .LBB510_67
.LBB510_66:
	s_mov_b64 s[2:3], -1
                                        ; implicit-def: $vgpr6
.LBB510_67:
	s_andn2_b64 vcc, exec, s[2:3]
	v_mov_b32_e32 v45, v13
	v_mov_b32_e32 v44, v14
	;; [unrolled: 1-line block ×21, first 2 shown]
	s_cbranch_vccnz .LBB510_71
; %bb.68:
	v_mad_u32_u24 v25, v0, 23, 22
	v_cmp_gt_u32_e32 vcc, s54, v25
	v_mad_u32_u24 v25, v0, 23, 21
	v_cmp_gt_u32_e64 s[2:3], s54, v25
	v_mad_u32_u24 v25, v0, 23, 20
	v_cmp_gt_u32_e64 s[4:5], s54, v25
	;; [unrolled: 2-line block ×18, first 2 shown]
	v_mad_u32_u24 v25, v0, 23, 3
	v_mul_u32_u24_e32 v6, 23, v0
	v_cmp_gt_u32_e64 s[40:41], s54, v25
	v_mad_u32_u24 v25, v0, 23, 2
	v_cmp_gt_u32_e64 s[42:43], s54, v25
	v_mad_u32_u24 v25, v0, 23, 1
	v_cmp_ne_u32_e64 s[46:47], 0, v0
	v_cmp_gt_u32_e64 s[48:49], s54, v6
	v_cmp_gt_u32_e64 s[44:45], s54, v25
	s_and_b64 s[48:49], s[46:47], s[48:49]
	v_mov_b32_e32 v6, v2
	ds_write_b8 v0, v12
	s_waitcnt lgkmcnt(0)
	s_barrier
	s_and_saveexec_b64 s[46:47], s[48:49]
	s_cbranch_execz .LBB510_70
; %bb.69:
	v_add_u32_e32 v6, -1, v0
	ds_read_u8 v6, v6
	s_waitcnt lgkmcnt(0)
	v_add_u16_e32 v6, v6, v2
.LBB510_70:
	s_or_b64 exec, exec, s[46:47]
	v_cndmask_b32_e32 v35, 0, v11, vcc
	v_cndmask_b32_e64 v25, 0, v10, s[2:3]
	v_cndmask_b32_e64 v26, 0, v9, s[4:5]
	;; [unrolled: 1-line block ×21, first 2 shown]
.LBB510_71:
	v_mov_b32_e32 v47, v2
.LBB510_72:
	s_add_u32 s4, s52, s50
	v_add_u16_e32 v12, v35, v12
	v_add_u16_e32 v2, v47, v13
	;; [unrolled: 1-line block ×13, first 2 shown]
	s_addc_u32 s5, s53, s51
	v_add_u16_e32 v16, v39, v4
	v_add_u16_e32 v18, v34, v5
	;; [unrolled: 1-line block ×9, first 2 shown]
	s_and_b64 vcc, exec, s[0:1]
	v_mul_u32_u24_e32 v11, 23, v0
	v_lshlrev_b16_e32 v26, 8, v21
	v_lshlrev_b16_e32 v27, 8, v22
	;; [unrolled: 1-line block ×8, first 2 shown]
	s_barrier
	s_cbranch_vccz .LBB510_118
; %bb.73:
	v_or_b32_sdwa v1, v18, v26 dst_sel:DWORD dst_unused:UNUSED_PAD src0_sel:BYTE_0 src1_sel:DWORD
	v_or_b32_sdwa v2, v19, v27 dst_sel:WORD_1 dst_unused:UNUSED_PAD src0_sel:BYTE_0 src1_sel:DWORD
	s_add_i32 s55, s55, s54
	v_or_b32_sdwa v31, v1, v2 dst_sel:DWORD dst_unused:UNUSED_PAD src0_sel:WORD_0 src1_sel:DWORD
	v_or_b32_sdwa v1, v16, v24 dst_sel:DWORD dst_unused:UNUSED_PAD src0_sel:BYTE_0 src1_sel:DWORD
	v_or_b32_sdwa v2, v17, v25 dst_sel:WORD_1 dst_unused:UNUSED_PAD src0_sel:BYTE_0 src1_sel:DWORD
	s_add_u32 s0, s4, s33
	v_or_b32_sdwa v30, v1, v2 dst_sel:DWORD dst_unused:UNUSED_PAD src0_sel:WORD_0 src1_sel:DWORD
	v_or_b32_sdwa v1, v14, v22 dst_sel:DWORD dst_unused:UNUSED_PAD src0_sel:BYTE_0 src1_sel:DWORD
	v_or_b32_sdwa v2, v15, v23 dst_sel:WORD_1 dst_unused:UNUSED_PAD src0_sel:BYTE_0 src1_sel:DWORD
	s_addc_u32 s1, s5, 0
	v_or_b32_sdwa v29, v1, v2 dst_sel:DWORD dst_unused:UNUSED_PAD src0_sel:WORD_0 src1_sel:DWORD
	v_or_b32_sdwa v1, v6, v20 dst_sel:DWORD dst_unused:UNUSED_PAD src0_sel:BYTE_0 src1_sel:DWORD
	v_or_b32_sdwa v2, v13, v21 dst_sel:WORD_1 dst_unused:UNUSED_PAD src0_sel:BYTE_0 src1_sel:DWORD
	v_cmp_gt_u32_e32 vcc, s55, v0
	v_or_b32_sdwa v28, v1, v2 dst_sel:DWORD dst_unused:UNUSED_PAD src0_sel:WORD_0 src1_sel:DWORD
	ds_write_b128 v11, v[28:31]
	ds_write_b8 v11, v4 offset:16
	ds_write_b8 v11, v5 offset:17
	;; [unrolled: 1-line block ×7, first 2 shown]
	s_waitcnt lgkmcnt(0)
	s_barrier
	ds_read_u8 v49, v0 offset:128
	ds_read_u8 v48, v0 offset:256
	;; [unrolled: 1-line block ×3, first 2 shown]
	s_waitcnt vmcnt(0)
	ds_read_u8 v46, v0 offset:512
	ds_read_u8 v45, v0 offset:640
	;; [unrolled: 1-line block ×19, first 2 shown]
	v_mov_b32_e32 v1, 0
	v_lshl_add_u64 v[2:3], s[0:1], 0, v[0:1]
	s_and_saveexec_b64 s[0:1], vcc
	s_cbranch_execz .LBB510_75
; %bb.74:
	ds_read_u8 v1, v0
	s_waitcnt lgkmcnt(0)
	global_store_byte v[2:3], v1, off
.LBB510_75:
	s_or_b64 exec, exec, s[0:1]
	v_or_b32_e32 v1, 0x80, v0
	v_cmp_gt_u32_e32 vcc, s55, v1
	s_and_saveexec_b64 s[0:1], vcc
	s_cbranch_execz .LBB510_77
; %bb.76:
	s_waitcnt lgkmcnt(14)
	global_store_byte v[2:3], v49, off offset:128
.LBB510_77:
	s_or_b64 exec, exec, s[0:1]
	v_or_b32_e32 v1, 0x100, v0
	v_cmp_gt_u32_e32 vcc, s55, v1
	s_and_saveexec_b64 s[0:1], vcc
	s_cbranch_execz .LBB510_79
; %bb.78:
	s_waitcnt lgkmcnt(14)
	global_store_byte v[2:3], v48, off offset:256
.LBB510_79:
	;; [unrolled: 9-line block ×21, first 2 shown]
	s_or_b64 exec, exec, s[0:1]
	v_or_b32_e32 v1, 0xb00, v0
	v_cmp_gt_u32_e64 s[0:1], s55, v1
	s_branch .LBB510_120
.LBB510_118:
	s_mov_b64 s[0:1], 0
                                        ; implicit-def: $vgpr28
                                        ; implicit-def: $vgpr2_vgpr3
	s_cbranch_execz .LBB510_120
; %bb.119:
	v_or_b32_sdwa v1, v18, v26 dst_sel:DWORD dst_unused:UNUSED_PAD src0_sel:BYTE_0 src1_sel:DWORD
	v_or_b32_sdwa v2, v19, v27 dst_sel:WORD_1 dst_unused:UNUSED_PAD src0_sel:BYTE_0 src1_sel:DWORD
	s_add_u32 s2, s4, s33
	v_or_b32_sdwa v19, v1, v2 dst_sel:DWORD dst_unused:UNUSED_PAD src0_sel:WORD_0 src1_sel:DWORD
	v_or_b32_sdwa v1, v16, v24 dst_sel:DWORD dst_unused:UNUSED_PAD src0_sel:BYTE_0 src1_sel:DWORD
	v_or_b32_sdwa v2, v17, v25 dst_sel:WORD_1 dst_unused:UNUSED_PAD src0_sel:BYTE_0 src1_sel:DWORD
	s_addc_u32 s3, s5, 0
	v_or_b32_sdwa v18, v1, v2 dst_sel:DWORD dst_unused:UNUSED_PAD src0_sel:WORD_0 src1_sel:DWORD
	v_or_b32_sdwa v1, v14, v22 dst_sel:DWORD dst_unused:UNUSED_PAD src0_sel:BYTE_0 src1_sel:DWORD
	v_or_b32_sdwa v2, v15, v23 dst_sel:WORD_1 dst_unused:UNUSED_PAD src0_sel:BYTE_0 src1_sel:DWORD
	s_or_b64 s[0:1], s[0:1], exec
	v_or_b32_sdwa v17, v1, v2 dst_sel:DWORD dst_unused:UNUSED_PAD src0_sel:WORD_0 src1_sel:DWORD
	v_or_b32_sdwa v1, v6, v20 dst_sel:DWORD dst_unused:UNUSED_PAD src0_sel:BYTE_0 src1_sel:DWORD
	v_or_b32_sdwa v2, v13, v21 dst_sel:WORD_1 dst_unused:UNUSED_PAD src0_sel:BYTE_0 src1_sel:DWORD
	s_nop 0
	v_or_b32_sdwa v16, v1, v2 dst_sel:DWORD dst_unused:UNUSED_PAD src0_sel:WORD_0 src1_sel:DWORD
	ds_write_b128 v11, v[16:19]
	ds_write_b8 v11, v4 offset:16
	ds_write_b8 v11, v5 offset:17
	ds_write_b8 v11, v7 offset:18
	ds_write_b8 v11, v8 offset:19
	ds_write_b8 v11, v9 offset:20
	ds_write_b8 v11, v10 offset:21
	ds_write_b8 v11, v12 offset:22
	s_waitcnt lgkmcnt(0)
	s_barrier
	ds_read_u8 v4, v0
	ds_read_u8 v5, v0 offset:128
	ds_read_u8 v6, v0 offset:256
	ds_read_u8 v7, v0 offset:384
	ds_read_u8 v8, v0 offset:512
	ds_read_u8 v9, v0 offset:640
	ds_read_u8 v10, v0 offset:768
	ds_read_u8 v11, v0 offset:896
	ds_read_u8 v12, v0 offset:1024
	ds_read_u8 v13, v0 offset:1152
	ds_read_u8 v14, v0 offset:1280
	ds_read_u8 v15, v0 offset:1408
	ds_read_u8 v16, v0 offset:1536
	ds_read_u8 v17, v0 offset:1664
	ds_read_u8 v18, v0 offset:1792
	ds_read_u8 v19, v0 offset:1920
	ds_read_u8 v20, v0 offset:2048
	ds_read_u8 v21, v0 offset:2176
	ds_read_u8 v22, v0 offset:2304
	ds_read_u8 v23, v0 offset:2432
	ds_read_u8 v24, v0 offset:2560
	ds_read_u8 v25, v0 offset:2688
	ds_read_u8 v28, v0 offset:2816
	v_mov_b32_e32 v1, 0
	v_lshl_add_u64 v[2:3], s[2:3], 0, v[0:1]
	s_waitcnt lgkmcnt(14)
	global_store_byte v0, v4, s[2:3]
	global_store_byte v0, v5, s[2:3] offset:128
	global_store_byte v0, v6, s[2:3] offset:256
	;; [unrolled: 1-line block ×8, first 2 shown]
	s_waitcnt lgkmcnt(13)
	global_store_byte v0, v13, s[2:3] offset:1152
	s_waitcnt lgkmcnt(12)
	global_store_byte v0, v14, s[2:3] offset:1280
	;; [unrolled: 2-line block ×13, first 2 shown]
.LBB510_120:
	s_and_saveexec_b64 s[2:3], s[0:1]
	s_cbranch_execnz .LBB510_122
; %bb.121:
	s_endpgm
.LBB510_122:
	s_waitcnt lgkmcnt(0)
	global_store_byte v[2:3], v28, off offset:2816
	s_endpgm
	.section	.rodata,"a",@progbits
	.p2align	6, 0x0
	.amdhsa_kernel _ZN7rocprim17ROCPRIM_400000_NS6detail17trampoline_kernelINS0_14default_configENS1_35adjacent_difference_config_selectorILb1EhEEZNS1_24adjacent_difference_implIS3_Lb1ELb0EPKhPhN6thrust23THRUST_200600_302600_NS4plusIhEEEE10hipError_tPvRmT2_T3_mT4_P12ihipStream_tbEUlT_E_NS1_11comp_targetILNS1_3genE5ELNS1_11target_archE942ELNS1_3gpuE9ELNS1_3repE0EEENS1_30default_config_static_selectorELNS0_4arch9wavefront6targetE1EEEvT1_
		.amdhsa_group_segment_fixed_size 2944
		.amdhsa_private_segment_fixed_size 0
		.amdhsa_kernarg_size 56
		.amdhsa_user_sgpr_count 2
		.amdhsa_user_sgpr_dispatch_ptr 0
		.amdhsa_user_sgpr_queue_ptr 0
		.amdhsa_user_sgpr_kernarg_segment_ptr 1
		.amdhsa_user_sgpr_dispatch_id 0
		.amdhsa_user_sgpr_kernarg_preload_length 0
		.amdhsa_user_sgpr_kernarg_preload_offset 0
		.amdhsa_user_sgpr_private_segment_size 0
		.amdhsa_uses_dynamic_stack 0
		.amdhsa_enable_private_segment 0
		.amdhsa_system_sgpr_workgroup_id_x 1
		.amdhsa_system_sgpr_workgroup_id_y 0
		.amdhsa_system_sgpr_workgroup_id_z 0
		.amdhsa_system_sgpr_workgroup_info 0
		.amdhsa_system_vgpr_workitem_id 0
		.amdhsa_next_free_vgpr 50
		.amdhsa_next_free_sgpr 56
		.amdhsa_accum_offset 52
		.amdhsa_reserve_vcc 1
		.amdhsa_float_round_mode_32 0
		.amdhsa_float_round_mode_16_64 0
		.amdhsa_float_denorm_mode_32 3
		.amdhsa_float_denorm_mode_16_64 3
		.amdhsa_dx10_clamp 1
		.amdhsa_ieee_mode 1
		.amdhsa_fp16_overflow 0
		.amdhsa_tg_split 0
		.amdhsa_exception_fp_ieee_invalid_op 0
		.amdhsa_exception_fp_denorm_src 0
		.amdhsa_exception_fp_ieee_div_zero 0
		.amdhsa_exception_fp_ieee_overflow 0
		.amdhsa_exception_fp_ieee_underflow 0
		.amdhsa_exception_fp_ieee_inexact 0
		.amdhsa_exception_int_div_zero 0
	.end_amdhsa_kernel
	.section	.text._ZN7rocprim17ROCPRIM_400000_NS6detail17trampoline_kernelINS0_14default_configENS1_35adjacent_difference_config_selectorILb1EhEEZNS1_24adjacent_difference_implIS3_Lb1ELb0EPKhPhN6thrust23THRUST_200600_302600_NS4plusIhEEEE10hipError_tPvRmT2_T3_mT4_P12ihipStream_tbEUlT_E_NS1_11comp_targetILNS1_3genE5ELNS1_11target_archE942ELNS1_3gpuE9ELNS1_3repE0EEENS1_30default_config_static_selectorELNS0_4arch9wavefront6targetE1EEEvT1_,"axG",@progbits,_ZN7rocprim17ROCPRIM_400000_NS6detail17trampoline_kernelINS0_14default_configENS1_35adjacent_difference_config_selectorILb1EhEEZNS1_24adjacent_difference_implIS3_Lb1ELb0EPKhPhN6thrust23THRUST_200600_302600_NS4plusIhEEEE10hipError_tPvRmT2_T3_mT4_P12ihipStream_tbEUlT_E_NS1_11comp_targetILNS1_3genE5ELNS1_11target_archE942ELNS1_3gpuE9ELNS1_3repE0EEENS1_30default_config_static_selectorELNS0_4arch9wavefront6targetE1EEEvT1_,comdat
.Lfunc_end510:
	.size	_ZN7rocprim17ROCPRIM_400000_NS6detail17trampoline_kernelINS0_14default_configENS1_35adjacent_difference_config_selectorILb1EhEEZNS1_24adjacent_difference_implIS3_Lb1ELb0EPKhPhN6thrust23THRUST_200600_302600_NS4plusIhEEEE10hipError_tPvRmT2_T3_mT4_P12ihipStream_tbEUlT_E_NS1_11comp_targetILNS1_3genE5ELNS1_11target_archE942ELNS1_3gpuE9ELNS1_3repE0EEENS1_30default_config_static_selectorELNS0_4arch9wavefront6targetE1EEEvT1_, .Lfunc_end510-_ZN7rocprim17ROCPRIM_400000_NS6detail17trampoline_kernelINS0_14default_configENS1_35adjacent_difference_config_selectorILb1EhEEZNS1_24adjacent_difference_implIS3_Lb1ELb0EPKhPhN6thrust23THRUST_200600_302600_NS4plusIhEEEE10hipError_tPvRmT2_T3_mT4_P12ihipStream_tbEUlT_E_NS1_11comp_targetILNS1_3genE5ELNS1_11target_archE942ELNS1_3gpuE9ELNS1_3repE0EEENS1_30default_config_static_selectorELNS0_4arch9wavefront6targetE1EEEvT1_
                                        ; -- End function
	.section	.AMDGPU.csdata,"",@progbits
; Kernel info:
; codeLenInByte = 5384
; NumSgprs: 62
; NumVgprs: 50
; NumAgprs: 0
; TotalNumVgprs: 50
; ScratchSize: 0
; MemoryBound: 0
; FloatMode: 240
; IeeeMode: 1
; LDSByteSize: 2944 bytes/workgroup (compile time only)
; SGPRBlocks: 7
; VGPRBlocks: 6
; NumSGPRsForWavesPerEU: 62
; NumVGPRsForWavesPerEU: 50
; AccumOffset: 52
; Occupancy: 8
; WaveLimiterHint : 1
; COMPUTE_PGM_RSRC2:SCRATCH_EN: 0
; COMPUTE_PGM_RSRC2:USER_SGPR: 2
; COMPUTE_PGM_RSRC2:TRAP_HANDLER: 0
; COMPUTE_PGM_RSRC2:TGID_X_EN: 1
; COMPUTE_PGM_RSRC2:TGID_Y_EN: 0
; COMPUTE_PGM_RSRC2:TGID_Z_EN: 0
; COMPUTE_PGM_RSRC2:TIDIG_COMP_CNT: 0
; COMPUTE_PGM_RSRC3_GFX90A:ACCUM_OFFSET: 12
; COMPUTE_PGM_RSRC3_GFX90A:TG_SPLIT: 0
	.section	.text._ZN7rocprim17ROCPRIM_400000_NS6detail17trampoline_kernelINS0_14default_configENS1_35adjacent_difference_config_selectorILb1EhEEZNS1_24adjacent_difference_implIS3_Lb1ELb0EPKhPhN6thrust23THRUST_200600_302600_NS4plusIhEEEE10hipError_tPvRmT2_T3_mT4_P12ihipStream_tbEUlT_E_NS1_11comp_targetILNS1_3genE4ELNS1_11target_archE910ELNS1_3gpuE8ELNS1_3repE0EEENS1_30default_config_static_selectorELNS0_4arch9wavefront6targetE1EEEvT1_,"axG",@progbits,_ZN7rocprim17ROCPRIM_400000_NS6detail17trampoline_kernelINS0_14default_configENS1_35adjacent_difference_config_selectorILb1EhEEZNS1_24adjacent_difference_implIS3_Lb1ELb0EPKhPhN6thrust23THRUST_200600_302600_NS4plusIhEEEE10hipError_tPvRmT2_T3_mT4_P12ihipStream_tbEUlT_E_NS1_11comp_targetILNS1_3genE4ELNS1_11target_archE910ELNS1_3gpuE8ELNS1_3repE0EEENS1_30default_config_static_selectorELNS0_4arch9wavefront6targetE1EEEvT1_,comdat
	.protected	_ZN7rocprim17ROCPRIM_400000_NS6detail17trampoline_kernelINS0_14default_configENS1_35adjacent_difference_config_selectorILb1EhEEZNS1_24adjacent_difference_implIS3_Lb1ELb0EPKhPhN6thrust23THRUST_200600_302600_NS4plusIhEEEE10hipError_tPvRmT2_T3_mT4_P12ihipStream_tbEUlT_E_NS1_11comp_targetILNS1_3genE4ELNS1_11target_archE910ELNS1_3gpuE8ELNS1_3repE0EEENS1_30default_config_static_selectorELNS0_4arch9wavefront6targetE1EEEvT1_ ; -- Begin function _ZN7rocprim17ROCPRIM_400000_NS6detail17trampoline_kernelINS0_14default_configENS1_35adjacent_difference_config_selectorILb1EhEEZNS1_24adjacent_difference_implIS3_Lb1ELb0EPKhPhN6thrust23THRUST_200600_302600_NS4plusIhEEEE10hipError_tPvRmT2_T3_mT4_P12ihipStream_tbEUlT_E_NS1_11comp_targetILNS1_3genE4ELNS1_11target_archE910ELNS1_3gpuE8ELNS1_3repE0EEENS1_30default_config_static_selectorELNS0_4arch9wavefront6targetE1EEEvT1_
	.globl	_ZN7rocprim17ROCPRIM_400000_NS6detail17trampoline_kernelINS0_14default_configENS1_35adjacent_difference_config_selectorILb1EhEEZNS1_24adjacent_difference_implIS3_Lb1ELb0EPKhPhN6thrust23THRUST_200600_302600_NS4plusIhEEEE10hipError_tPvRmT2_T3_mT4_P12ihipStream_tbEUlT_E_NS1_11comp_targetILNS1_3genE4ELNS1_11target_archE910ELNS1_3gpuE8ELNS1_3repE0EEENS1_30default_config_static_selectorELNS0_4arch9wavefront6targetE1EEEvT1_
	.p2align	8
	.type	_ZN7rocprim17ROCPRIM_400000_NS6detail17trampoline_kernelINS0_14default_configENS1_35adjacent_difference_config_selectorILb1EhEEZNS1_24adjacent_difference_implIS3_Lb1ELb0EPKhPhN6thrust23THRUST_200600_302600_NS4plusIhEEEE10hipError_tPvRmT2_T3_mT4_P12ihipStream_tbEUlT_E_NS1_11comp_targetILNS1_3genE4ELNS1_11target_archE910ELNS1_3gpuE8ELNS1_3repE0EEENS1_30default_config_static_selectorELNS0_4arch9wavefront6targetE1EEEvT1_,@function
_ZN7rocprim17ROCPRIM_400000_NS6detail17trampoline_kernelINS0_14default_configENS1_35adjacent_difference_config_selectorILb1EhEEZNS1_24adjacent_difference_implIS3_Lb1ELb0EPKhPhN6thrust23THRUST_200600_302600_NS4plusIhEEEE10hipError_tPvRmT2_T3_mT4_P12ihipStream_tbEUlT_E_NS1_11comp_targetILNS1_3genE4ELNS1_11target_archE910ELNS1_3gpuE8ELNS1_3repE0EEENS1_30default_config_static_selectorELNS0_4arch9wavefront6targetE1EEEvT1_: ; @_ZN7rocprim17ROCPRIM_400000_NS6detail17trampoline_kernelINS0_14default_configENS1_35adjacent_difference_config_selectorILb1EhEEZNS1_24adjacent_difference_implIS3_Lb1ELb0EPKhPhN6thrust23THRUST_200600_302600_NS4plusIhEEEE10hipError_tPvRmT2_T3_mT4_P12ihipStream_tbEUlT_E_NS1_11comp_targetILNS1_3genE4ELNS1_11target_archE910ELNS1_3gpuE8ELNS1_3repE0EEENS1_30default_config_static_selectorELNS0_4arch9wavefront6targetE1EEEvT1_
; %bb.0:
	.section	.rodata,"a",@progbits
	.p2align	6, 0x0
	.amdhsa_kernel _ZN7rocprim17ROCPRIM_400000_NS6detail17trampoline_kernelINS0_14default_configENS1_35adjacent_difference_config_selectorILb1EhEEZNS1_24adjacent_difference_implIS3_Lb1ELb0EPKhPhN6thrust23THRUST_200600_302600_NS4plusIhEEEE10hipError_tPvRmT2_T3_mT4_P12ihipStream_tbEUlT_E_NS1_11comp_targetILNS1_3genE4ELNS1_11target_archE910ELNS1_3gpuE8ELNS1_3repE0EEENS1_30default_config_static_selectorELNS0_4arch9wavefront6targetE1EEEvT1_
		.amdhsa_group_segment_fixed_size 0
		.amdhsa_private_segment_fixed_size 0
		.amdhsa_kernarg_size 56
		.amdhsa_user_sgpr_count 2
		.amdhsa_user_sgpr_dispatch_ptr 0
		.amdhsa_user_sgpr_queue_ptr 0
		.amdhsa_user_sgpr_kernarg_segment_ptr 1
		.amdhsa_user_sgpr_dispatch_id 0
		.amdhsa_user_sgpr_kernarg_preload_length 0
		.amdhsa_user_sgpr_kernarg_preload_offset 0
		.amdhsa_user_sgpr_private_segment_size 0
		.amdhsa_uses_dynamic_stack 0
		.amdhsa_enable_private_segment 0
		.amdhsa_system_sgpr_workgroup_id_x 1
		.amdhsa_system_sgpr_workgroup_id_y 0
		.amdhsa_system_sgpr_workgroup_id_z 0
		.amdhsa_system_sgpr_workgroup_info 0
		.amdhsa_system_vgpr_workitem_id 0
		.amdhsa_next_free_vgpr 1
		.amdhsa_next_free_sgpr 0
		.amdhsa_accum_offset 4
		.amdhsa_reserve_vcc 0
		.amdhsa_float_round_mode_32 0
		.amdhsa_float_round_mode_16_64 0
		.amdhsa_float_denorm_mode_32 3
		.amdhsa_float_denorm_mode_16_64 3
		.amdhsa_dx10_clamp 1
		.amdhsa_ieee_mode 1
		.amdhsa_fp16_overflow 0
		.amdhsa_tg_split 0
		.amdhsa_exception_fp_ieee_invalid_op 0
		.amdhsa_exception_fp_denorm_src 0
		.amdhsa_exception_fp_ieee_div_zero 0
		.amdhsa_exception_fp_ieee_overflow 0
		.amdhsa_exception_fp_ieee_underflow 0
		.amdhsa_exception_fp_ieee_inexact 0
		.amdhsa_exception_int_div_zero 0
	.end_amdhsa_kernel
	.section	.text._ZN7rocprim17ROCPRIM_400000_NS6detail17trampoline_kernelINS0_14default_configENS1_35adjacent_difference_config_selectorILb1EhEEZNS1_24adjacent_difference_implIS3_Lb1ELb0EPKhPhN6thrust23THRUST_200600_302600_NS4plusIhEEEE10hipError_tPvRmT2_T3_mT4_P12ihipStream_tbEUlT_E_NS1_11comp_targetILNS1_3genE4ELNS1_11target_archE910ELNS1_3gpuE8ELNS1_3repE0EEENS1_30default_config_static_selectorELNS0_4arch9wavefront6targetE1EEEvT1_,"axG",@progbits,_ZN7rocprim17ROCPRIM_400000_NS6detail17trampoline_kernelINS0_14default_configENS1_35adjacent_difference_config_selectorILb1EhEEZNS1_24adjacent_difference_implIS3_Lb1ELb0EPKhPhN6thrust23THRUST_200600_302600_NS4plusIhEEEE10hipError_tPvRmT2_T3_mT4_P12ihipStream_tbEUlT_E_NS1_11comp_targetILNS1_3genE4ELNS1_11target_archE910ELNS1_3gpuE8ELNS1_3repE0EEENS1_30default_config_static_selectorELNS0_4arch9wavefront6targetE1EEEvT1_,comdat
.Lfunc_end511:
	.size	_ZN7rocprim17ROCPRIM_400000_NS6detail17trampoline_kernelINS0_14default_configENS1_35adjacent_difference_config_selectorILb1EhEEZNS1_24adjacent_difference_implIS3_Lb1ELb0EPKhPhN6thrust23THRUST_200600_302600_NS4plusIhEEEE10hipError_tPvRmT2_T3_mT4_P12ihipStream_tbEUlT_E_NS1_11comp_targetILNS1_3genE4ELNS1_11target_archE910ELNS1_3gpuE8ELNS1_3repE0EEENS1_30default_config_static_selectorELNS0_4arch9wavefront6targetE1EEEvT1_, .Lfunc_end511-_ZN7rocprim17ROCPRIM_400000_NS6detail17trampoline_kernelINS0_14default_configENS1_35adjacent_difference_config_selectorILb1EhEEZNS1_24adjacent_difference_implIS3_Lb1ELb0EPKhPhN6thrust23THRUST_200600_302600_NS4plusIhEEEE10hipError_tPvRmT2_T3_mT4_P12ihipStream_tbEUlT_E_NS1_11comp_targetILNS1_3genE4ELNS1_11target_archE910ELNS1_3gpuE8ELNS1_3repE0EEENS1_30default_config_static_selectorELNS0_4arch9wavefront6targetE1EEEvT1_
                                        ; -- End function
	.section	.AMDGPU.csdata,"",@progbits
; Kernel info:
; codeLenInByte = 0
; NumSgprs: 6
; NumVgprs: 0
; NumAgprs: 0
; TotalNumVgprs: 0
; ScratchSize: 0
; MemoryBound: 0
; FloatMode: 240
; IeeeMode: 1
; LDSByteSize: 0 bytes/workgroup (compile time only)
; SGPRBlocks: 0
; VGPRBlocks: 0
; NumSGPRsForWavesPerEU: 6
; NumVGPRsForWavesPerEU: 1
; AccumOffset: 4
; Occupancy: 8
; WaveLimiterHint : 0
; COMPUTE_PGM_RSRC2:SCRATCH_EN: 0
; COMPUTE_PGM_RSRC2:USER_SGPR: 2
; COMPUTE_PGM_RSRC2:TRAP_HANDLER: 0
; COMPUTE_PGM_RSRC2:TGID_X_EN: 1
; COMPUTE_PGM_RSRC2:TGID_Y_EN: 0
; COMPUTE_PGM_RSRC2:TGID_Z_EN: 0
; COMPUTE_PGM_RSRC2:TIDIG_COMP_CNT: 0
; COMPUTE_PGM_RSRC3_GFX90A:ACCUM_OFFSET: 0
; COMPUTE_PGM_RSRC3_GFX90A:TG_SPLIT: 0
	.section	.text._ZN7rocprim17ROCPRIM_400000_NS6detail17trampoline_kernelINS0_14default_configENS1_35adjacent_difference_config_selectorILb1EhEEZNS1_24adjacent_difference_implIS3_Lb1ELb0EPKhPhN6thrust23THRUST_200600_302600_NS4plusIhEEEE10hipError_tPvRmT2_T3_mT4_P12ihipStream_tbEUlT_E_NS1_11comp_targetILNS1_3genE3ELNS1_11target_archE908ELNS1_3gpuE7ELNS1_3repE0EEENS1_30default_config_static_selectorELNS0_4arch9wavefront6targetE1EEEvT1_,"axG",@progbits,_ZN7rocprim17ROCPRIM_400000_NS6detail17trampoline_kernelINS0_14default_configENS1_35adjacent_difference_config_selectorILb1EhEEZNS1_24adjacent_difference_implIS3_Lb1ELb0EPKhPhN6thrust23THRUST_200600_302600_NS4plusIhEEEE10hipError_tPvRmT2_T3_mT4_P12ihipStream_tbEUlT_E_NS1_11comp_targetILNS1_3genE3ELNS1_11target_archE908ELNS1_3gpuE7ELNS1_3repE0EEENS1_30default_config_static_selectorELNS0_4arch9wavefront6targetE1EEEvT1_,comdat
	.protected	_ZN7rocprim17ROCPRIM_400000_NS6detail17trampoline_kernelINS0_14default_configENS1_35adjacent_difference_config_selectorILb1EhEEZNS1_24adjacent_difference_implIS3_Lb1ELb0EPKhPhN6thrust23THRUST_200600_302600_NS4plusIhEEEE10hipError_tPvRmT2_T3_mT4_P12ihipStream_tbEUlT_E_NS1_11comp_targetILNS1_3genE3ELNS1_11target_archE908ELNS1_3gpuE7ELNS1_3repE0EEENS1_30default_config_static_selectorELNS0_4arch9wavefront6targetE1EEEvT1_ ; -- Begin function _ZN7rocprim17ROCPRIM_400000_NS6detail17trampoline_kernelINS0_14default_configENS1_35adjacent_difference_config_selectorILb1EhEEZNS1_24adjacent_difference_implIS3_Lb1ELb0EPKhPhN6thrust23THRUST_200600_302600_NS4plusIhEEEE10hipError_tPvRmT2_T3_mT4_P12ihipStream_tbEUlT_E_NS1_11comp_targetILNS1_3genE3ELNS1_11target_archE908ELNS1_3gpuE7ELNS1_3repE0EEENS1_30default_config_static_selectorELNS0_4arch9wavefront6targetE1EEEvT1_
	.globl	_ZN7rocprim17ROCPRIM_400000_NS6detail17trampoline_kernelINS0_14default_configENS1_35adjacent_difference_config_selectorILb1EhEEZNS1_24adjacent_difference_implIS3_Lb1ELb0EPKhPhN6thrust23THRUST_200600_302600_NS4plusIhEEEE10hipError_tPvRmT2_T3_mT4_P12ihipStream_tbEUlT_E_NS1_11comp_targetILNS1_3genE3ELNS1_11target_archE908ELNS1_3gpuE7ELNS1_3repE0EEENS1_30default_config_static_selectorELNS0_4arch9wavefront6targetE1EEEvT1_
	.p2align	8
	.type	_ZN7rocprim17ROCPRIM_400000_NS6detail17trampoline_kernelINS0_14default_configENS1_35adjacent_difference_config_selectorILb1EhEEZNS1_24adjacent_difference_implIS3_Lb1ELb0EPKhPhN6thrust23THRUST_200600_302600_NS4plusIhEEEE10hipError_tPvRmT2_T3_mT4_P12ihipStream_tbEUlT_E_NS1_11comp_targetILNS1_3genE3ELNS1_11target_archE908ELNS1_3gpuE7ELNS1_3repE0EEENS1_30default_config_static_selectorELNS0_4arch9wavefront6targetE1EEEvT1_,@function
_ZN7rocprim17ROCPRIM_400000_NS6detail17trampoline_kernelINS0_14default_configENS1_35adjacent_difference_config_selectorILb1EhEEZNS1_24adjacent_difference_implIS3_Lb1ELb0EPKhPhN6thrust23THRUST_200600_302600_NS4plusIhEEEE10hipError_tPvRmT2_T3_mT4_P12ihipStream_tbEUlT_E_NS1_11comp_targetILNS1_3genE3ELNS1_11target_archE908ELNS1_3gpuE7ELNS1_3repE0EEENS1_30default_config_static_selectorELNS0_4arch9wavefront6targetE1EEEvT1_: ; @_ZN7rocprim17ROCPRIM_400000_NS6detail17trampoline_kernelINS0_14default_configENS1_35adjacent_difference_config_selectorILb1EhEEZNS1_24adjacent_difference_implIS3_Lb1ELb0EPKhPhN6thrust23THRUST_200600_302600_NS4plusIhEEEE10hipError_tPvRmT2_T3_mT4_P12ihipStream_tbEUlT_E_NS1_11comp_targetILNS1_3genE3ELNS1_11target_archE908ELNS1_3gpuE7ELNS1_3repE0EEENS1_30default_config_static_selectorELNS0_4arch9wavefront6targetE1EEEvT1_
; %bb.0:
	.section	.rodata,"a",@progbits
	.p2align	6, 0x0
	.amdhsa_kernel _ZN7rocprim17ROCPRIM_400000_NS6detail17trampoline_kernelINS0_14default_configENS1_35adjacent_difference_config_selectorILb1EhEEZNS1_24adjacent_difference_implIS3_Lb1ELb0EPKhPhN6thrust23THRUST_200600_302600_NS4plusIhEEEE10hipError_tPvRmT2_T3_mT4_P12ihipStream_tbEUlT_E_NS1_11comp_targetILNS1_3genE3ELNS1_11target_archE908ELNS1_3gpuE7ELNS1_3repE0EEENS1_30default_config_static_selectorELNS0_4arch9wavefront6targetE1EEEvT1_
		.amdhsa_group_segment_fixed_size 0
		.amdhsa_private_segment_fixed_size 0
		.amdhsa_kernarg_size 56
		.amdhsa_user_sgpr_count 2
		.amdhsa_user_sgpr_dispatch_ptr 0
		.amdhsa_user_sgpr_queue_ptr 0
		.amdhsa_user_sgpr_kernarg_segment_ptr 1
		.amdhsa_user_sgpr_dispatch_id 0
		.amdhsa_user_sgpr_kernarg_preload_length 0
		.amdhsa_user_sgpr_kernarg_preload_offset 0
		.amdhsa_user_sgpr_private_segment_size 0
		.amdhsa_uses_dynamic_stack 0
		.amdhsa_enable_private_segment 0
		.amdhsa_system_sgpr_workgroup_id_x 1
		.amdhsa_system_sgpr_workgroup_id_y 0
		.amdhsa_system_sgpr_workgroup_id_z 0
		.amdhsa_system_sgpr_workgroup_info 0
		.amdhsa_system_vgpr_workitem_id 0
		.amdhsa_next_free_vgpr 1
		.amdhsa_next_free_sgpr 0
		.amdhsa_accum_offset 4
		.amdhsa_reserve_vcc 0
		.amdhsa_float_round_mode_32 0
		.amdhsa_float_round_mode_16_64 0
		.amdhsa_float_denorm_mode_32 3
		.amdhsa_float_denorm_mode_16_64 3
		.amdhsa_dx10_clamp 1
		.amdhsa_ieee_mode 1
		.amdhsa_fp16_overflow 0
		.amdhsa_tg_split 0
		.amdhsa_exception_fp_ieee_invalid_op 0
		.amdhsa_exception_fp_denorm_src 0
		.amdhsa_exception_fp_ieee_div_zero 0
		.amdhsa_exception_fp_ieee_overflow 0
		.amdhsa_exception_fp_ieee_underflow 0
		.amdhsa_exception_fp_ieee_inexact 0
		.amdhsa_exception_int_div_zero 0
	.end_amdhsa_kernel
	.section	.text._ZN7rocprim17ROCPRIM_400000_NS6detail17trampoline_kernelINS0_14default_configENS1_35adjacent_difference_config_selectorILb1EhEEZNS1_24adjacent_difference_implIS3_Lb1ELb0EPKhPhN6thrust23THRUST_200600_302600_NS4plusIhEEEE10hipError_tPvRmT2_T3_mT4_P12ihipStream_tbEUlT_E_NS1_11comp_targetILNS1_3genE3ELNS1_11target_archE908ELNS1_3gpuE7ELNS1_3repE0EEENS1_30default_config_static_selectorELNS0_4arch9wavefront6targetE1EEEvT1_,"axG",@progbits,_ZN7rocprim17ROCPRIM_400000_NS6detail17trampoline_kernelINS0_14default_configENS1_35adjacent_difference_config_selectorILb1EhEEZNS1_24adjacent_difference_implIS3_Lb1ELb0EPKhPhN6thrust23THRUST_200600_302600_NS4plusIhEEEE10hipError_tPvRmT2_T3_mT4_P12ihipStream_tbEUlT_E_NS1_11comp_targetILNS1_3genE3ELNS1_11target_archE908ELNS1_3gpuE7ELNS1_3repE0EEENS1_30default_config_static_selectorELNS0_4arch9wavefront6targetE1EEEvT1_,comdat
.Lfunc_end512:
	.size	_ZN7rocprim17ROCPRIM_400000_NS6detail17trampoline_kernelINS0_14default_configENS1_35adjacent_difference_config_selectorILb1EhEEZNS1_24adjacent_difference_implIS3_Lb1ELb0EPKhPhN6thrust23THRUST_200600_302600_NS4plusIhEEEE10hipError_tPvRmT2_T3_mT4_P12ihipStream_tbEUlT_E_NS1_11comp_targetILNS1_3genE3ELNS1_11target_archE908ELNS1_3gpuE7ELNS1_3repE0EEENS1_30default_config_static_selectorELNS0_4arch9wavefront6targetE1EEEvT1_, .Lfunc_end512-_ZN7rocprim17ROCPRIM_400000_NS6detail17trampoline_kernelINS0_14default_configENS1_35adjacent_difference_config_selectorILb1EhEEZNS1_24adjacent_difference_implIS3_Lb1ELb0EPKhPhN6thrust23THRUST_200600_302600_NS4plusIhEEEE10hipError_tPvRmT2_T3_mT4_P12ihipStream_tbEUlT_E_NS1_11comp_targetILNS1_3genE3ELNS1_11target_archE908ELNS1_3gpuE7ELNS1_3repE0EEENS1_30default_config_static_selectorELNS0_4arch9wavefront6targetE1EEEvT1_
                                        ; -- End function
	.section	.AMDGPU.csdata,"",@progbits
; Kernel info:
; codeLenInByte = 0
; NumSgprs: 6
; NumVgprs: 0
; NumAgprs: 0
; TotalNumVgprs: 0
; ScratchSize: 0
; MemoryBound: 0
; FloatMode: 240
; IeeeMode: 1
; LDSByteSize: 0 bytes/workgroup (compile time only)
; SGPRBlocks: 0
; VGPRBlocks: 0
; NumSGPRsForWavesPerEU: 6
; NumVGPRsForWavesPerEU: 1
; AccumOffset: 4
; Occupancy: 8
; WaveLimiterHint : 0
; COMPUTE_PGM_RSRC2:SCRATCH_EN: 0
; COMPUTE_PGM_RSRC2:USER_SGPR: 2
; COMPUTE_PGM_RSRC2:TRAP_HANDLER: 0
; COMPUTE_PGM_RSRC2:TGID_X_EN: 1
; COMPUTE_PGM_RSRC2:TGID_Y_EN: 0
; COMPUTE_PGM_RSRC2:TGID_Z_EN: 0
; COMPUTE_PGM_RSRC2:TIDIG_COMP_CNT: 0
; COMPUTE_PGM_RSRC3_GFX90A:ACCUM_OFFSET: 0
; COMPUTE_PGM_RSRC3_GFX90A:TG_SPLIT: 0
	.section	.text._ZN7rocprim17ROCPRIM_400000_NS6detail17trampoline_kernelINS0_14default_configENS1_35adjacent_difference_config_selectorILb1EhEEZNS1_24adjacent_difference_implIS3_Lb1ELb0EPKhPhN6thrust23THRUST_200600_302600_NS4plusIhEEEE10hipError_tPvRmT2_T3_mT4_P12ihipStream_tbEUlT_E_NS1_11comp_targetILNS1_3genE2ELNS1_11target_archE906ELNS1_3gpuE6ELNS1_3repE0EEENS1_30default_config_static_selectorELNS0_4arch9wavefront6targetE1EEEvT1_,"axG",@progbits,_ZN7rocprim17ROCPRIM_400000_NS6detail17trampoline_kernelINS0_14default_configENS1_35adjacent_difference_config_selectorILb1EhEEZNS1_24adjacent_difference_implIS3_Lb1ELb0EPKhPhN6thrust23THRUST_200600_302600_NS4plusIhEEEE10hipError_tPvRmT2_T3_mT4_P12ihipStream_tbEUlT_E_NS1_11comp_targetILNS1_3genE2ELNS1_11target_archE906ELNS1_3gpuE6ELNS1_3repE0EEENS1_30default_config_static_selectorELNS0_4arch9wavefront6targetE1EEEvT1_,comdat
	.protected	_ZN7rocprim17ROCPRIM_400000_NS6detail17trampoline_kernelINS0_14default_configENS1_35adjacent_difference_config_selectorILb1EhEEZNS1_24adjacent_difference_implIS3_Lb1ELb0EPKhPhN6thrust23THRUST_200600_302600_NS4plusIhEEEE10hipError_tPvRmT2_T3_mT4_P12ihipStream_tbEUlT_E_NS1_11comp_targetILNS1_3genE2ELNS1_11target_archE906ELNS1_3gpuE6ELNS1_3repE0EEENS1_30default_config_static_selectorELNS0_4arch9wavefront6targetE1EEEvT1_ ; -- Begin function _ZN7rocprim17ROCPRIM_400000_NS6detail17trampoline_kernelINS0_14default_configENS1_35adjacent_difference_config_selectorILb1EhEEZNS1_24adjacent_difference_implIS3_Lb1ELb0EPKhPhN6thrust23THRUST_200600_302600_NS4plusIhEEEE10hipError_tPvRmT2_T3_mT4_P12ihipStream_tbEUlT_E_NS1_11comp_targetILNS1_3genE2ELNS1_11target_archE906ELNS1_3gpuE6ELNS1_3repE0EEENS1_30default_config_static_selectorELNS0_4arch9wavefront6targetE1EEEvT1_
	.globl	_ZN7rocprim17ROCPRIM_400000_NS6detail17trampoline_kernelINS0_14default_configENS1_35adjacent_difference_config_selectorILb1EhEEZNS1_24adjacent_difference_implIS3_Lb1ELb0EPKhPhN6thrust23THRUST_200600_302600_NS4plusIhEEEE10hipError_tPvRmT2_T3_mT4_P12ihipStream_tbEUlT_E_NS1_11comp_targetILNS1_3genE2ELNS1_11target_archE906ELNS1_3gpuE6ELNS1_3repE0EEENS1_30default_config_static_selectorELNS0_4arch9wavefront6targetE1EEEvT1_
	.p2align	8
	.type	_ZN7rocprim17ROCPRIM_400000_NS6detail17trampoline_kernelINS0_14default_configENS1_35adjacent_difference_config_selectorILb1EhEEZNS1_24adjacent_difference_implIS3_Lb1ELb0EPKhPhN6thrust23THRUST_200600_302600_NS4plusIhEEEE10hipError_tPvRmT2_T3_mT4_P12ihipStream_tbEUlT_E_NS1_11comp_targetILNS1_3genE2ELNS1_11target_archE906ELNS1_3gpuE6ELNS1_3repE0EEENS1_30default_config_static_selectorELNS0_4arch9wavefront6targetE1EEEvT1_,@function
_ZN7rocprim17ROCPRIM_400000_NS6detail17trampoline_kernelINS0_14default_configENS1_35adjacent_difference_config_selectorILb1EhEEZNS1_24adjacent_difference_implIS3_Lb1ELb0EPKhPhN6thrust23THRUST_200600_302600_NS4plusIhEEEE10hipError_tPvRmT2_T3_mT4_P12ihipStream_tbEUlT_E_NS1_11comp_targetILNS1_3genE2ELNS1_11target_archE906ELNS1_3gpuE6ELNS1_3repE0EEENS1_30default_config_static_selectorELNS0_4arch9wavefront6targetE1EEEvT1_: ; @_ZN7rocprim17ROCPRIM_400000_NS6detail17trampoline_kernelINS0_14default_configENS1_35adjacent_difference_config_selectorILb1EhEEZNS1_24adjacent_difference_implIS3_Lb1ELb0EPKhPhN6thrust23THRUST_200600_302600_NS4plusIhEEEE10hipError_tPvRmT2_T3_mT4_P12ihipStream_tbEUlT_E_NS1_11comp_targetILNS1_3genE2ELNS1_11target_archE906ELNS1_3gpuE6ELNS1_3repE0EEENS1_30default_config_static_selectorELNS0_4arch9wavefront6targetE1EEEvT1_
; %bb.0:
	.section	.rodata,"a",@progbits
	.p2align	6, 0x0
	.amdhsa_kernel _ZN7rocprim17ROCPRIM_400000_NS6detail17trampoline_kernelINS0_14default_configENS1_35adjacent_difference_config_selectorILb1EhEEZNS1_24adjacent_difference_implIS3_Lb1ELb0EPKhPhN6thrust23THRUST_200600_302600_NS4plusIhEEEE10hipError_tPvRmT2_T3_mT4_P12ihipStream_tbEUlT_E_NS1_11comp_targetILNS1_3genE2ELNS1_11target_archE906ELNS1_3gpuE6ELNS1_3repE0EEENS1_30default_config_static_selectorELNS0_4arch9wavefront6targetE1EEEvT1_
		.amdhsa_group_segment_fixed_size 0
		.amdhsa_private_segment_fixed_size 0
		.amdhsa_kernarg_size 56
		.amdhsa_user_sgpr_count 2
		.amdhsa_user_sgpr_dispatch_ptr 0
		.amdhsa_user_sgpr_queue_ptr 0
		.amdhsa_user_sgpr_kernarg_segment_ptr 1
		.amdhsa_user_sgpr_dispatch_id 0
		.amdhsa_user_sgpr_kernarg_preload_length 0
		.amdhsa_user_sgpr_kernarg_preload_offset 0
		.amdhsa_user_sgpr_private_segment_size 0
		.amdhsa_uses_dynamic_stack 0
		.amdhsa_enable_private_segment 0
		.amdhsa_system_sgpr_workgroup_id_x 1
		.amdhsa_system_sgpr_workgroup_id_y 0
		.amdhsa_system_sgpr_workgroup_id_z 0
		.amdhsa_system_sgpr_workgroup_info 0
		.amdhsa_system_vgpr_workitem_id 0
		.amdhsa_next_free_vgpr 1
		.amdhsa_next_free_sgpr 0
		.amdhsa_accum_offset 4
		.amdhsa_reserve_vcc 0
		.amdhsa_float_round_mode_32 0
		.amdhsa_float_round_mode_16_64 0
		.amdhsa_float_denorm_mode_32 3
		.amdhsa_float_denorm_mode_16_64 3
		.amdhsa_dx10_clamp 1
		.amdhsa_ieee_mode 1
		.amdhsa_fp16_overflow 0
		.amdhsa_tg_split 0
		.amdhsa_exception_fp_ieee_invalid_op 0
		.amdhsa_exception_fp_denorm_src 0
		.amdhsa_exception_fp_ieee_div_zero 0
		.amdhsa_exception_fp_ieee_overflow 0
		.amdhsa_exception_fp_ieee_underflow 0
		.amdhsa_exception_fp_ieee_inexact 0
		.amdhsa_exception_int_div_zero 0
	.end_amdhsa_kernel
	.section	.text._ZN7rocprim17ROCPRIM_400000_NS6detail17trampoline_kernelINS0_14default_configENS1_35adjacent_difference_config_selectorILb1EhEEZNS1_24adjacent_difference_implIS3_Lb1ELb0EPKhPhN6thrust23THRUST_200600_302600_NS4plusIhEEEE10hipError_tPvRmT2_T3_mT4_P12ihipStream_tbEUlT_E_NS1_11comp_targetILNS1_3genE2ELNS1_11target_archE906ELNS1_3gpuE6ELNS1_3repE0EEENS1_30default_config_static_selectorELNS0_4arch9wavefront6targetE1EEEvT1_,"axG",@progbits,_ZN7rocprim17ROCPRIM_400000_NS6detail17trampoline_kernelINS0_14default_configENS1_35adjacent_difference_config_selectorILb1EhEEZNS1_24adjacent_difference_implIS3_Lb1ELb0EPKhPhN6thrust23THRUST_200600_302600_NS4plusIhEEEE10hipError_tPvRmT2_T3_mT4_P12ihipStream_tbEUlT_E_NS1_11comp_targetILNS1_3genE2ELNS1_11target_archE906ELNS1_3gpuE6ELNS1_3repE0EEENS1_30default_config_static_selectorELNS0_4arch9wavefront6targetE1EEEvT1_,comdat
.Lfunc_end513:
	.size	_ZN7rocprim17ROCPRIM_400000_NS6detail17trampoline_kernelINS0_14default_configENS1_35adjacent_difference_config_selectorILb1EhEEZNS1_24adjacent_difference_implIS3_Lb1ELb0EPKhPhN6thrust23THRUST_200600_302600_NS4plusIhEEEE10hipError_tPvRmT2_T3_mT4_P12ihipStream_tbEUlT_E_NS1_11comp_targetILNS1_3genE2ELNS1_11target_archE906ELNS1_3gpuE6ELNS1_3repE0EEENS1_30default_config_static_selectorELNS0_4arch9wavefront6targetE1EEEvT1_, .Lfunc_end513-_ZN7rocprim17ROCPRIM_400000_NS6detail17trampoline_kernelINS0_14default_configENS1_35adjacent_difference_config_selectorILb1EhEEZNS1_24adjacent_difference_implIS3_Lb1ELb0EPKhPhN6thrust23THRUST_200600_302600_NS4plusIhEEEE10hipError_tPvRmT2_T3_mT4_P12ihipStream_tbEUlT_E_NS1_11comp_targetILNS1_3genE2ELNS1_11target_archE906ELNS1_3gpuE6ELNS1_3repE0EEENS1_30default_config_static_selectorELNS0_4arch9wavefront6targetE1EEEvT1_
                                        ; -- End function
	.section	.AMDGPU.csdata,"",@progbits
; Kernel info:
; codeLenInByte = 0
; NumSgprs: 6
; NumVgprs: 0
; NumAgprs: 0
; TotalNumVgprs: 0
; ScratchSize: 0
; MemoryBound: 0
; FloatMode: 240
; IeeeMode: 1
; LDSByteSize: 0 bytes/workgroup (compile time only)
; SGPRBlocks: 0
; VGPRBlocks: 0
; NumSGPRsForWavesPerEU: 6
; NumVGPRsForWavesPerEU: 1
; AccumOffset: 4
; Occupancy: 8
; WaveLimiterHint : 0
; COMPUTE_PGM_RSRC2:SCRATCH_EN: 0
; COMPUTE_PGM_RSRC2:USER_SGPR: 2
; COMPUTE_PGM_RSRC2:TRAP_HANDLER: 0
; COMPUTE_PGM_RSRC2:TGID_X_EN: 1
; COMPUTE_PGM_RSRC2:TGID_Y_EN: 0
; COMPUTE_PGM_RSRC2:TGID_Z_EN: 0
; COMPUTE_PGM_RSRC2:TIDIG_COMP_CNT: 0
; COMPUTE_PGM_RSRC3_GFX90A:ACCUM_OFFSET: 0
; COMPUTE_PGM_RSRC3_GFX90A:TG_SPLIT: 0
	.section	.text._ZN7rocprim17ROCPRIM_400000_NS6detail17trampoline_kernelINS0_14default_configENS1_35adjacent_difference_config_selectorILb1EhEEZNS1_24adjacent_difference_implIS3_Lb1ELb0EPKhPhN6thrust23THRUST_200600_302600_NS4plusIhEEEE10hipError_tPvRmT2_T3_mT4_P12ihipStream_tbEUlT_E_NS1_11comp_targetILNS1_3genE9ELNS1_11target_archE1100ELNS1_3gpuE3ELNS1_3repE0EEENS1_30default_config_static_selectorELNS0_4arch9wavefront6targetE1EEEvT1_,"axG",@progbits,_ZN7rocprim17ROCPRIM_400000_NS6detail17trampoline_kernelINS0_14default_configENS1_35adjacent_difference_config_selectorILb1EhEEZNS1_24adjacent_difference_implIS3_Lb1ELb0EPKhPhN6thrust23THRUST_200600_302600_NS4plusIhEEEE10hipError_tPvRmT2_T3_mT4_P12ihipStream_tbEUlT_E_NS1_11comp_targetILNS1_3genE9ELNS1_11target_archE1100ELNS1_3gpuE3ELNS1_3repE0EEENS1_30default_config_static_selectorELNS0_4arch9wavefront6targetE1EEEvT1_,comdat
	.protected	_ZN7rocprim17ROCPRIM_400000_NS6detail17trampoline_kernelINS0_14default_configENS1_35adjacent_difference_config_selectorILb1EhEEZNS1_24adjacent_difference_implIS3_Lb1ELb0EPKhPhN6thrust23THRUST_200600_302600_NS4plusIhEEEE10hipError_tPvRmT2_T3_mT4_P12ihipStream_tbEUlT_E_NS1_11comp_targetILNS1_3genE9ELNS1_11target_archE1100ELNS1_3gpuE3ELNS1_3repE0EEENS1_30default_config_static_selectorELNS0_4arch9wavefront6targetE1EEEvT1_ ; -- Begin function _ZN7rocprim17ROCPRIM_400000_NS6detail17trampoline_kernelINS0_14default_configENS1_35adjacent_difference_config_selectorILb1EhEEZNS1_24adjacent_difference_implIS3_Lb1ELb0EPKhPhN6thrust23THRUST_200600_302600_NS4plusIhEEEE10hipError_tPvRmT2_T3_mT4_P12ihipStream_tbEUlT_E_NS1_11comp_targetILNS1_3genE9ELNS1_11target_archE1100ELNS1_3gpuE3ELNS1_3repE0EEENS1_30default_config_static_selectorELNS0_4arch9wavefront6targetE1EEEvT1_
	.globl	_ZN7rocprim17ROCPRIM_400000_NS6detail17trampoline_kernelINS0_14default_configENS1_35adjacent_difference_config_selectorILb1EhEEZNS1_24adjacent_difference_implIS3_Lb1ELb0EPKhPhN6thrust23THRUST_200600_302600_NS4plusIhEEEE10hipError_tPvRmT2_T3_mT4_P12ihipStream_tbEUlT_E_NS1_11comp_targetILNS1_3genE9ELNS1_11target_archE1100ELNS1_3gpuE3ELNS1_3repE0EEENS1_30default_config_static_selectorELNS0_4arch9wavefront6targetE1EEEvT1_
	.p2align	8
	.type	_ZN7rocprim17ROCPRIM_400000_NS6detail17trampoline_kernelINS0_14default_configENS1_35adjacent_difference_config_selectorILb1EhEEZNS1_24adjacent_difference_implIS3_Lb1ELb0EPKhPhN6thrust23THRUST_200600_302600_NS4plusIhEEEE10hipError_tPvRmT2_T3_mT4_P12ihipStream_tbEUlT_E_NS1_11comp_targetILNS1_3genE9ELNS1_11target_archE1100ELNS1_3gpuE3ELNS1_3repE0EEENS1_30default_config_static_selectorELNS0_4arch9wavefront6targetE1EEEvT1_,@function
_ZN7rocprim17ROCPRIM_400000_NS6detail17trampoline_kernelINS0_14default_configENS1_35adjacent_difference_config_selectorILb1EhEEZNS1_24adjacent_difference_implIS3_Lb1ELb0EPKhPhN6thrust23THRUST_200600_302600_NS4plusIhEEEE10hipError_tPvRmT2_T3_mT4_P12ihipStream_tbEUlT_E_NS1_11comp_targetILNS1_3genE9ELNS1_11target_archE1100ELNS1_3gpuE3ELNS1_3repE0EEENS1_30default_config_static_selectorELNS0_4arch9wavefront6targetE1EEEvT1_: ; @_ZN7rocprim17ROCPRIM_400000_NS6detail17trampoline_kernelINS0_14default_configENS1_35adjacent_difference_config_selectorILb1EhEEZNS1_24adjacent_difference_implIS3_Lb1ELb0EPKhPhN6thrust23THRUST_200600_302600_NS4plusIhEEEE10hipError_tPvRmT2_T3_mT4_P12ihipStream_tbEUlT_E_NS1_11comp_targetILNS1_3genE9ELNS1_11target_archE1100ELNS1_3gpuE3ELNS1_3repE0EEENS1_30default_config_static_selectorELNS0_4arch9wavefront6targetE1EEEvT1_
; %bb.0:
	.section	.rodata,"a",@progbits
	.p2align	6, 0x0
	.amdhsa_kernel _ZN7rocprim17ROCPRIM_400000_NS6detail17trampoline_kernelINS0_14default_configENS1_35adjacent_difference_config_selectorILb1EhEEZNS1_24adjacent_difference_implIS3_Lb1ELb0EPKhPhN6thrust23THRUST_200600_302600_NS4plusIhEEEE10hipError_tPvRmT2_T3_mT4_P12ihipStream_tbEUlT_E_NS1_11comp_targetILNS1_3genE9ELNS1_11target_archE1100ELNS1_3gpuE3ELNS1_3repE0EEENS1_30default_config_static_selectorELNS0_4arch9wavefront6targetE1EEEvT1_
		.amdhsa_group_segment_fixed_size 0
		.amdhsa_private_segment_fixed_size 0
		.amdhsa_kernarg_size 56
		.amdhsa_user_sgpr_count 2
		.amdhsa_user_sgpr_dispatch_ptr 0
		.amdhsa_user_sgpr_queue_ptr 0
		.amdhsa_user_sgpr_kernarg_segment_ptr 1
		.amdhsa_user_sgpr_dispatch_id 0
		.amdhsa_user_sgpr_kernarg_preload_length 0
		.amdhsa_user_sgpr_kernarg_preload_offset 0
		.amdhsa_user_sgpr_private_segment_size 0
		.amdhsa_uses_dynamic_stack 0
		.amdhsa_enable_private_segment 0
		.amdhsa_system_sgpr_workgroup_id_x 1
		.amdhsa_system_sgpr_workgroup_id_y 0
		.amdhsa_system_sgpr_workgroup_id_z 0
		.amdhsa_system_sgpr_workgroup_info 0
		.amdhsa_system_vgpr_workitem_id 0
		.amdhsa_next_free_vgpr 1
		.amdhsa_next_free_sgpr 0
		.amdhsa_accum_offset 4
		.amdhsa_reserve_vcc 0
		.amdhsa_float_round_mode_32 0
		.amdhsa_float_round_mode_16_64 0
		.amdhsa_float_denorm_mode_32 3
		.amdhsa_float_denorm_mode_16_64 3
		.amdhsa_dx10_clamp 1
		.amdhsa_ieee_mode 1
		.amdhsa_fp16_overflow 0
		.amdhsa_tg_split 0
		.amdhsa_exception_fp_ieee_invalid_op 0
		.amdhsa_exception_fp_denorm_src 0
		.amdhsa_exception_fp_ieee_div_zero 0
		.amdhsa_exception_fp_ieee_overflow 0
		.amdhsa_exception_fp_ieee_underflow 0
		.amdhsa_exception_fp_ieee_inexact 0
		.amdhsa_exception_int_div_zero 0
	.end_amdhsa_kernel
	.section	.text._ZN7rocprim17ROCPRIM_400000_NS6detail17trampoline_kernelINS0_14default_configENS1_35adjacent_difference_config_selectorILb1EhEEZNS1_24adjacent_difference_implIS3_Lb1ELb0EPKhPhN6thrust23THRUST_200600_302600_NS4plusIhEEEE10hipError_tPvRmT2_T3_mT4_P12ihipStream_tbEUlT_E_NS1_11comp_targetILNS1_3genE9ELNS1_11target_archE1100ELNS1_3gpuE3ELNS1_3repE0EEENS1_30default_config_static_selectorELNS0_4arch9wavefront6targetE1EEEvT1_,"axG",@progbits,_ZN7rocprim17ROCPRIM_400000_NS6detail17trampoline_kernelINS0_14default_configENS1_35adjacent_difference_config_selectorILb1EhEEZNS1_24adjacent_difference_implIS3_Lb1ELb0EPKhPhN6thrust23THRUST_200600_302600_NS4plusIhEEEE10hipError_tPvRmT2_T3_mT4_P12ihipStream_tbEUlT_E_NS1_11comp_targetILNS1_3genE9ELNS1_11target_archE1100ELNS1_3gpuE3ELNS1_3repE0EEENS1_30default_config_static_selectorELNS0_4arch9wavefront6targetE1EEEvT1_,comdat
.Lfunc_end514:
	.size	_ZN7rocprim17ROCPRIM_400000_NS6detail17trampoline_kernelINS0_14default_configENS1_35adjacent_difference_config_selectorILb1EhEEZNS1_24adjacent_difference_implIS3_Lb1ELb0EPKhPhN6thrust23THRUST_200600_302600_NS4plusIhEEEE10hipError_tPvRmT2_T3_mT4_P12ihipStream_tbEUlT_E_NS1_11comp_targetILNS1_3genE9ELNS1_11target_archE1100ELNS1_3gpuE3ELNS1_3repE0EEENS1_30default_config_static_selectorELNS0_4arch9wavefront6targetE1EEEvT1_, .Lfunc_end514-_ZN7rocprim17ROCPRIM_400000_NS6detail17trampoline_kernelINS0_14default_configENS1_35adjacent_difference_config_selectorILb1EhEEZNS1_24adjacent_difference_implIS3_Lb1ELb0EPKhPhN6thrust23THRUST_200600_302600_NS4plusIhEEEE10hipError_tPvRmT2_T3_mT4_P12ihipStream_tbEUlT_E_NS1_11comp_targetILNS1_3genE9ELNS1_11target_archE1100ELNS1_3gpuE3ELNS1_3repE0EEENS1_30default_config_static_selectorELNS0_4arch9wavefront6targetE1EEEvT1_
                                        ; -- End function
	.section	.AMDGPU.csdata,"",@progbits
; Kernel info:
; codeLenInByte = 0
; NumSgprs: 6
; NumVgprs: 0
; NumAgprs: 0
; TotalNumVgprs: 0
; ScratchSize: 0
; MemoryBound: 0
; FloatMode: 240
; IeeeMode: 1
; LDSByteSize: 0 bytes/workgroup (compile time only)
; SGPRBlocks: 0
; VGPRBlocks: 0
; NumSGPRsForWavesPerEU: 6
; NumVGPRsForWavesPerEU: 1
; AccumOffset: 4
; Occupancy: 8
; WaveLimiterHint : 0
; COMPUTE_PGM_RSRC2:SCRATCH_EN: 0
; COMPUTE_PGM_RSRC2:USER_SGPR: 2
; COMPUTE_PGM_RSRC2:TRAP_HANDLER: 0
; COMPUTE_PGM_RSRC2:TGID_X_EN: 1
; COMPUTE_PGM_RSRC2:TGID_Y_EN: 0
; COMPUTE_PGM_RSRC2:TGID_Z_EN: 0
; COMPUTE_PGM_RSRC2:TIDIG_COMP_CNT: 0
; COMPUTE_PGM_RSRC3_GFX90A:ACCUM_OFFSET: 0
; COMPUTE_PGM_RSRC3_GFX90A:TG_SPLIT: 0
	.section	.text._ZN7rocprim17ROCPRIM_400000_NS6detail17trampoline_kernelINS0_14default_configENS1_35adjacent_difference_config_selectorILb1EhEEZNS1_24adjacent_difference_implIS3_Lb1ELb0EPKhPhN6thrust23THRUST_200600_302600_NS4plusIhEEEE10hipError_tPvRmT2_T3_mT4_P12ihipStream_tbEUlT_E_NS1_11comp_targetILNS1_3genE8ELNS1_11target_archE1030ELNS1_3gpuE2ELNS1_3repE0EEENS1_30default_config_static_selectorELNS0_4arch9wavefront6targetE1EEEvT1_,"axG",@progbits,_ZN7rocprim17ROCPRIM_400000_NS6detail17trampoline_kernelINS0_14default_configENS1_35adjacent_difference_config_selectorILb1EhEEZNS1_24adjacent_difference_implIS3_Lb1ELb0EPKhPhN6thrust23THRUST_200600_302600_NS4plusIhEEEE10hipError_tPvRmT2_T3_mT4_P12ihipStream_tbEUlT_E_NS1_11comp_targetILNS1_3genE8ELNS1_11target_archE1030ELNS1_3gpuE2ELNS1_3repE0EEENS1_30default_config_static_selectorELNS0_4arch9wavefront6targetE1EEEvT1_,comdat
	.protected	_ZN7rocprim17ROCPRIM_400000_NS6detail17trampoline_kernelINS0_14default_configENS1_35adjacent_difference_config_selectorILb1EhEEZNS1_24adjacent_difference_implIS3_Lb1ELb0EPKhPhN6thrust23THRUST_200600_302600_NS4plusIhEEEE10hipError_tPvRmT2_T3_mT4_P12ihipStream_tbEUlT_E_NS1_11comp_targetILNS1_3genE8ELNS1_11target_archE1030ELNS1_3gpuE2ELNS1_3repE0EEENS1_30default_config_static_selectorELNS0_4arch9wavefront6targetE1EEEvT1_ ; -- Begin function _ZN7rocprim17ROCPRIM_400000_NS6detail17trampoline_kernelINS0_14default_configENS1_35adjacent_difference_config_selectorILb1EhEEZNS1_24adjacent_difference_implIS3_Lb1ELb0EPKhPhN6thrust23THRUST_200600_302600_NS4plusIhEEEE10hipError_tPvRmT2_T3_mT4_P12ihipStream_tbEUlT_E_NS1_11comp_targetILNS1_3genE8ELNS1_11target_archE1030ELNS1_3gpuE2ELNS1_3repE0EEENS1_30default_config_static_selectorELNS0_4arch9wavefront6targetE1EEEvT1_
	.globl	_ZN7rocprim17ROCPRIM_400000_NS6detail17trampoline_kernelINS0_14default_configENS1_35adjacent_difference_config_selectorILb1EhEEZNS1_24adjacent_difference_implIS3_Lb1ELb0EPKhPhN6thrust23THRUST_200600_302600_NS4plusIhEEEE10hipError_tPvRmT2_T3_mT4_P12ihipStream_tbEUlT_E_NS1_11comp_targetILNS1_3genE8ELNS1_11target_archE1030ELNS1_3gpuE2ELNS1_3repE0EEENS1_30default_config_static_selectorELNS0_4arch9wavefront6targetE1EEEvT1_
	.p2align	8
	.type	_ZN7rocprim17ROCPRIM_400000_NS6detail17trampoline_kernelINS0_14default_configENS1_35adjacent_difference_config_selectorILb1EhEEZNS1_24adjacent_difference_implIS3_Lb1ELb0EPKhPhN6thrust23THRUST_200600_302600_NS4plusIhEEEE10hipError_tPvRmT2_T3_mT4_P12ihipStream_tbEUlT_E_NS1_11comp_targetILNS1_3genE8ELNS1_11target_archE1030ELNS1_3gpuE2ELNS1_3repE0EEENS1_30default_config_static_selectorELNS0_4arch9wavefront6targetE1EEEvT1_,@function
_ZN7rocprim17ROCPRIM_400000_NS6detail17trampoline_kernelINS0_14default_configENS1_35adjacent_difference_config_selectorILb1EhEEZNS1_24adjacent_difference_implIS3_Lb1ELb0EPKhPhN6thrust23THRUST_200600_302600_NS4plusIhEEEE10hipError_tPvRmT2_T3_mT4_P12ihipStream_tbEUlT_E_NS1_11comp_targetILNS1_3genE8ELNS1_11target_archE1030ELNS1_3gpuE2ELNS1_3repE0EEENS1_30default_config_static_selectorELNS0_4arch9wavefront6targetE1EEEvT1_: ; @_ZN7rocprim17ROCPRIM_400000_NS6detail17trampoline_kernelINS0_14default_configENS1_35adjacent_difference_config_selectorILb1EhEEZNS1_24adjacent_difference_implIS3_Lb1ELb0EPKhPhN6thrust23THRUST_200600_302600_NS4plusIhEEEE10hipError_tPvRmT2_T3_mT4_P12ihipStream_tbEUlT_E_NS1_11comp_targetILNS1_3genE8ELNS1_11target_archE1030ELNS1_3gpuE2ELNS1_3repE0EEENS1_30default_config_static_selectorELNS0_4arch9wavefront6targetE1EEEvT1_
; %bb.0:
	.section	.rodata,"a",@progbits
	.p2align	6, 0x0
	.amdhsa_kernel _ZN7rocprim17ROCPRIM_400000_NS6detail17trampoline_kernelINS0_14default_configENS1_35adjacent_difference_config_selectorILb1EhEEZNS1_24adjacent_difference_implIS3_Lb1ELb0EPKhPhN6thrust23THRUST_200600_302600_NS4plusIhEEEE10hipError_tPvRmT2_T3_mT4_P12ihipStream_tbEUlT_E_NS1_11comp_targetILNS1_3genE8ELNS1_11target_archE1030ELNS1_3gpuE2ELNS1_3repE0EEENS1_30default_config_static_selectorELNS0_4arch9wavefront6targetE1EEEvT1_
		.amdhsa_group_segment_fixed_size 0
		.amdhsa_private_segment_fixed_size 0
		.amdhsa_kernarg_size 56
		.amdhsa_user_sgpr_count 2
		.amdhsa_user_sgpr_dispatch_ptr 0
		.amdhsa_user_sgpr_queue_ptr 0
		.amdhsa_user_sgpr_kernarg_segment_ptr 1
		.amdhsa_user_sgpr_dispatch_id 0
		.amdhsa_user_sgpr_kernarg_preload_length 0
		.amdhsa_user_sgpr_kernarg_preload_offset 0
		.amdhsa_user_sgpr_private_segment_size 0
		.amdhsa_uses_dynamic_stack 0
		.amdhsa_enable_private_segment 0
		.amdhsa_system_sgpr_workgroup_id_x 1
		.amdhsa_system_sgpr_workgroup_id_y 0
		.amdhsa_system_sgpr_workgroup_id_z 0
		.amdhsa_system_sgpr_workgroup_info 0
		.amdhsa_system_vgpr_workitem_id 0
		.amdhsa_next_free_vgpr 1
		.amdhsa_next_free_sgpr 0
		.amdhsa_accum_offset 4
		.amdhsa_reserve_vcc 0
		.amdhsa_float_round_mode_32 0
		.amdhsa_float_round_mode_16_64 0
		.amdhsa_float_denorm_mode_32 3
		.amdhsa_float_denorm_mode_16_64 3
		.amdhsa_dx10_clamp 1
		.amdhsa_ieee_mode 1
		.amdhsa_fp16_overflow 0
		.amdhsa_tg_split 0
		.amdhsa_exception_fp_ieee_invalid_op 0
		.amdhsa_exception_fp_denorm_src 0
		.amdhsa_exception_fp_ieee_div_zero 0
		.amdhsa_exception_fp_ieee_overflow 0
		.amdhsa_exception_fp_ieee_underflow 0
		.amdhsa_exception_fp_ieee_inexact 0
		.amdhsa_exception_int_div_zero 0
	.end_amdhsa_kernel
	.section	.text._ZN7rocprim17ROCPRIM_400000_NS6detail17trampoline_kernelINS0_14default_configENS1_35adjacent_difference_config_selectorILb1EhEEZNS1_24adjacent_difference_implIS3_Lb1ELb0EPKhPhN6thrust23THRUST_200600_302600_NS4plusIhEEEE10hipError_tPvRmT2_T3_mT4_P12ihipStream_tbEUlT_E_NS1_11comp_targetILNS1_3genE8ELNS1_11target_archE1030ELNS1_3gpuE2ELNS1_3repE0EEENS1_30default_config_static_selectorELNS0_4arch9wavefront6targetE1EEEvT1_,"axG",@progbits,_ZN7rocprim17ROCPRIM_400000_NS6detail17trampoline_kernelINS0_14default_configENS1_35adjacent_difference_config_selectorILb1EhEEZNS1_24adjacent_difference_implIS3_Lb1ELb0EPKhPhN6thrust23THRUST_200600_302600_NS4plusIhEEEE10hipError_tPvRmT2_T3_mT4_P12ihipStream_tbEUlT_E_NS1_11comp_targetILNS1_3genE8ELNS1_11target_archE1030ELNS1_3gpuE2ELNS1_3repE0EEENS1_30default_config_static_selectorELNS0_4arch9wavefront6targetE1EEEvT1_,comdat
.Lfunc_end515:
	.size	_ZN7rocprim17ROCPRIM_400000_NS6detail17trampoline_kernelINS0_14default_configENS1_35adjacent_difference_config_selectorILb1EhEEZNS1_24adjacent_difference_implIS3_Lb1ELb0EPKhPhN6thrust23THRUST_200600_302600_NS4plusIhEEEE10hipError_tPvRmT2_T3_mT4_P12ihipStream_tbEUlT_E_NS1_11comp_targetILNS1_3genE8ELNS1_11target_archE1030ELNS1_3gpuE2ELNS1_3repE0EEENS1_30default_config_static_selectorELNS0_4arch9wavefront6targetE1EEEvT1_, .Lfunc_end515-_ZN7rocprim17ROCPRIM_400000_NS6detail17trampoline_kernelINS0_14default_configENS1_35adjacent_difference_config_selectorILb1EhEEZNS1_24adjacent_difference_implIS3_Lb1ELb0EPKhPhN6thrust23THRUST_200600_302600_NS4plusIhEEEE10hipError_tPvRmT2_T3_mT4_P12ihipStream_tbEUlT_E_NS1_11comp_targetILNS1_3genE8ELNS1_11target_archE1030ELNS1_3gpuE2ELNS1_3repE0EEENS1_30default_config_static_selectorELNS0_4arch9wavefront6targetE1EEEvT1_
                                        ; -- End function
	.section	.AMDGPU.csdata,"",@progbits
; Kernel info:
; codeLenInByte = 0
; NumSgprs: 6
; NumVgprs: 0
; NumAgprs: 0
; TotalNumVgprs: 0
; ScratchSize: 0
; MemoryBound: 0
; FloatMode: 240
; IeeeMode: 1
; LDSByteSize: 0 bytes/workgroup (compile time only)
; SGPRBlocks: 0
; VGPRBlocks: 0
; NumSGPRsForWavesPerEU: 6
; NumVGPRsForWavesPerEU: 1
; AccumOffset: 4
; Occupancy: 8
; WaveLimiterHint : 0
; COMPUTE_PGM_RSRC2:SCRATCH_EN: 0
; COMPUTE_PGM_RSRC2:USER_SGPR: 2
; COMPUTE_PGM_RSRC2:TRAP_HANDLER: 0
; COMPUTE_PGM_RSRC2:TGID_X_EN: 1
; COMPUTE_PGM_RSRC2:TGID_Y_EN: 0
; COMPUTE_PGM_RSRC2:TGID_Z_EN: 0
; COMPUTE_PGM_RSRC2:TIDIG_COMP_CNT: 0
; COMPUTE_PGM_RSRC3_GFX90A:ACCUM_OFFSET: 0
; COMPUTE_PGM_RSRC3_GFX90A:TG_SPLIT: 0
	.section	.text._ZN7rocprim17ROCPRIM_400000_NS6detail17trampoline_kernelINS0_14default_configENS1_35adjacent_difference_config_selectorILb0EsEEZNS1_24adjacent_difference_implIS3_Lb0ELb0EPKsPsN6thrust23THRUST_200600_302600_NS4plusIsEEEE10hipError_tPvRmT2_T3_mT4_P12ihipStream_tbEUlT_E_NS1_11comp_targetILNS1_3genE0ELNS1_11target_archE4294967295ELNS1_3gpuE0ELNS1_3repE0EEENS1_30default_config_static_selectorELNS0_4arch9wavefront6targetE1EEEvT1_,"axG",@progbits,_ZN7rocprim17ROCPRIM_400000_NS6detail17trampoline_kernelINS0_14default_configENS1_35adjacent_difference_config_selectorILb0EsEEZNS1_24adjacent_difference_implIS3_Lb0ELb0EPKsPsN6thrust23THRUST_200600_302600_NS4plusIsEEEE10hipError_tPvRmT2_T3_mT4_P12ihipStream_tbEUlT_E_NS1_11comp_targetILNS1_3genE0ELNS1_11target_archE4294967295ELNS1_3gpuE0ELNS1_3repE0EEENS1_30default_config_static_selectorELNS0_4arch9wavefront6targetE1EEEvT1_,comdat
	.protected	_ZN7rocprim17ROCPRIM_400000_NS6detail17trampoline_kernelINS0_14default_configENS1_35adjacent_difference_config_selectorILb0EsEEZNS1_24adjacent_difference_implIS3_Lb0ELb0EPKsPsN6thrust23THRUST_200600_302600_NS4plusIsEEEE10hipError_tPvRmT2_T3_mT4_P12ihipStream_tbEUlT_E_NS1_11comp_targetILNS1_3genE0ELNS1_11target_archE4294967295ELNS1_3gpuE0ELNS1_3repE0EEENS1_30default_config_static_selectorELNS0_4arch9wavefront6targetE1EEEvT1_ ; -- Begin function _ZN7rocprim17ROCPRIM_400000_NS6detail17trampoline_kernelINS0_14default_configENS1_35adjacent_difference_config_selectorILb0EsEEZNS1_24adjacent_difference_implIS3_Lb0ELb0EPKsPsN6thrust23THRUST_200600_302600_NS4plusIsEEEE10hipError_tPvRmT2_T3_mT4_P12ihipStream_tbEUlT_E_NS1_11comp_targetILNS1_3genE0ELNS1_11target_archE4294967295ELNS1_3gpuE0ELNS1_3repE0EEENS1_30default_config_static_selectorELNS0_4arch9wavefront6targetE1EEEvT1_
	.globl	_ZN7rocprim17ROCPRIM_400000_NS6detail17trampoline_kernelINS0_14default_configENS1_35adjacent_difference_config_selectorILb0EsEEZNS1_24adjacent_difference_implIS3_Lb0ELb0EPKsPsN6thrust23THRUST_200600_302600_NS4plusIsEEEE10hipError_tPvRmT2_T3_mT4_P12ihipStream_tbEUlT_E_NS1_11comp_targetILNS1_3genE0ELNS1_11target_archE4294967295ELNS1_3gpuE0ELNS1_3repE0EEENS1_30default_config_static_selectorELNS0_4arch9wavefront6targetE1EEEvT1_
	.p2align	8
	.type	_ZN7rocprim17ROCPRIM_400000_NS6detail17trampoline_kernelINS0_14default_configENS1_35adjacent_difference_config_selectorILb0EsEEZNS1_24adjacent_difference_implIS3_Lb0ELb0EPKsPsN6thrust23THRUST_200600_302600_NS4plusIsEEEE10hipError_tPvRmT2_T3_mT4_P12ihipStream_tbEUlT_E_NS1_11comp_targetILNS1_3genE0ELNS1_11target_archE4294967295ELNS1_3gpuE0ELNS1_3repE0EEENS1_30default_config_static_selectorELNS0_4arch9wavefront6targetE1EEEvT1_,@function
_ZN7rocprim17ROCPRIM_400000_NS6detail17trampoline_kernelINS0_14default_configENS1_35adjacent_difference_config_selectorILb0EsEEZNS1_24adjacent_difference_implIS3_Lb0ELb0EPKsPsN6thrust23THRUST_200600_302600_NS4plusIsEEEE10hipError_tPvRmT2_T3_mT4_P12ihipStream_tbEUlT_E_NS1_11comp_targetILNS1_3genE0ELNS1_11target_archE4294967295ELNS1_3gpuE0ELNS1_3repE0EEENS1_30default_config_static_selectorELNS0_4arch9wavefront6targetE1EEEvT1_: ; @_ZN7rocprim17ROCPRIM_400000_NS6detail17trampoline_kernelINS0_14default_configENS1_35adjacent_difference_config_selectorILb0EsEEZNS1_24adjacent_difference_implIS3_Lb0ELb0EPKsPsN6thrust23THRUST_200600_302600_NS4plusIsEEEE10hipError_tPvRmT2_T3_mT4_P12ihipStream_tbEUlT_E_NS1_11comp_targetILNS1_3genE0ELNS1_11target_archE4294967295ELNS1_3gpuE0ELNS1_3repE0EEENS1_30default_config_static_selectorELNS0_4arch9wavefront6targetE1EEEvT1_
; %bb.0:
	.section	.rodata,"a",@progbits
	.p2align	6, 0x0
	.amdhsa_kernel _ZN7rocprim17ROCPRIM_400000_NS6detail17trampoline_kernelINS0_14default_configENS1_35adjacent_difference_config_selectorILb0EsEEZNS1_24adjacent_difference_implIS3_Lb0ELb0EPKsPsN6thrust23THRUST_200600_302600_NS4plusIsEEEE10hipError_tPvRmT2_T3_mT4_P12ihipStream_tbEUlT_E_NS1_11comp_targetILNS1_3genE0ELNS1_11target_archE4294967295ELNS1_3gpuE0ELNS1_3repE0EEENS1_30default_config_static_selectorELNS0_4arch9wavefront6targetE1EEEvT1_
		.amdhsa_group_segment_fixed_size 0
		.amdhsa_private_segment_fixed_size 0
		.amdhsa_kernarg_size 56
		.amdhsa_user_sgpr_count 2
		.amdhsa_user_sgpr_dispatch_ptr 0
		.amdhsa_user_sgpr_queue_ptr 0
		.amdhsa_user_sgpr_kernarg_segment_ptr 1
		.amdhsa_user_sgpr_dispatch_id 0
		.amdhsa_user_sgpr_kernarg_preload_length 0
		.amdhsa_user_sgpr_kernarg_preload_offset 0
		.amdhsa_user_sgpr_private_segment_size 0
		.amdhsa_uses_dynamic_stack 0
		.amdhsa_enable_private_segment 0
		.amdhsa_system_sgpr_workgroup_id_x 1
		.amdhsa_system_sgpr_workgroup_id_y 0
		.amdhsa_system_sgpr_workgroup_id_z 0
		.amdhsa_system_sgpr_workgroup_info 0
		.amdhsa_system_vgpr_workitem_id 0
		.amdhsa_next_free_vgpr 1
		.amdhsa_next_free_sgpr 0
		.amdhsa_accum_offset 4
		.amdhsa_reserve_vcc 0
		.amdhsa_float_round_mode_32 0
		.amdhsa_float_round_mode_16_64 0
		.amdhsa_float_denorm_mode_32 3
		.amdhsa_float_denorm_mode_16_64 3
		.amdhsa_dx10_clamp 1
		.amdhsa_ieee_mode 1
		.amdhsa_fp16_overflow 0
		.amdhsa_tg_split 0
		.amdhsa_exception_fp_ieee_invalid_op 0
		.amdhsa_exception_fp_denorm_src 0
		.amdhsa_exception_fp_ieee_div_zero 0
		.amdhsa_exception_fp_ieee_overflow 0
		.amdhsa_exception_fp_ieee_underflow 0
		.amdhsa_exception_fp_ieee_inexact 0
		.amdhsa_exception_int_div_zero 0
	.end_amdhsa_kernel
	.section	.text._ZN7rocprim17ROCPRIM_400000_NS6detail17trampoline_kernelINS0_14default_configENS1_35adjacent_difference_config_selectorILb0EsEEZNS1_24adjacent_difference_implIS3_Lb0ELb0EPKsPsN6thrust23THRUST_200600_302600_NS4plusIsEEEE10hipError_tPvRmT2_T3_mT4_P12ihipStream_tbEUlT_E_NS1_11comp_targetILNS1_3genE0ELNS1_11target_archE4294967295ELNS1_3gpuE0ELNS1_3repE0EEENS1_30default_config_static_selectorELNS0_4arch9wavefront6targetE1EEEvT1_,"axG",@progbits,_ZN7rocprim17ROCPRIM_400000_NS6detail17trampoline_kernelINS0_14default_configENS1_35adjacent_difference_config_selectorILb0EsEEZNS1_24adjacent_difference_implIS3_Lb0ELb0EPKsPsN6thrust23THRUST_200600_302600_NS4plusIsEEEE10hipError_tPvRmT2_T3_mT4_P12ihipStream_tbEUlT_E_NS1_11comp_targetILNS1_3genE0ELNS1_11target_archE4294967295ELNS1_3gpuE0ELNS1_3repE0EEENS1_30default_config_static_selectorELNS0_4arch9wavefront6targetE1EEEvT1_,comdat
.Lfunc_end516:
	.size	_ZN7rocprim17ROCPRIM_400000_NS6detail17trampoline_kernelINS0_14default_configENS1_35adjacent_difference_config_selectorILb0EsEEZNS1_24adjacent_difference_implIS3_Lb0ELb0EPKsPsN6thrust23THRUST_200600_302600_NS4plusIsEEEE10hipError_tPvRmT2_T3_mT4_P12ihipStream_tbEUlT_E_NS1_11comp_targetILNS1_3genE0ELNS1_11target_archE4294967295ELNS1_3gpuE0ELNS1_3repE0EEENS1_30default_config_static_selectorELNS0_4arch9wavefront6targetE1EEEvT1_, .Lfunc_end516-_ZN7rocprim17ROCPRIM_400000_NS6detail17trampoline_kernelINS0_14default_configENS1_35adjacent_difference_config_selectorILb0EsEEZNS1_24adjacent_difference_implIS3_Lb0ELb0EPKsPsN6thrust23THRUST_200600_302600_NS4plusIsEEEE10hipError_tPvRmT2_T3_mT4_P12ihipStream_tbEUlT_E_NS1_11comp_targetILNS1_3genE0ELNS1_11target_archE4294967295ELNS1_3gpuE0ELNS1_3repE0EEENS1_30default_config_static_selectorELNS0_4arch9wavefront6targetE1EEEvT1_
                                        ; -- End function
	.section	.AMDGPU.csdata,"",@progbits
; Kernel info:
; codeLenInByte = 0
; NumSgprs: 6
; NumVgprs: 0
; NumAgprs: 0
; TotalNumVgprs: 0
; ScratchSize: 0
; MemoryBound: 0
; FloatMode: 240
; IeeeMode: 1
; LDSByteSize: 0 bytes/workgroup (compile time only)
; SGPRBlocks: 0
; VGPRBlocks: 0
; NumSGPRsForWavesPerEU: 6
; NumVGPRsForWavesPerEU: 1
; AccumOffset: 4
; Occupancy: 8
; WaveLimiterHint : 0
; COMPUTE_PGM_RSRC2:SCRATCH_EN: 0
; COMPUTE_PGM_RSRC2:USER_SGPR: 2
; COMPUTE_PGM_RSRC2:TRAP_HANDLER: 0
; COMPUTE_PGM_RSRC2:TGID_X_EN: 1
; COMPUTE_PGM_RSRC2:TGID_Y_EN: 0
; COMPUTE_PGM_RSRC2:TGID_Z_EN: 0
; COMPUTE_PGM_RSRC2:TIDIG_COMP_CNT: 0
; COMPUTE_PGM_RSRC3_GFX90A:ACCUM_OFFSET: 0
; COMPUTE_PGM_RSRC3_GFX90A:TG_SPLIT: 0
	.section	.text._ZN7rocprim17ROCPRIM_400000_NS6detail17trampoline_kernelINS0_14default_configENS1_35adjacent_difference_config_selectorILb0EsEEZNS1_24adjacent_difference_implIS3_Lb0ELb0EPKsPsN6thrust23THRUST_200600_302600_NS4plusIsEEEE10hipError_tPvRmT2_T3_mT4_P12ihipStream_tbEUlT_E_NS1_11comp_targetILNS1_3genE10ELNS1_11target_archE1201ELNS1_3gpuE5ELNS1_3repE0EEENS1_30default_config_static_selectorELNS0_4arch9wavefront6targetE1EEEvT1_,"axG",@progbits,_ZN7rocprim17ROCPRIM_400000_NS6detail17trampoline_kernelINS0_14default_configENS1_35adjacent_difference_config_selectorILb0EsEEZNS1_24adjacent_difference_implIS3_Lb0ELb0EPKsPsN6thrust23THRUST_200600_302600_NS4plusIsEEEE10hipError_tPvRmT2_T3_mT4_P12ihipStream_tbEUlT_E_NS1_11comp_targetILNS1_3genE10ELNS1_11target_archE1201ELNS1_3gpuE5ELNS1_3repE0EEENS1_30default_config_static_selectorELNS0_4arch9wavefront6targetE1EEEvT1_,comdat
	.protected	_ZN7rocprim17ROCPRIM_400000_NS6detail17trampoline_kernelINS0_14default_configENS1_35adjacent_difference_config_selectorILb0EsEEZNS1_24adjacent_difference_implIS3_Lb0ELb0EPKsPsN6thrust23THRUST_200600_302600_NS4plusIsEEEE10hipError_tPvRmT2_T3_mT4_P12ihipStream_tbEUlT_E_NS1_11comp_targetILNS1_3genE10ELNS1_11target_archE1201ELNS1_3gpuE5ELNS1_3repE0EEENS1_30default_config_static_selectorELNS0_4arch9wavefront6targetE1EEEvT1_ ; -- Begin function _ZN7rocprim17ROCPRIM_400000_NS6detail17trampoline_kernelINS0_14default_configENS1_35adjacent_difference_config_selectorILb0EsEEZNS1_24adjacent_difference_implIS3_Lb0ELb0EPKsPsN6thrust23THRUST_200600_302600_NS4plusIsEEEE10hipError_tPvRmT2_T3_mT4_P12ihipStream_tbEUlT_E_NS1_11comp_targetILNS1_3genE10ELNS1_11target_archE1201ELNS1_3gpuE5ELNS1_3repE0EEENS1_30default_config_static_selectorELNS0_4arch9wavefront6targetE1EEEvT1_
	.globl	_ZN7rocprim17ROCPRIM_400000_NS6detail17trampoline_kernelINS0_14default_configENS1_35adjacent_difference_config_selectorILb0EsEEZNS1_24adjacent_difference_implIS3_Lb0ELb0EPKsPsN6thrust23THRUST_200600_302600_NS4plusIsEEEE10hipError_tPvRmT2_T3_mT4_P12ihipStream_tbEUlT_E_NS1_11comp_targetILNS1_3genE10ELNS1_11target_archE1201ELNS1_3gpuE5ELNS1_3repE0EEENS1_30default_config_static_selectorELNS0_4arch9wavefront6targetE1EEEvT1_
	.p2align	8
	.type	_ZN7rocprim17ROCPRIM_400000_NS6detail17trampoline_kernelINS0_14default_configENS1_35adjacent_difference_config_selectorILb0EsEEZNS1_24adjacent_difference_implIS3_Lb0ELb0EPKsPsN6thrust23THRUST_200600_302600_NS4plusIsEEEE10hipError_tPvRmT2_T3_mT4_P12ihipStream_tbEUlT_E_NS1_11comp_targetILNS1_3genE10ELNS1_11target_archE1201ELNS1_3gpuE5ELNS1_3repE0EEENS1_30default_config_static_selectorELNS0_4arch9wavefront6targetE1EEEvT1_,@function
_ZN7rocprim17ROCPRIM_400000_NS6detail17trampoline_kernelINS0_14default_configENS1_35adjacent_difference_config_selectorILb0EsEEZNS1_24adjacent_difference_implIS3_Lb0ELb0EPKsPsN6thrust23THRUST_200600_302600_NS4plusIsEEEE10hipError_tPvRmT2_T3_mT4_P12ihipStream_tbEUlT_E_NS1_11comp_targetILNS1_3genE10ELNS1_11target_archE1201ELNS1_3gpuE5ELNS1_3repE0EEENS1_30default_config_static_selectorELNS0_4arch9wavefront6targetE1EEEvT1_: ; @_ZN7rocprim17ROCPRIM_400000_NS6detail17trampoline_kernelINS0_14default_configENS1_35adjacent_difference_config_selectorILb0EsEEZNS1_24adjacent_difference_implIS3_Lb0ELb0EPKsPsN6thrust23THRUST_200600_302600_NS4plusIsEEEE10hipError_tPvRmT2_T3_mT4_P12ihipStream_tbEUlT_E_NS1_11comp_targetILNS1_3genE10ELNS1_11target_archE1201ELNS1_3gpuE5ELNS1_3repE0EEENS1_30default_config_static_selectorELNS0_4arch9wavefront6targetE1EEEvT1_
; %bb.0:
	.section	.rodata,"a",@progbits
	.p2align	6, 0x0
	.amdhsa_kernel _ZN7rocprim17ROCPRIM_400000_NS6detail17trampoline_kernelINS0_14default_configENS1_35adjacent_difference_config_selectorILb0EsEEZNS1_24adjacent_difference_implIS3_Lb0ELb0EPKsPsN6thrust23THRUST_200600_302600_NS4plusIsEEEE10hipError_tPvRmT2_T3_mT4_P12ihipStream_tbEUlT_E_NS1_11comp_targetILNS1_3genE10ELNS1_11target_archE1201ELNS1_3gpuE5ELNS1_3repE0EEENS1_30default_config_static_selectorELNS0_4arch9wavefront6targetE1EEEvT1_
		.amdhsa_group_segment_fixed_size 0
		.amdhsa_private_segment_fixed_size 0
		.amdhsa_kernarg_size 56
		.amdhsa_user_sgpr_count 2
		.amdhsa_user_sgpr_dispatch_ptr 0
		.amdhsa_user_sgpr_queue_ptr 0
		.amdhsa_user_sgpr_kernarg_segment_ptr 1
		.amdhsa_user_sgpr_dispatch_id 0
		.amdhsa_user_sgpr_kernarg_preload_length 0
		.amdhsa_user_sgpr_kernarg_preload_offset 0
		.amdhsa_user_sgpr_private_segment_size 0
		.amdhsa_uses_dynamic_stack 0
		.amdhsa_enable_private_segment 0
		.amdhsa_system_sgpr_workgroup_id_x 1
		.amdhsa_system_sgpr_workgroup_id_y 0
		.amdhsa_system_sgpr_workgroup_id_z 0
		.amdhsa_system_sgpr_workgroup_info 0
		.amdhsa_system_vgpr_workitem_id 0
		.amdhsa_next_free_vgpr 1
		.amdhsa_next_free_sgpr 0
		.amdhsa_accum_offset 4
		.amdhsa_reserve_vcc 0
		.amdhsa_float_round_mode_32 0
		.amdhsa_float_round_mode_16_64 0
		.amdhsa_float_denorm_mode_32 3
		.amdhsa_float_denorm_mode_16_64 3
		.amdhsa_dx10_clamp 1
		.amdhsa_ieee_mode 1
		.amdhsa_fp16_overflow 0
		.amdhsa_tg_split 0
		.amdhsa_exception_fp_ieee_invalid_op 0
		.amdhsa_exception_fp_denorm_src 0
		.amdhsa_exception_fp_ieee_div_zero 0
		.amdhsa_exception_fp_ieee_overflow 0
		.amdhsa_exception_fp_ieee_underflow 0
		.amdhsa_exception_fp_ieee_inexact 0
		.amdhsa_exception_int_div_zero 0
	.end_amdhsa_kernel
	.section	.text._ZN7rocprim17ROCPRIM_400000_NS6detail17trampoline_kernelINS0_14default_configENS1_35adjacent_difference_config_selectorILb0EsEEZNS1_24adjacent_difference_implIS3_Lb0ELb0EPKsPsN6thrust23THRUST_200600_302600_NS4plusIsEEEE10hipError_tPvRmT2_T3_mT4_P12ihipStream_tbEUlT_E_NS1_11comp_targetILNS1_3genE10ELNS1_11target_archE1201ELNS1_3gpuE5ELNS1_3repE0EEENS1_30default_config_static_selectorELNS0_4arch9wavefront6targetE1EEEvT1_,"axG",@progbits,_ZN7rocprim17ROCPRIM_400000_NS6detail17trampoline_kernelINS0_14default_configENS1_35adjacent_difference_config_selectorILb0EsEEZNS1_24adjacent_difference_implIS3_Lb0ELb0EPKsPsN6thrust23THRUST_200600_302600_NS4plusIsEEEE10hipError_tPvRmT2_T3_mT4_P12ihipStream_tbEUlT_E_NS1_11comp_targetILNS1_3genE10ELNS1_11target_archE1201ELNS1_3gpuE5ELNS1_3repE0EEENS1_30default_config_static_selectorELNS0_4arch9wavefront6targetE1EEEvT1_,comdat
.Lfunc_end517:
	.size	_ZN7rocprim17ROCPRIM_400000_NS6detail17trampoline_kernelINS0_14default_configENS1_35adjacent_difference_config_selectorILb0EsEEZNS1_24adjacent_difference_implIS3_Lb0ELb0EPKsPsN6thrust23THRUST_200600_302600_NS4plusIsEEEE10hipError_tPvRmT2_T3_mT4_P12ihipStream_tbEUlT_E_NS1_11comp_targetILNS1_3genE10ELNS1_11target_archE1201ELNS1_3gpuE5ELNS1_3repE0EEENS1_30default_config_static_selectorELNS0_4arch9wavefront6targetE1EEEvT1_, .Lfunc_end517-_ZN7rocprim17ROCPRIM_400000_NS6detail17trampoline_kernelINS0_14default_configENS1_35adjacent_difference_config_selectorILb0EsEEZNS1_24adjacent_difference_implIS3_Lb0ELb0EPKsPsN6thrust23THRUST_200600_302600_NS4plusIsEEEE10hipError_tPvRmT2_T3_mT4_P12ihipStream_tbEUlT_E_NS1_11comp_targetILNS1_3genE10ELNS1_11target_archE1201ELNS1_3gpuE5ELNS1_3repE0EEENS1_30default_config_static_selectorELNS0_4arch9wavefront6targetE1EEEvT1_
                                        ; -- End function
	.section	.AMDGPU.csdata,"",@progbits
; Kernel info:
; codeLenInByte = 0
; NumSgprs: 6
; NumVgprs: 0
; NumAgprs: 0
; TotalNumVgprs: 0
; ScratchSize: 0
; MemoryBound: 0
; FloatMode: 240
; IeeeMode: 1
; LDSByteSize: 0 bytes/workgroup (compile time only)
; SGPRBlocks: 0
; VGPRBlocks: 0
; NumSGPRsForWavesPerEU: 6
; NumVGPRsForWavesPerEU: 1
; AccumOffset: 4
; Occupancy: 8
; WaveLimiterHint : 0
; COMPUTE_PGM_RSRC2:SCRATCH_EN: 0
; COMPUTE_PGM_RSRC2:USER_SGPR: 2
; COMPUTE_PGM_RSRC2:TRAP_HANDLER: 0
; COMPUTE_PGM_RSRC2:TGID_X_EN: 1
; COMPUTE_PGM_RSRC2:TGID_Y_EN: 0
; COMPUTE_PGM_RSRC2:TGID_Z_EN: 0
; COMPUTE_PGM_RSRC2:TIDIG_COMP_CNT: 0
; COMPUTE_PGM_RSRC3_GFX90A:ACCUM_OFFSET: 0
; COMPUTE_PGM_RSRC3_GFX90A:TG_SPLIT: 0
	.section	.text._ZN7rocprim17ROCPRIM_400000_NS6detail17trampoline_kernelINS0_14default_configENS1_35adjacent_difference_config_selectorILb0EsEEZNS1_24adjacent_difference_implIS3_Lb0ELb0EPKsPsN6thrust23THRUST_200600_302600_NS4plusIsEEEE10hipError_tPvRmT2_T3_mT4_P12ihipStream_tbEUlT_E_NS1_11comp_targetILNS1_3genE5ELNS1_11target_archE942ELNS1_3gpuE9ELNS1_3repE0EEENS1_30default_config_static_selectorELNS0_4arch9wavefront6targetE1EEEvT1_,"axG",@progbits,_ZN7rocprim17ROCPRIM_400000_NS6detail17trampoline_kernelINS0_14default_configENS1_35adjacent_difference_config_selectorILb0EsEEZNS1_24adjacent_difference_implIS3_Lb0ELb0EPKsPsN6thrust23THRUST_200600_302600_NS4plusIsEEEE10hipError_tPvRmT2_T3_mT4_P12ihipStream_tbEUlT_E_NS1_11comp_targetILNS1_3genE5ELNS1_11target_archE942ELNS1_3gpuE9ELNS1_3repE0EEENS1_30default_config_static_selectorELNS0_4arch9wavefront6targetE1EEEvT1_,comdat
	.protected	_ZN7rocprim17ROCPRIM_400000_NS6detail17trampoline_kernelINS0_14default_configENS1_35adjacent_difference_config_selectorILb0EsEEZNS1_24adjacent_difference_implIS3_Lb0ELb0EPKsPsN6thrust23THRUST_200600_302600_NS4plusIsEEEE10hipError_tPvRmT2_T3_mT4_P12ihipStream_tbEUlT_E_NS1_11comp_targetILNS1_3genE5ELNS1_11target_archE942ELNS1_3gpuE9ELNS1_3repE0EEENS1_30default_config_static_selectorELNS0_4arch9wavefront6targetE1EEEvT1_ ; -- Begin function _ZN7rocprim17ROCPRIM_400000_NS6detail17trampoline_kernelINS0_14default_configENS1_35adjacent_difference_config_selectorILb0EsEEZNS1_24adjacent_difference_implIS3_Lb0ELb0EPKsPsN6thrust23THRUST_200600_302600_NS4plusIsEEEE10hipError_tPvRmT2_T3_mT4_P12ihipStream_tbEUlT_E_NS1_11comp_targetILNS1_3genE5ELNS1_11target_archE942ELNS1_3gpuE9ELNS1_3repE0EEENS1_30default_config_static_selectorELNS0_4arch9wavefront6targetE1EEEvT1_
	.globl	_ZN7rocprim17ROCPRIM_400000_NS6detail17trampoline_kernelINS0_14default_configENS1_35adjacent_difference_config_selectorILb0EsEEZNS1_24adjacent_difference_implIS3_Lb0ELb0EPKsPsN6thrust23THRUST_200600_302600_NS4plusIsEEEE10hipError_tPvRmT2_T3_mT4_P12ihipStream_tbEUlT_E_NS1_11comp_targetILNS1_3genE5ELNS1_11target_archE942ELNS1_3gpuE9ELNS1_3repE0EEENS1_30default_config_static_selectorELNS0_4arch9wavefront6targetE1EEEvT1_
	.p2align	8
	.type	_ZN7rocprim17ROCPRIM_400000_NS6detail17trampoline_kernelINS0_14default_configENS1_35adjacent_difference_config_selectorILb0EsEEZNS1_24adjacent_difference_implIS3_Lb0ELb0EPKsPsN6thrust23THRUST_200600_302600_NS4plusIsEEEE10hipError_tPvRmT2_T3_mT4_P12ihipStream_tbEUlT_E_NS1_11comp_targetILNS1_3genE5ELNS1_11target_archE942ELNS1_3gpuE9ELNS1_3repE0EEENS1_30default_config_static_selectorELNS0_4arch9wavefront6targetE1EEEvT1_,@function
_ZN7rocprim17ROCPRIM_400000_NS6detail17trampoline_kernelINS0_14default_configENS1_35adjacent_difference_config_selectorILb0EsEEZNS1_24adjacent_difference_implIS3_Lb0ELb0EPKsPsN6thrust23THRUST_200600_302600_NS4plusIsEEEE10hipError_tPvRmT2_T3_mT4_P12ihipStream_tbEUlT_E_NS1_11comp_targetILNS1_3genE5ELNS1_11target_archE942ELNS1_3gpuE9ELNS1_3repE0EEENS1_30default_config_static_selectorELNS0_4arch9wavefront6targetE1EEEvT1_: ; @_ZN7rocprim17ROCPRIM_400000_NS6detail17trampoline_kernelINS0_14default_configENS1_35adjacent_difference_config_selectorILb0EsEEZNS1_24adjacent_difference_implIS3_Lb0ELb0EPKsPsN6thrust23THRUST_200600_302600_NS4plusIsEEEE10hipError_tPvRmT2_T3_mT4_P12ihipStream_tbEUlT_E_NS1_11comp_targetILNS1_3genE5ELNS1_11target_archE942ELNS1_3gpuE9ELNS1_3repE0EEENS1_30default_config_static_selectorELNS0_4arch9wavefront6targetE1EEEvT1_
; %bb.0:
	s_load_dwordx8 s[4:11], s[0:1], 0x0
	s_mov_b32 s12, 0x3f0f0aa0
	v_bfrev_b32_e32 v1, 11
	s_movk_i32 s3, 0x1100
	s_load_dwordx2 s[0:1], s[0:1], 0x30
	s_waitcnt lgkmcnt(0)
	s_lshl_b64 s[6:7], s[6:7], 1
	s_add_u32 s20, s4, s6
	s_addc_u32 s21, s5, s7
	s_add_u32 s12, 0x367, s12
	s_addc_u32 s13, 0, 0
	v_add_co_u32_e32 v1, vcc, s12, v1
	s_cmp_lg_u64 vcc, 0
	v_readfirstlane_b32 s14, v1
	s_addc_u32 s12, s13, 0xf0f0e
	s_mul_hi_u32 s15, s14, 0xffffef00
	s_mul_i32 s13, s12, 0xffffef00
	s_sub_i32 s15, s15, s14
	s_add_i32 s15, s15, s13
	s_mul_i32 s17, s14, 0xffffef00
	s_mul_hi_u32 s13, s14, s15
	s_mul_i32 s16, s14, s15
	s_mul_hi_u32 s14, s14, s17
	s_add_u32 s14, s14, s16
	s_addc_u32 s13, 0, s13
	s_mul_hi_u32 s18, s12, s17
	s_mul_i32 s17, s12, s17
	s_add_u32 s14, s14, s17
	s_mul_hi_u32 s16, s12, s15
	s_addc_u32 s13, s13, s18
	s_addc_u32 s14, s16, 0
	s_mul_i32 s15, s12, s15
	s_add_u32 s13, s13, s15
	s_addc_u32 s14, 0, s14
	v_add_co_u32_e32 v1, vcc, s13, v1
	s_cmp_lg_u64 vcc, 0
	s_addc_u32 s12, s12, s14
	v_readfirstlane_b32 s15, v1
	s_mul_i32 s14, s10, s12
	s_mul_hi_u32 s16, s10, s15
	s_mul_hi_u32 s13, s10, s12
	s_add_u32 s14, s16, s14
	s_addc_u32 s13, 0, s13
	s_mul_hi_u32 s17, s11, s15
	s_mul_i32 s15, s11, s15
	s_add_u32 s14, s14, s15
	s_mul_hi_u32 s16, s11, s12
	s_addc_u32 s13, s13, s17
	s_addc_u32 s14, s16, 0
	s_mul_i32 s12, s11, s12
	s_add_u32 s12, s13, s12
	s_addc_u32 s13, 0, s14
	s_add_u32 s14, s12, 1
	s_addc_u32 s15, s13, 0
	s_add_u32 s16, s12, 2
	s_mul_i32 s18, s13, 0x1100
	s_mul_hi_u32 s19, s12, 0x1100
	s_addc_u32 s17, s13, 0
	s_add_i32 s19, s19, s18
	s_mul_i32 s18, s12, 0x1100
	v_mov_b32_e32 v1, s18
	v_sub_co_u32_e32 v1, vcc, s10, v1
	s_cmp_lg_u64 vcc, 0
	s_subb_u32 s18, s11, s19
	v_subrev_co_u32_e32 v2, vcc, s3, v1
	s_cmp_lg_u64 vcc, 0
	s_subb_u32 s3, s18, 0
	v_readfirstlane_b32 s19, v2
	s_cmpk_gt_u32 s19, 0x10ff
	s_cselect_b32 s19, -1, 0
	s_cmp_eq_u32 s3, 0
	s_cselect_b32 s3, s19, -1
	s_cmp_lg_u32 s3, 0
	s_cselect_b32 s3, s16, s14
	s_cselect_b32 s14, s17, s15
	v_readfirstlane_b32 s15, v1
	s_cmpk_gt_u32 s15, 0x10ff
	s_cselect_b32 s15, -1, 0
	s_cmp_eq_u32 s18, 0
	s_cselect_b32 s15, s15, -1
	s_cmp_lg_u32 s15, 0
	s_cselect_b32 s14, s14, s13
	s_cselect_b32 s3, s3, s12
	s_mul_i32 s12, s14, 0x1100
	s_mul_hi_u32 s13, s3, 0x1100
	s_add_i32 s13, s13, s12
	s_mul_i32 s12, s3, 0x1100
	s_sub_u32 s12, s10, s12
	s_subb_u32 s13, s11, s13
	s_cmp_lg_u64 s[12:13], 0
	s_cselect_b64 s[12:13], -1, 0
	v_cndmask_b32_e64 v1, 0, 1, s[12:13]
	s_mul_i32 s4, s2, 0x1100
	v_readfirstlane_b32 s11, v1
	s_add_u32 s12, s3, s11
	s_addc_u32 s13, s14, 0
	s_add_u32 s2, s0, s2
	s_addc_u32 s3, s1, 0
	s_add_u32 s14, s12, -1
	s_addc_u32 s15, s13, -1
	v_mov_b64_e32 v[2:3], s[14:15]
	v_cmp_ge_u64_e64 s[0:1], s[2:3], v[2:3]
	s_mov_b32 s5, 0
	s_mov_b64 s[16:17], -1
	s_and_b64 vcc, exec, s[0:1]
	s_mul_i32 s11, s14, 0xffffef00
	s_cbranch_vccz .LBB518_36
; %bb.1:
	s_add_i32 s22, s11, s10
	s_lshl_b64 s[16:17], s[4:5], 1
	s_add_u32 s16, s20, s16
	s_addc_u32 s17, s21, s17
	v_cmp_gt_u32_e32 vcc, s22, v0
                                        ; implicit-def: $vgpr1
	s_and_saveexec_b64 s[18:19], vcc
	s_cbranch_execz .LBB518_3
; %bb.2:
	v_lshlrev_b32_e32 v1, 1, v0
	global_load_ushort v1, v1, s[16:17]
.LBB518_3:
	s_or_b64 exec, exec, s[18:19]
	v_or_b32_e32 v2, 0x100, v0
	v_cmp_gt_u32_e32 vcc, s22, v2
                                        ; implicit-def: $vgpr2
	s_and_saveexec_b64 s[18:19], vcc
	s_cbranch_execz .LBB518_5
; %bb.4:
	v_lshlrev_b32_e32 v2, 1, v0
	global_load_ushort v2, v2, s[16:17] offset:512
.LBB518_5:
	s_or_b64 exec, exec, s[18:19]
	v_or_b32_e32 v3, 0x200, v0
	v_cmp_gt_u32_e32 vcc, s22, v3
                                        ; implicit-def: $vgpr3
	s_and_saveexec_b64 s[18:19], vcc
	s_cbranch_execz .LBB518_7
; %bb.6:
	v_lshlrev_b32_e32 v3, 1, v0
	global_load_ushort v3, v3, s[16:17] offset:1024
.LBB518_7:
	s_or_b64 exec, exec, s[18:19]
	v_or_b32_e32 v4, 0x300, v0
	v_cmp_gt_u32_e32 vcc, s22, v4
                                        ; implicit-def: $vgpr4
	s_and_saveexec_b64 s[18:19], vcc
	s_cbranch_execz .LBB518_9
; %bb.8:
	v_lshlrev_b32_e32 v4, 1, v0
	global_load_ushort v4, v4, s[16:17] offset:1536
.LBB518_9:
	s_or_b64 exec, exec, s[18:19]
	v_or_b32_e32 v5, 0x400, v0
	v_cmp_gt_u32_e32 vcc, s22, v5
                                        ; implicit-def: $vgpr5
	s_and_saveexec_b64 s[18:19], vcc
	s_cbranch_execz .LBB518_11
; %bb.10:
	v_lshlrev_b32_e32 v5, 1, v0
	global_load_ushort v5, v5, s[16:17] offset:2048
.LBB518_11:
	s_or_b64 exec, exec, s[18:19]
	v_or_b32_e32 v6, 0x500, v0
	v_cmp_gt_u32_e32 vcc, s22, v6
                                        ; implicit-def: $vgpr6
	s_and_saveexec_b64 s[18:19], vcc
	s_cbranch_execz .LBB518_13
; %bb.12:
	v_lshlrev_b32_e32 v6, 1, v0
	global_load_ushort v6, v6, s[16:17] offset:2560
.LBB518_13:
	s_or_b64 exec, exec, s[18:19]
	v_or_b32_e32 v7, 0x600, v0
	v_cmp_gt_u32_e32 vcc, s22, v7
                                        ; implicit-def: $vgpr7
	s_and_saveexec_b64 s[18:19], vcc
	s_cbranch_execz .LBB518_15
; %bb.14:
	v_lshlrev_b32_e32 v7, 1, v0
	global_load_ushort v7, v7, s[16:17] offset:3072
.LBB518_15:
	s_or_b64 exec, exec, s[18:19]
	v_or_b32_e32 v8, 0x700, v0
	v_cmp_gt_u32_e32 vcc, s22, v8
                                        ; implicit-def: $vgpr8
	s_and_saveexec_b64 s[18:19], vcc
	s_cbranch_execz .LBB518_17
; %bb.16:
	v_lshlrev_b32_e32 v8, 1, v0
	global_load_ushort v8, v8, s[16:17] offset:3584
.LBB518_17:
	s_or_b64 exec, exec, s[18:19]
	v_or_b32_e32 v10, 0x800, v0
	v_cmp_gt_u32_e32 vcc, s22, v10
                                        ; implicit-def: $vgpr9
	s_and_saveexec_b64 s[18:19], vcc
	s_cbranch_execz .LBB518_19
; %bb.18:
	v_lshlrev_b32_e32 v9, 1, v10
	global_load_ushort v9, v9, s[16:17]
.LBB518_19:
	s_or_b64 exec, exec, s[18:19]
	v_or_b32_e32 v11, 0x900, v0
	v_cmp_gt_u32_e32 vcc, s22, v11
                                        ; implicit-def: $vgpr10
	s_and_saveexec_b64 s[18:19], vcc
	s_cbranch_execz .LBB518_21
; %bb.20:
	v_lshlrev_b32_e32 v10, 1, v11
	global_load_ushort v10, v10, s[16:17]
.LBB518_21:
	s_or_b64 exec, exec, s[18:19]
	v_or_b32_e32 v12, 0xa00, v0
	v_cmp_gt_u32_e32 vcc, s22, v12
                                        ; implicit-def: $vgpr11
	s_and_saveexec_b64 s[18:19], vcc
	s_cbranch_execz .LBB518_23
; %bb.22:
	v_lshlrev_b32_e32 v11, 1, v12
	global_load_ushort v11, v11, s[16:17]
.LBB518_23:
	s_or_b64 exec, exec, s[18:19]
	v_or_b32_e32 v13, 0xb00, v0
	v_cmp_gt_u32_e32 vcc, s22, v13
                                        ; implicit-def: $vgpr12
	s_and_saveexec_b64 s[18:19], vcc
	s_cbranch_execz .LBB518_25
; %bb.24:
	v_lshlrev_b32_e32 v12, 1, v13
	global_load_ushort v12, v12, s[16:17]
.LBB518_25:
	s_or_b64 exec, exec, s[18:19]
	v_or_b32_e32 v14, 0xc00, v0
	v_cmp_gt_u32_e32 vcc, s22, v14
                                        ; implicit-def: $vgpr13
	s_and_saveexec_b64 s[18:19], vcc
	s_cbranch_execz .LBB518_27
; %bb.26:
	v_lshlrev_b32_e32 v13, 1, v14
	global_load_ushort v13, v13, s[16:17]
.LBB518_27:
	s_or_b64 exec, exec, s[18:19]
	v_or_b32_e32 v15, 0xd00, v0
	v_cmp_gt_u32_e32 vcc, s22, v15
                                        ; implicit-def: $vgpr14
	s_and_saveexec_b64 s[18:19], vcc
	s_cbranch_execz .LBB518_29
; %bb.28:
	v_lshlrev_b32_e32 v14, 1, v15
	global_load_ushort v14, v14, s[16:17]
.LBB518_29:
	s_or_b64 exec, exec, s[18:19]
	v_or_b32_e32 v16, 0xe00, v0
	v_cmp_gt_u32_e32 vcc, s22, v16
                                        ; implicit-def: $vgpr15
	s_and_saveexec_b64 s[18:19], vcc
	s_cbranch_execz .LBB518_31
; %bb.30:
	v_lshlrev_b32_e32 v15, 1, v16
	global_load_ushort v15, v15, s[16:17]
.LBB518_31:
	s_or_b64 exec, exec, s[18:19]
	v_or_b32_e32 v17, 0xf00, v0
	v_cmp_gt_u32_e32 vcc, s22, v17
                                        ; implicit-def: $vgpr16
	s_and_saveexec_b64 s[18:19], vcc
	s_cbranch_execz .LBB518_33
; %bb.32:
	v_lshlrev_b32_e32 v16, 1, v17
	global_load_ushort v16, v16, s[16:17]
.LBB518_33:
	s_or_b64 exec, exec, s[18:19]
	v_or_b32_e32 v18, 0x1000, v0
	v_cmp_gt_u32_e32 vcc, s22, v18
                                        ; implicit-def: $vgpr17
	s_and_saveexec_b64 s[18:19], vcc
	s_cbranch_execz .LBB518_35
; %bb.34:
	v_lshlrev_b32_e32 v17, 1, v18
	global_load_ushort v17, v17, s[16:17]
.LBB518_35:
	s_or_b64 exec, exec, s[18:19]
	v_lshlrev_b32_e32 v18, 1, v0
	s_mov_b64 s[16:17], 0
	s_waitcnt vmcnt(0)
	ds_write_b16 v18, v1
	ds_write_b16 v18, v2 offset:512
	ds_write_b16 v18, v3 offset:1024
	;; [unrolled: 1-line block ×16, first 2 shown]
	s_waitcnt lgkmcnt(0)
	s_barrier
.LBB518_36:
	s_and_b64 vcc, exec, s[16:17]
	v_lshlrev_b32_e32 v10, 1, v0
	s_cbranch_vccz .LBB518_38
; %bb.37:
	s_lshl_b64 s[16:17], s[4:5], 1
	s_add_u32 s16, s20, s16
	s_addc_u32 s17, s21, s17
	v_mov_b32_e32 v11, 0
	v_lshl_add_u64 v[2:3], s[16:17], 0, v[10:11]
	s_movk_i32 s5, 0x1000
	v_add_co_u32_e32 v4, vcc, s5, v2
	s_movk_i32 s5, 0x2000
	s_nop 0
	v_addc_co_u32_e32 v5, vcc, 0, v3, vcc
	v_add_co_u32_e32 v2, vcc, s5, v2
	global_load_ushort v1, v10, s[16:17]
	s_nop 0
	v_addc_co_u32_e32 v3, vcc, 0, v3, vcc
	global_load_ushort v6, v10, s[16:17] offset:512
	global_load_ushort v7, v10, s[16:17] offset:1024
	;; [unrolled: 1-line block ×7, first 2 shown]
	global_load_ushort v14, v[2:3], off offset:-4096
	global_load_ushort v15, v[4:5], off offset:512
	global_load_ushort v16, v[4:5], off offset:1024
	;; [unrolled: 1-line block ×7, first 2 shown]
                                        ; kill: killed $sgpr16 killed $sgpr17
                                        ; kill: killed $vgpr4 killed $vgpr5
	s_nop 0
	global_load_ushort v2, v[2:3], off
	s_waitcnt vmcnt(16)
	ds_write_b16 v10, v1
	s_waitcnt vmcnt(15)
	ds_write_b16 v10, v6 offset:512
	s_waitcnt vmcnt(14)
	ds_write_b16 v10, v7 offset:1024
	;; [unrolled: 2-line block ×16, first 2 shown]
	s_waitcnt lgkmcnt(0)
	s_barrier
.LBB518_38:
	v_mul_u32_u24_e32 v1, 17, v0
	v_lshlrev_b32_e32 v1, 1, v1
	ds_read_b128 v[6:9], v1
	ds_read_b128 v[2:5], v1 offset:16
	ds_read_u16 v11, v1 offset:32
	s_cmp_eq_u64 s[2:3], 0
	s_waitcnt lgkmcnt(0)
	s_barrier
	s_cbranch_scc1 .LBB518_43
; %bb.39:
	s_mov_b32 s5, 0
	s_lshl_b64 s[16:17], s[4:5], 1
	s_add_u32 s16, s20, s16
	s_addc_u32 s17, s21, s17
	v_mov_b32_e32 v1, 0
	global_load_ushort v20, v1, s[16:17] offset:-2
	s_cmp_eq_u64 s[2:3], s[14:15]
	s_cbranch_scc1 .LBB518_44
; %bb.40:
	v_cmp_ne_u32_e32 vcc, 0, v0
	s_waitcnt vmcnt(0)
	v_mov_b32_e32 v1, v20
	ds_write_b16 v10, v11
	s_waitcnt lgkmcnt(0)
	s_barrier
	s_and_saveexec_b64 s[14:15], vcc
	s_cbranch_execz .LBB518_42
; %bb.41:
	v_add_u32_e32 v1, -2, v10
	ds_read_u16 v1, v1
.LBB518_42:
	s_or_b64 exec, exec, s[14:15]
	s_waitcnt lgkmcnt(0)
	v_add_u16_e32 v1, v1, v6
	s_mov_b64 s[14:15], 0
	s_branch .LBB518_45
.LBB518_43:
                                        ; implicit-def: $vgpr12_vgpr13
                                        ; implicit-def: $vgpr14_vgpr15
                                        ; implicit-def: $vgpr16_vgpr17
                                        ; implicit-def: $vgpr18_vgpr19
                                        ; implicit-def: $vgpr1
	s_branch .LBB518_50
.LBB518_44:
	s_mov_b64 s[14:15], -1
                                        ; implicit-def: $vgpr1
.LBB518_45:
	s_and_b64 vcc, exec, s[14:15]
	v_mov_b64_e32 v[12:13], v[4:5]
	v_mov_b64_e32 v[14:15], v[2:3]
	;; [unrolled: 1-line block ×4, first 2 shown]
	s_cbranch_vccz .LBB518_49
; %bb.46:
	v_mul_u32_u24_e32 v1, 17, v0
	v_cmp_ne_u32_e32 vcc, 0, v0
	ds_write_b16 v10, v11
	s_waitcnt lgkmcnt(0)
	s_barrier
	s_and_saveexec_b64 s[14:15], vcc
	s_cbranch_execz .LBB518_48
; %bb.47:
	v_add_u32_e32 v12, -2, v10
	s_waitcnt vmcnt(0)
	ds_read_u16 v20, v12
.LBB518_48:
	s_or_b64 exec, exec, s[14:15]
	s_mulk_i32 s2, 0xef00
	s_add_i32 s2, s2, s10
	v_add_u32_e32 v12, 15, v1
	v_add_u32_e32 v13, 16, v1
	v_cmp_gt_u32_e32 vcc, s2, v12
	v_add_u32_e32 v14, 13, v1
	v_lshrrev_b32_e32 v16, 16, v5
	v_cndmask_b32_e32 v12, 0, v5, vcc
	v_cmp_gt_u32_e32 vcc, s2, v13
	v_add_u32_e32 v15, 14, v1
	s_mov_b32 s3, 0x5040100
	v_cndmask_b32_e32 v13, 0, v16, vcc
	v_cmp_gt_u32_e32 vcc, s2, v14
	v_perm_b32 v13, v13, v12, s3
	v_lshrrev_b32_e32 v14, 16, v4
	v_cndmask_b32_e32 v12, 0, v4, vcc
	v_cmp_gt_u32_e32 vcc, s2, v15
	v_add_u32_e32 v15, 12, v1
	v_add_u32_e32 v16, 9, v1
	v_cndmask_b32_e32 v14, 0, v14, vcc
	v_perm_b32 v12, v14, v12, s3
	v_add_u32_e32 v14, 11, v1
	v_cmp_gt_u32_e32 vcc, s2, v14
	v_lshrrev_b32_e32 v18, 16, v3
	v_add_u32_e32 v17, 10, v1
	v_cndmask_b32_e32 v14, 0, v3, vcc
	v_cmp_gt_u32_e32 vcc, s2, v15
	v_lshrrev_b32_e32 v21, 16, v9
	v_add_u32_e32 v19, 6, v1
	v_cndmask_b32_e32 v15, 0, v18, vcc
	v_cmp_gt_u32_e32 vcc, s2, v16
	v_perm_b32 v15, v15, v14, s3
	v_lshrrev_b32_e32 v16, 16, v2
	v_cndmask_b32_e32 v14, 0, v2, vcc
	v_cmp_gt_u32_e32 vcc, s2, v17
	v_add_u32_e32 v17, 8, v1
	v_add_u32_e32 v18, 5, v1
	v_cndmask_b32_e32 v16, 0, v16, vcc
	v_perm_b32 v14, v16, v14, s3
	v_add_u32_e32 v16, 7, v1
	v_cmp_gt_u32_e32 vcc, s2, v16
	v_lshrrev_b32_e32 v23, 16, v7
	v_add_u32_e32 v22, 2, v1
	v_cndmask_b32_e32 v16, 0, v9, vcc
	v_cmp_gt_u32_e32 vcc, s2, v17
	s_nop 1
	v_cndmask_b32_e32 v17, 0, v21, vcc
	v_cmp_gt_u32_e32 vcc, s2, v18
	v_perm_b32 v17, v17, v16, s3
	v_lshrrev_b32_e32 v18, 16, v8
	v_cndmask_b32_e32 v16, 0, v8, vcc
	v_cmp_gt_u32_e32 vcc, s2, v19
	v_add_u32_e32 v19, 4, v1
	v_add_u32_e32 v21, 1, v1
	v_cndmask_b32_e32 v18, 0, v18, vcc
	v_perm_b32 v16, v18, v16, s3
	v_add_u32_e32 v18, 3, v1
	v_cmp_gt_u32_e32 vcc, s2, v18
	s_nop 1
	v_cndmask_b32_e32 v18, 0, v7, vcc
	v_cmp_gt_u32_e32 vcc, s2, v19
	s_nop 1
	v_cndmask_b32_e32 v19, 0, v23, vcc
	v_cmp_gt_u32_e32 vcc, s2, v21
	v_perm_b32 v19, v19, v18, s3
	v_lshrrev_b32_e32 v21, 16, v6
	v_cndmask_b32_e32 v18, 0, v6, vcc
	v_cmp_gt_u32_e32 vcc, s2, v22
	s_nop 1
	v_cndmask_b32_e32 v21, 0, v21, vcc
	v_cmp_gt_u32_e32 vcc, s2, v1
	v_perm_b32 v18, v21, v18, s3
	s_waitcnt vmcnt(0) lgkmcnt(0)
	v_cndmask_b32_e32 v1, 0, v20, vcc
	v_add_u16_e32 v1, v1, v6
.LBB518_49:
	s_cbranch_execnz .LBB518_59
.LBB518_50:
	s_cmp_eq_u64 s[12:13], 1
	v_cmp_ne_u32_e32 vcc, 0, v0
	s_cbranch_scc1 .LBB518_54
; %bb.51:
	v_mov_b32_e32 v1, v6
	ds_write_b16 v10, v11
	s_waitcnt lgkmcnt(0)
	s_barrier
	s_and_saveexec_b64 s[2:3], vcc
	s_cbranch_execz .LBB518_53
; %bb.52:
	v_add_u32_e32 v1, -2, v10
	ds_read_u16 v1, v1
	s_waitcnt lgkmcnt(0)
	v_add_u16_e32 v1, v1, v6
.LBB518_53:
	s_or_b64 exec, exec, s[2:3]
	s_mov_b64 s[2:3], 0
	s_branch .LBB518_55
.LBB518_54:
	s_mov_b64 s[2:3], -1
                                        ; implicit-def: $vgpr1
.LBB518_55:
	s_andn2_b64 vcc, exec, s[2:3]
	v_mov_b64_e32 v[12:13], v[4:5]
	v_mov_b64_e32 v[14:15], v[2:3]
	;; [unrolled: 1-line block ×4, first 2 shown]
	s_cbranch_vccnz .LBB518_59
; %bb.56:
	v_mad_u32_u24 v12, v0, 17, 15
	v_mad_u32_u24 v13, v0, 17, 16
	v_cmp_gt_u32_e32 vcc, s10, v12
	v_mad_u32_u24 v14, v0, 17, 13
	v_lshrrev_b32_e32 v16, 16, v5
	v_cndmask_b32_e32 v12, 0, v5, vcc
	v_cmp_gt_u32_e32 vcc, s10, v13
	v_mad_u32_u24 v15, v0, 17, 14
	s_mov_b32 s2, 0x5040100
	v_cndmask_b32_e32 v13, 0, v16, vcc
	v_cmp_gt_u32_e32 vcc, s10, v14
	v_perm_b32 v13, v13, v12, s2
	v_lshrrev_b32_e32 v14, 16, v4
	v_cndmask_b32_e32 v12, 0, v4, vcc
	v_cmp_gt_u32_e32 vcc, s10, v15
	v_mad_u32_u24 v15, v0, 17, 12
	v_mad_u32_u24 v16, v0, 17, 9
	v_cndmask_b32_e32 v14, 0, v14, vcc
	v_perm_b32 v12, v14, v12, s2
	v_mad_u32_u24 v14, v0, 17, 11
	v_cmp_gt_u32_e32 vcc, s10, v14
	v_lshrrev_b32_e32 v18, 16, v3
	v_mad_u32_u24 v17, v0, 17, 10
	v_cndmask_b32_e32 v14, 0, v3, vcc
	v_cmp_gt_u32_e32 vcc, s10, v15
	s_waitcnt vmcnt(0)
	v_lshrrev_b32_e32 v20, 16, v9
	v_mad_u32_u24 v19, v0, 17, 6
	v_cndmask_b32_e32 v15, 0, v18, vcc
	v_cmp_gt_u32_e32 vcc, s10, v16
	v_perm_b32 v15, v15, v14, s2
	v_lshrrev_b32_e32 v16, 16, v2
	v_cndmask_b32_e32 v14, 0, v2, vcc
	v_cmp_gt_u32_e32 vcc, s10, v17
	v_mad_u32_u24 v17, v0, 17, 8
	v_mad_u32_u24 v18, v0, 17, 5
	v_cndmask_b32_e32 v16, 0, v16, vcc
	v_perm_b32 v14, v16, v14, s2
	v_mad_u32_u24 v16, v0, 17, 7
	v_cmp_gt_u32_e32 vcc, s10, v16
	v_lshrrev_b32_e32 v22, 16, v7
	v_mad_u32_u24 v21, v0, 17, 2
	v_cndmask_b32_e32 v16, 0, v9, vcc
	v_cmp_gt_u32_e32 vcc, s10, v17
	v_mul_u32_u24_e32 v1, 17, v0
	ds_write_b16 v10, v11
	v_cndmask_b32_e32 v17, 0, v20, vcc
	v_cmp_gt_u32_e32 vcc, s10, v18
	v_perm_b32 v17, v17, v16, s2
	v_lshrrev_b32_e32 v18, 16, v8
	v_cndmask_b32_e32 v16, 0, v8, vcc
	v_cmp_gt_u32_e32 vcc, s10, v19
	v_mad_u32_u24 v19, v0, 17, 4
	v_mad_u32_u24 v20, v0, 17, 1
	v_cndmask_b32_e32 v18, 0, v18, vcc
	v_perm_b32 v16, v18, v16, s2
	v_mad_u32_u24 v18, v0, 17, 3
	v_cmp_gt_u32_e32 vcc, s10, v18
	s_waitcnt lgkmcnt(0)
	s_barrier
	v_cndmask_b32_e32 v18, 0, v7, vcc
	v_cmp_gt_u32_e32 vcc, s10, v19
	s_nop 1
	v_cndmask_b32_e32 v19, 0, v22, vcc
	v_cmp_gt_u32_e32 vcc, s10, v20
	v_perm_b32 v19, v19, v18, s2
	v_lshrrev_b32_e32 v20, 16, v6
	v_cndmask_b32_e32 v18, 0, v6, vcc
	v_cmp_gt_u32_e32 vcc, s10, v21
	s_nop 1
	v_cndmask_b32_e32 v20, 0, v20, vcc
	v_perm_b32 v18, v20, v18, s2
	v_cmp_ne_u32_e32 vcc, 0, v0
	v_cmp_gt_u32_e64 s[2:3], s10, v1
	s_and_b64 s[12:13], vcc, s[2:3]
	v_mov_b32_e32 v1, v6
	s_and_saveexec_b64 s[2:3], s[12:13]
	s_cbranch_execz .LBB518_58
; %bb.57:
	v_add_u32_e32 v1, -2, v10
	ds_read_u16 v1, v1
	s_waitcnt lgkmcnt(0)
	v_add_u16_e32 v1, v1, v6
.LBB518_58:
	s_or_b64 exec, exec, s[2:3]
.LBB518_59:
	s_add_u32 s6, s8, s6
	v_alignbit_b32 v6, v7, v6, 16
	v_alignbit_b32 v7, v8, v7, 16
	;; [unrolled: 1-line block ×8, first 2 shown]
	s_addc_u32 s7, s9, s7
	v_pk_add_u16 v7, v19, v7
	v_pk_add_u16 v6, v18, v6
	;; [unrolled: 1-line block ×8, first 2 shown]
	s_and_b64 vcc, exec, s[0:1]
	v_mul_u32_u24_e32 v14, 34, v0
	v_lshlrev_b32_e32 v15, 5, v0
	s_barrier
	s_cbranch_vccz .LBB518_93
; %bb.60:
	v_sub_u32_e32 v11, v14, v15
	ds_write_b16 v14, v1
	ds_write_b128 v14, v[6:9] offset:2
	ds_write_b128 v14, v[2:5] offset:18
	s_waitcnt lgkmcnt(0)
	s_barrier
	ds_read_u16 v31, v11 offset:512
	ds_read_u16 v30, v11 offset:1024
	;; [unrolled: 1-line block ×11, first 2 shown]
	s_waitcnt vmcnt(0)
	ds_read_u16 v20, v11 offset:6144
	ds_read_u16 v19, v11 offset:6656
	;; [unrolled: 1-line block ×5, first 2 shown]
	s_mov_b32 s5, 0
	s_add_i32 s11, s11, s10
	s_lshl_b64 s[0:1], s[4:5], 1
	s_add_u32 s0, s6, s0
	s_addc_u32 s1, s7, s1
	v_mov_b32_e32 v11, 0
	v_lshl_add_u64 v[12:13], s[0:1], 0, v[10:11]
	v_cmp_gt_u32_e32 vcc, s11, v0
	s_and_saveexec_b64 s[0:1], vcc
	s_cbranch_execz .LBB518_62
; %bb.61:
	v_sub_u32_e32 v11, 0, v15
	v_add_u32_e32 v11, v14, v11
	ds_read_u16 v11, v11
	s_waitcnt lgkmcnt(0)
	global_store_short v[12:13], v11, off
.LBB518_62:
	s_or_b64 exec, exec, s[0:1]
	v_or_b32_e32 v11, 0x100, v0
	v_cmp_gt_u32_e32 vcc, s11, v11
	s_and_saveexec_b64 s[0:1], vcc
	s_cbranch_execz .LBB518_64
; %bb.63:
	s_waitcnt lgkmcnt(14)
	global_store_short v[12:13], v31, off offset:512
.LBB518_64:
	s_or_b64 exec, exec, s[0:1]
	v_or_b32_e32 v11, 0x200, v0
	v_cmp_gt_u32_e32 vcc, s11, v11
	s_and_saveexec_b64 s[0:1], vcc
	s_cbranch_execz .LBB518_66
; %bb.65:
	s_waitcnt lgkmcnt(14)
	global_store_short v[12:13], v30, off offset:1024
.LBB518_66:
	;; [unrolled: 9-line block ×7, first 2 shown]
	s_or_b64 exec, exec, s[0:1]
	v_or_b32_e32 v11, 0x800, v0
	v_cmp_gt_u32_e32 vcc, s11, v11
	s_and_saveexec_b64 s[0:1], vcc
	s_cbranch_execz .LBB518_78
; %bb.77:
	s_waitcnt lgkmcnt(10)
	v_add_co_u32_e32 v26, vcc, 0x1000, v12
	s_nop 1
	v_addc_co_u32_e32 v27, vcc, 0, v13, vcc
	s_waitcnt lgkmcnt(8)
	global_store_short v[26:27], v24, off
.LBB518_78:
	s_or_b64 exec, exec, s[0:1]
	v_or_b32_e32 v11, 0x900, v0
	v_cmp_gt_u32_e32 vcc, s11, v11
	s_and_saveexec_b64 s[0:1], vcc
	s_cbranch_execz .LBB518_80
; %bb.79:
	s_waitcnt lgkmcnt(8)
	v_add_co_u32_e32 v24, vcc, 0x1000, v12
	s_nop 1
	v_addc_co_u32_e32 v25, vcc, 0, v13, vcc
	s_waitcnt lgkmcnt(7)
	global_store_short v[24:25], v23, off offset:512
.LBB518_80:
	s_or_b64 exec, exec, s[0:1]
	v_or_b32_e32 v11, 0xa00, v0
	v_cmp_gt_u32_e32 vcc, s11, v11
	s_and_saveexec_b64 s[0:1], vcc
	s_cbranch_execz .LBB518_82
; %bb.81:
	s_waitcnt lgkmcnt(8)
	v_add_co_u32_e32 v24, vcc, 0x1000, v12
	s_nop 1
	v_addc_co_u32_e32 v25, vcc, 0, v13, vcc
	s_waitcnt lgkmcnt(6)
	global_store_short v[24:25], v22, off offset:1024
.LBB518_82:
	;; [unrolled: 13-line block ×7, first 2 shown]
	s_or_b64 exec, exec, s[0:1]
	v_or_b32_e32 v0, 0x1000, v0
	v_cmp_gt_u32_e64 s[0:1], s11, v0
	s_branch .LBB518_95
.LBB518_93:
	s_mov_b64 s[0:1], 0
                                        ; implicit-def: $vgpr16
                                        ; implicit-def: $vgpr12_vgpr13
	s_cbranch_execz .LBB518_95
; %bb.94:
	s_mov_b32 s5, 0
	s_lshl_b64 s[2:3], s[4:5], 1
	s_add_u32 s2, s6, s2
	v_sub_u32_e32 v0, v14, v15
	s_addc_u32 s3, s7, s3
	ds_write_b16 v14, v1
	ds_write_b128 v14, v[6:9] offset:2
	ds_write_b128 v14, v[2:5] offset:18
	s_waitcnt lgkmcnt(0)
	s_barrier
	ds_read_u16 v1, v0
	ds_read_u16 v2, v0 offset:512
	ds_read_u16 v3, v0 offset:1024
	;; [unrolled: 1-line block ×13, first 2 shown]
	s_waitcnt vmcnt(0)
	ds_read_u16 v20, v0 offset:7168
	ds_read_u16 v21, v0 offset:7680
	;; [unrolled: 1-line block ×3, first 2 shown]
	v_mov_b32_e32 v11, 0
	v_lshl_add_u64 v[12:13], s[2:3], 0, v[10:11]
	v_add_co_u32_e32 v0, vcc, 0x1000, v12
	s_waitcnt lgkmcnt(14)
	global_store_short v10, v1, s[2:3]
	global_store_short v10, v2, s[2:3] offset:512
	global_store_short v10, v3, s[2:3] offset:1024
	s_waitcnt lgkmcnt(13)
	global_store_short v10, v4, s[2:3] offset:1536
	s_waitcnt lgkmcnt(12)
	;; [unrolled: 2-line block ×5, first 2 shown]
	global_store_short v10, v8, s[2:3] offset:3584
	v_addc_co_u32_e32 v1, vcc, 0, v13, vcc
	s_or_b64 s[0:1], s[0:1], exec
	s_waitcnt lgkmcnt(8)
	global_store_short v[0:1], v9, off
	s_waitcnt lgkmcnt(7)
	global_store_short v[0:1], v14, off offset:512
	s_waitcnt lgkmcnt(6)
	global_store_short v[0:1], v15, off offset:1024
	;; [unrolled: 2-line block ×7, first 2 shown]
.LBB518_95:
	s_and_saveexec_b64 s[2:3], s[0:1]
	s_cbranch_execnz .LBB518_97
; %bb.96:
	s_endpgm
.LBB518_97:
	v_add_co_u32_e32 v0, vcc, 0x2000, v12
	s_nop 1
	v_addc_co_u32_e32 v1, vcc, 0, v13, vcc
	s_waitcnt lgkmcnt(0)
	global_store_short v[0:1], v16, off
	s_endpgm
	.section	.rodata,"a",@progbits
	.p2align	6, 0x0
	.amdhsa_kernel _ZN7rocprim17ROCPRIM_400000_NS6detail17trampoline_kernelINS0_14default_configENS1_35adjacent_difference_config_selectorILb0EsEEZNS1_24adjacent_difference_implIS3_Lb0ELb0EPKsPsN6thrust23THRUST_200600_302600_NS4plusIsEEEE10hipError_tPvRmT2_T3_mT4_P12ihipStream_tbEUlT_E_NS1_11comp_targetILNS1_3genE5ELNS1_11target_archE942ELNS1_3gpuE9ELNS1_3repE0EEENS1_30default_config_static_selectorELNS0_4arch9wavefront6targetE1EEEvT1_
		.amdhsa_group_segment_fixed_size 8704
		.amdhsa_private_segment_fixed_size 0
		.amdhsa_kernarg_size 56
		.amdhsa_user_sgpr_count 2
		.amdhsa_user_sgpr_dispatch_ptr 0
		.amdhsa_user_sgpr_queue_ptr 0
		.amdhsa_user_sgpr_kernarg_segment_ptr 1
		.amdhsa_user_sgpr_dispatch_id 0
		.amdhsa_user_sgpr_kernarg_preload_length 0
		.amdhsa_user_sgpr_kernarg_preload_offset 0
		.amdhsa_user_sgpr_private_segment_size 0
		.amdhsa_uses_dynamic_stack 0
		.amdhsa_enable_private_segment 0
		.amdhsa_system_sgpr_workgroup_id_x 1
		.amdhsa_system_sgpr_workgroup_id_y 0
		.amdhsa_system_sgpr_workgroup_id_z 0
		.amdhsa_system_sgpr_workgroup_info 0
		.amdhsa_system_vgpr_workitem_id 0
		.amdhsa_next_free_vgpr 32
		.amdhsa_next_free_sgpr 23
		.amdhsa_accum_offset 32
		.amdhsa_reserve_vcc 1
		.amdhsa_float_round_mode_32 0
		.amdhsa_float_round_mode_16_64 0
		.amdhsa_float_denorm_mode_32 3
		.amdhsa_float_denorm_mode_16_64 3
		.amdhsa_dx10_clamp 1
		.amdhsa_ieee_mode 1
		.amdhsa_fp16_overflow 0
		.amdhsa_tg_split 0
		.amdhsa_exception_fp_ieee_invalid_op 0
		.amdhsa_exception_fp_denorm_src 0
		.amdhsa_exception_fp_ieee_div_zero 0
		.amdhsa_exception_fp_ieee_overflow 0
		.amdhsa_exception_fp_ieee_underflow 0
		.amdhsa_exception_fp_ieee_inexact 0
		.amdhsa_exception_int_div_zero 0
	.end_amdhsa_kernel
	.section	.text._ZN7rocprim17ROCPRIM_400000_NS6detail17trampoline_kernelINS0_14default_configENS1_35adjacent_difference_config_selectorILb0EsEEZNS1_24adjacent_difference_implIS3_Lb0ELb0EPKsPsN6thrust23THRUST_200600_302600_NS4plusIsEEEE10hipError_tPvRmT2_T3_mT4_P12ihipStream_tbEUlT_E_NS1_11comp_targetILNS1_3genE5ELNS1_11target_archE942ELNS1_3gpuE9ELNS1_3repE0EEENS1_30default_config_static_selectorELNS0_4arch9wavefront6targetE1EEEvT1_,"axG",@progbits,_ZN7rocprim17ROCPRIM_400000_NS6detail17trampoline_kernelINS0_14default_configENS1_35adjacent_difference_config_selectorILb0EsEEZNS1_24adjacent_difference_implIS3_Lb0ELb0EPKsPsN6thrust23THRUST_200600_302600_NS4plusIsEEEE10hipError_tPvRmT2_T3_mT4_P12ihipStream_tbEUlT_E_NS1_11comp_targetILNS1_3genE5ELNS1_11target_archE942ELNS1_3gpuE9ELNS1_3repE0EEENS1_30default_config_static_selectorELNS0_4arch9wavefront6targetE1EEEvT1_,comdat
.Lfunc_end518:
	.size	_ZN7rocprim17ROCPRIM_400000_NS6detail17trampoline_kernelINS0_14default_configENS1_35adjacent_difference_config_selectorILb0EsEEZNS1_24adjacent_difference_implIS3_Lb0ELb0EPKsPsN6thrust23THRUST_200600_302600_NS4plusIsEEEE10hipError_tPvRmT2_T3_mT4_P12ihipStream_tbEUlT_E_NS1_11comp_targetILNS1_3genE5ELNS1_11target_archE942ELNS1_3gpuE9ELNS1_3repE0EEENS1_30default_config_static_selectorELNS0_4arch9wavefront6targetE1EEEvT1_, .Lfunc_end518-_ZN7rocprim17ROCPRIM_400000_NS6detail17trampoline_kernelINS0_14default_configENS1_35adjacent_difference_config_selectorILb0EsEEZNS1_24adjacent_difference_implIS3_Lb0ELb0EPKsPsN6thrust23THRUST_200600_302600_NS4plusIsEEEE10hipError_tPvRmT2_T3_mT4_P12ihipStream_tbEUlT_E_NS1_11comp_targetILNS1_3genE5ELNS1_11target_archE942ELNS1_3gpuE9ELNS1_3repE0EEENS1_30default_config_static_selectorELNS0_4arch9wavefront6targetE1EEEvT1_
                                        ; -- End function
	.section	.AMDGPU.csdata,"",@progbits
; Kernel info:
; codeLenInByte = 4392
; NumSgprs: 29
; NumVgprs: 32
; NumAgprs: 0
; TotalNumVgprs: 32
; ScratchSize: 0
; MemoryBound: 0
; FloatMode: 240
; IeeeMode: 1
; LDSByteSize: 8704 bytes/workgroup (compile time only)
; SGPRBlocks: 3
; VGPRBlocks: 3
; NumSGPRsForWavesPerEU: 29
; NumVGPRsForWavesPerEU: 32
; AccumOffset: 32
; Occupancy: 7
; WaveLimiterHint : 1
; COMPUTE_PGM_RSRC2:SCRATCH_EN: 0
; COMPUTE_PGM_RSRC2:USER_SGPR: 2
; COMPUTE_PGM_RSRC2:TRAP_HANDLER: 0
; COMPUTE_PGM_RSRC2:TGID_X_EN: 1
; COMPUTE_PGM_RSRC2:TGID_Y_EN: 0
; COMPUTE_PGM_RSRC2:TGID_Z_EN: 0
; COMPUTE_PGM_RSRC2:TIDIG_COMP_CNT: 0
; COMPUTE_PGM_RSRC3_GFX90A:ACCUM_OFFSET: 7
; COMPUTE_PGM_RSRC3_GFX90A:TG_SPLIT: 0
	.section	.text._ZN7rocprim17ROCPRIM_400000_NS6detail17trampoline_kernelINS0_14default_configENS1_35adjacent_difference_config_selectorILb0EsEEZNS1_24adjacent_difference_implIS3_Lb0ELb0EPKsPsN6thrust23THRUST_200600_302600_NS4plusIsEEEE10hipError_tPvRmT2_T3_mT4_P12ihipStream_tbEUlT_E_NS1_11comp_targetILNS1_3genE4ELNS1_11target_archE910ELNS1_3gpuE8ELNS1_3repE0EEENS1_30default_config_static_selectorELNS0_4arch9wavefront6targetE1EEEvT1_,"axG",@progbits,_ZN7rocprim17ROCPRIM_400000_NS6detail17trampoline_kernelINS0_14default_configENS1_35adjacent_difference_config_selectorILb0EsEEZNS1_24adjacent_difference_implIS3_Lb0ELb0EPKsPsN6thrust23THRUST_200600_302600_NS4plusIsEEEE10hipError_tPvRmT2_T3_mT4_P12ihipStream_tbEUlT_E_NS1_11comp_targetILNS1_3genE4ELNS1_11target_archE910ELNS1_3gpuE8ELNS1_3repE0EEENS1_30default_config_static_selectorELNS0_4arch9wavefront6targetE1EEEvT1_,comdat
	.protected	_ZN7rocprim17ROCPRIM_400000_NS6detail17trampoline_kernelINS0_14default_configENS1_35adjacent_difference_config_selectorILb0EsEEZNS1_24adjacent_difference_implIS3_Lb0ELb0EPKsPsN6thrust23THRUST_200600_302600_NS4plusIsEEEE10hipError_tPvRmT2_T3_mT4_P12ihipStream_tbEUlT_E_NS1_11comp_targetILNS1_3genE4ELNS1_11target_archE910ELNS1_3gpuE8ELNS1_3repE0EEENS1_30default_config_static_selectorELNS0_4arch9wavefront6targetE1EEEvT1_ ; -- Begin function _ZN7rocprim17ROCPRIM_400000_NS6detail17trampoline_kernelINS0_14default_configENS1_35adjacent_difference_config_selectorILb0EsEEZNS1_24adjacent_difference_implIS3_Lb0ELb0EPKsPsN6thrust23THRUST_200600_302600_NS4plusIsEEEE10hipError_tPvRmT2_T3_mT4_P12ihipStream_tbEUlT_E_NS1_11comp_targetILNS1_3genE4ELNS1_11target_archE910ELNS1_3gpuE8ELNS1_3repE0EEENS1_30default_config_static_selectorELNS0_4arch9wavefront6targetE1EEEvT1_
	.globl	_ZN7rocprim17ROCPRIM_400000_NS6detail17trampoline_kernelINS0_14default_configENS1_35adjacent_difference_config_selectorILb0EsEEZNS1_24adjacent_difference_implIS3_Lb0ELb0EPKsPsN6thrust23THRUST_200600_302600_NS4plusIsEEEE10hipError_tPvRmT2_T3_mT4_P12ihipStream_tbEUlT_E_NS1_11comp_targetILNS1_3genE4ELNS1_11target_archE910ELNS1_3gpuE8ELNS1_3repE0EEENS1_30default_config_static_selectorELNS0_4arch9wavefront6targetE1EEEvT1_
	.p2align	8
	.type	_ZN7rocprim17ROCPRIM_400000_NS6detail17trampoline_kernelINS0_14default_configENS1_35adjacent_difference_config_selectorILb0EsEEZNS1_24adjacent_difference_implIS3_Lb0ELb0EPKsPsN6thrust23THRUST_200600_302600_NS4plusIsEEEE10hipError_tPvRmT2_T3_mT4_P12ihipStream_tbEUlT_E_NS1_11comp_targetILNS1_3genE4ELNS1_11target_archE910ELNS1_3gpuE8ELNS1_3repE0EEENS1_30default_config_static_selectorELNS0_4arch9wavefront6targetE1EEEvT1_,@function
_ZN7rocprim17ROCPRIM_400000_NS6detail17trampoline_kernelINS0_14default_configENS1_35adjacent_difference_config_selectorILb0EsEEZNS1_24adjacent_difference_implIS3_Lb0ELb0EPKsPsN6thrust23THRUST_200600_302600_NS4plusIsEEEE10hipError_tPvRmT2_T3_mT4_P12ihipStream_tbEUlT_E_NS1_11comp_targetILNS1_3genE4ELNS1_11target_archE910ELNS1_3gpuE8ELNS1_3repE0EEENS1_30default_config_static_selectorELNS0_4arch9wavefront6targetE1EEEvT1_: ; @_ZN7rocprim17ROCPRIM_400000_NS6detail17trampoline_kernelINS0_14default_configENS1_35adjacent_difference_config_selectorILb0EsEEZNS1_24adjacent_difference_implIS3_Lb0ELb0EPKsPsN6thrust23THRUST_200600_302600_NS4plusIsEEEE10hipError_tPvRmT2_T3_mT4_P12ihipStream_tbEUlT_E_NS1_11comp_targetILNS1_3genE4ELNS1_11target_archE910ELNS1_3gpuE8ELNS1_3repE0EEENS1_30default_config_static_selectorELNS0_4arch9wavefront6targetE1EEEvT1_
; %bb.0:
	.section	.rodata,"a",@progbits
	.p2align	6, 0x0
	.amdhsa_kernel _ZN7rocprim17ROCPRIM_400000_NS6detail17trampoline_kernelINS0_14default_configENS1_35adjacent_difference_config_selectorILb0EsEEZNS1_24adjacent_difference_implIS3_Lb0ELb0EPKsPsN6thrust23THRUST_200600_302600_NS4plusIsEEEE10hipError_tPvRmT2_T3_mT4_P12ihipStream_tbEUlT_E_NS1_11comp_targetILNS1_3genE4ELNS1_11target_archE910ELNS1_3gpuE8ELNS1_3repE0EEENS1_30default_config_static_selectorELNS0_4arch9wavefront6targetE1EEEvT1_
		.amdhsa_group_segment_fixed_size 0
		.amdhsa_private_segment_fixed_size 0
		.amdhsa_kernarg_size 56
		.amdhsa_user_sgpr_count 2
		.amdhsa_user_sgpr_dispatch_ptr 0
		.amdhsa_user_sgpr_queue_ptr 0
		.amdhsa_user_sgpr_kernarg_segment_ptr 1
		.amdhsa_user_sgpr_dispatch_id 0
		.amdhsa_user_sgpr_kernarg_preload_length 0
		.amdhsa_user_sgpr_kernarg_preload_offset 0
		.amdhsa_user_sgpr_private_segment_size 0
		.amdhsa_uses_dynamic_stack 0
		.amdhsa_enable_private_segment 0
		.amdhsa_system_sgpr_workgroup_id_x 1
		.amdhsa_system_sgpr_workgroup_id_y 0
		.amdhsa_system_sgpr_workgroup_id_z 0
		.amdhsa_system_sgpr_workgroup_info 0
		.amdhsa_system_vgpr_workitem_id 0
		.amdhsa_next_free_vgpr 1
		.amdhsa_next_free_sgpr 0
		.amdhsa_accum_offset 4
		.amdhsa_reserve_vcc 0
		.amdhsa_float_round_mode_32 0
		.amdhsa_float_round_mode_16_64 0
		.amdhsa_float_denorm_mode_32 3
		.amdhsa_float_denorm_mode_16_64 3
		.amdhsa_dx10_clamp 1
		.amdhsa_ieee_mode 1
		.amdhsa_fp16_overflow 0
		.amdhsa_tg_split 0
		.amdhsa_exception_fp_ieee_invalid_op 0
		.amdhsa_exception_fp_denorm_src 0
		.amdhsa_exception_fp_ieee_div_zero 0
		.amdhsa_exception_fp_ieee_overflow 0
		.amdhsa_exception_fp_ieee_underflow 0
		.amdhsa_exception_fp_ieee_inexact 0
		.amdhsa_exception_int_div_zero 0
	.end_amdhsa_kernel
	.section	.text._ZN7rocprim17ROCPRIM_400000_NS6detail17trampoline_kernelINS0_14default_configENS1_35adjacent_difference_config_selectorILb0EsEEZNS1_24adjacent_difference_implIS3_Lb0ELb0EPKsPsN6thrust23THRUST_200600_302600_NS4plusIsEEEE10hipError_tPvRmT2_T3_mT4_P12ihipStream_tbEUlT_E_NS1_11comp_targetILNS1_3genE4ELNS1_11target_archE910ELNS1_3gpuE8ELNS1_3repE0EEENS1_30default_config_static_selectorELNS0_4arch9wavefront6targetE1EEEvT1_,"axG",@progbits,_ZN7rocprim17ROCPRIM_400000_NS6detail17trampoline_kernelINS0_14default_configENS1_35adjacent_difference_config_selectorILb0EsEEZNS1_24adjacent_difference_implIS3_Lb0ELb0EPKsPsN6thrust23THRUST_200600_302600_NS4plusIsEEEE10hipError_tPvRmT2_T3_mT4_P12ihipStream_tbEUlT_E_NS1_11comp_targetILNS1_3genE4ELNS1_11target_archE910ELNS1_3gpuE8ELNS1_3repE0EEENS1_30default_config_static_selectorELNS0_4arch9wavefront6targetE1EEEvT1_,comdat
.Lfunc_end519:
	.size	_ZN7rocprim17ROCPRIM_400000_NS6detail17trampoline_kernelINS0_14default_configENS1_35adjacent_difference_config_selectorILb0EsEEZNS1_24adjacent_difference_implIS3_Lb0ELb0EPKsPsN6thrust23THRUST_200600_302600_NS4plusIsEEEE10hipError_tPvRmT2_T3_mT4_P12ihipStream_tbEUlT_E_NS1_11comp_targetILNS1_3genE4ELNS1_11target_archE910ELNS1_3gpuE8ELNS1_3repE0EEENS1_30default_config_static_selectorELNS0_4arch9wavefront6targetE1EEEvT1_, .Lfunc_end519-_ZN7rocprim17ROCPRIM_400000_NS6detail17trampoline_kernelINS0_14default_configENS1_35adjacent_difference_config_selectorILb0EsEEZNS1_24adjacent_difference_implIS3_Lb0ELb0EPKsPsN6thrust23THRUST_200600_302600_NS4plusIsEEEE10hipError_tPvRmT2_T3_mT4_P12ihipStream_tbEUlT_E_NS1_11comp_targetILNS1_3genE4ELNS1_11target_archE910ELNS1_3gpuE8ELNS1_3repE0EEENS1_30default_config_static_selectorELNS0_4arch9wavefront6targetE1EEEvT1_
                                        ; -- End function
	.section	.AMDGPU.csdata,"",@progbits
; Kernel info:
; codeLenInByte = 0
; NumSgprs: 6
; NumVgprs: 0
; NumAgprs: 0
; TotalNumVgprs: 0
; ScratchSize: 0
; MemoryBound: 0
; FloatMode: 240
; IeeeMode: 1
; LDSByteSize: 0 bytes/workgroup (compile time only)
; SGPRBlocks: 0
; VGPRBlocks: 0
; NumSGPRsForWavesPerEU: 6
; NumVGPRsForWavesPerEU: 1
; AccumOffset: 4
; Occupancy: 8
; WaveLimiterHint : 0
; COMPUTE_PGM_RSRC2:SCRATCH_EN: 0
; COMPUTE_PGM_RSRC2:USER_SGPR: 2
; COMPUTE_PGM_RSRC2:TRAP_HANDLER: 0
; COMPUTE_PGM_RSRC2:TGID_X_EN: 1
; COMPUTE_PGM_RSRC2:TGID_Y_EN: 0
; COMPUTE_PGM_RSRC2:TGID_Z_EN: 0
; COMPUTE_PGM_RSRC2:TIDIG_COMP_CNT: 0
; COMPUTE_PGM_RSRC3_GFX90A:ACCUM_OFFSET: 0
; COMPUTE_PGM_RSRC3_GFX90A:TG_SPLIT: 0
	.section	.text._ZN7rocprim17ROCPRIM_400000_NS6detail17trampoline_kernelINS0_14default_configENS1_35adjacent_difference_config_selectorILb0EsEEZNS1_24adjacent_difference_implIS3_Lb0ELb0EPKsPsN6thrust23THRUST_200600_302600_NS4plusIsEEEE10hipError_tPvRmT2_T3_mT4_P12ihipStream_tbEUlT_E_NS1_11comp_targetILNS1_3genE3ELNS1_11target_archE908ELNS1_3gpuE7ELNS1_3repE0EEENS1_30default_config_static_selectorELNS0_4arch9wavefront6targetE1EEEvT1_,"axG",@progbits,_ZN7rocprim17ROCPRIM_400000_NS6detail17trampoline_kernelINS0_14default_configENS1_35adjacent_difference_config_selectorILb0EsEEZNS1_24adjacent_difference_implIS3_Lb0ELb0EPKsPsN6thrust23THRUST_200600_302600_NS4plusIsEEEE10hipError_tPvRmT2_T3_mT4_P12ihipStream_tbEUlT_E_NS1_11comp_targetILNS1_3genE3ELNS1_11target_archE908ELNS1_3gpuE7ELNS1_3repE0EEENS1_30default_config_static_selectorELNS0_4arch9wavefront6targetE1EEEvT1_,comdat
	.protected	_ZN7rocprim17ROCPRIM_400000_NS6detail17trampoline_kernelINS0_14default_configENS1_35adjacent_difference_config_selectorILb0EsEEZNS1_24adjacent_difference_implIS3_Lb0ELb0EPKsPsN6thrust23THRUST_200600_302600_NS4plusIsEEEE10hipError_tPvRmT2_T3_mT4_P12ihipStream_tbEUlT_E_NS1_11comp_targetILNS1_3genE3ELNS1_11target_archE908ELNS1_3gpuE7ELNS1_3repE0EEENS1_30default_config_static_selectorELNS0_4arch9wavefront6targetE1EEEvT1_ ; -- Begin function _ZN7rocprim17ROCPRIM_400000_NS6detail17trampoline_kernelINS0_14default_configENS1_35adjacent_difference_config_selectorILb0EsEEZNS1_24adjacent_difference_implIS3_Lb0ELb0EPKsPsN6thrust23THRUST_200600_302600_NS4plusIsEEEE10hipError_tPvRmT2_T3_mT4_P12ihipStream_tbEUlT_E_NS1_11comp_targetILNS1_3genE3ELNS1_11target_archE908ELNS1_3gpuE7ELNS1_3repE0EEENS1_30default_config_static_selectorELNS0_4arch9wavefront6targetE1EEEvT1_
	.globl	_ZN7rocprim17ROCPRIM_400000_NS6detail17trampoline_kernelINS0_14default_configENS1_35adjacent_difference_config_selectorILb0EsEEZNS1_24adjacent_difference_implIS3_Lb0ELb0EPKsPsN6thrust23THRUST_200600_302600_NS4plusIsEEEE10hipError_tPvRmT2_T3_mT4_P12ihipStream_tbEUlT_E_NS1_11comp_targetILNS1_3genE3ELNS1_11target_archE908ELNS1_3gpuE7ELNS1_3repE0EEENS1_30default_config_static_selectorELNS0_4arch9wavefront6targetE1EEEvT1_
	.p2align	8
	.type	_ZN7rocprim17ROCPRIM_400000_NS6detail17trampoline_kernelINS0_14default_configENS1_35adjacent_difference_config_selectorILb0EsEEZNS1_24adjacent_difference_implIS3_Lb0ELb0EPKsPsN6thrust23THRUST_200600_302600_NS4plusIsEEEE10hipError_tPvRmT2_T3_mT4_P12ihipStream_tbEUlT_E_NS1_11comp_targetILNS1_3genE3ELNS1_11target_archE908ELNS1_3gpuE7ELNS1_3repE0EEENS1_30default_config_static_selectorELNS0_4arch9wavefront6targetE1EEEvT1_,@function
_ZN7rocprim17ROCPRIM_400000_NS6detail17trampoline_kernelINS0_14default_configENS1_35adjacent_difference_config_selectorILb0EsEEZNS1_24adjacent_difference_implIS3_Lb0ELb0EPKsPsN6thrust23THRUST_200600_302600_NS4plusIsEEEE10hipError_tPvRmT2_T3_mT4_P12ihipStream_tbEUlT_E_NS1_11comp_targetILNS1_3genE3ELNS1_11target_archE908ELNS1_3gpuE7ELNS1_3repE0EEENS1_30default_config_static_selectorELNS0_4arch9wavefront6targetE1EEEvT1_: ; @_ZN7rocprim17ROCPRIM_400000_NS6detail17trampoline_kernelINS0_14default_configENS1_35adjacent_difference_config_selectorILb0EsEEZNS1_24adjacent_difference_implIS3_Lb0ELb0EPKsPsN6thrust23THRUST_200600_302600_NS4plusIsEEEE10hipError_tPvRmT2_T3_mT4_P12ihipStream_tbEUlT_E_NS1_11comp_targetILNS1_3genE3ELNS1_11target_archE908ELNS1_3gpuE7ELNS1_3repE0EEENS1_30default_config_static_selectorELNS0_4arch9wavefront6targetE1EEEvT1_
; %bb.0:
	.section	.rodata,"a",@progbits
	.p2align	6, 0x0
	.amdhsa_kernel _ZN7rocprim17ROCPRIM_400000_NS6detail17trampoline_kernelINS0_14default_configENS1_35adjacent_difference_config_selectorILb0EsEEZNS1_24adjacent_difference_implIS3_Lb0ELb0EPKsPsN6thrust23THRUST_200600_302600_NS4plusIsEEEE10hipError_tPvRmT2_T3_mT4_P12ihipStream_tbEUlT_E_NS1_11comp_targetILNS1_3genE3ELNS1_11target_archE908ELNS1_3gpuE7ELNS1_3repE0EEENS1_30default_config_static_selectorELNS0_4arch9wavefront6targetE1EEEvT1_
		.amdhsa_group_segment_fixed_size 0
		.amdhsa_private_segment_fixed_size 0
		.amdhsa_kernarg_size 56
		.amdhsa_user_sgpr_count 2
		.amdhsa_user_sgpr_dispatch_ptr 0
		.amdhsa_user_sgpr_queue_ptr 0
		.amdhsa_user_sgpr_kernarg_segment_ptr 1
		.amdhsa_user_sgpr_dispatch_id 0
		.amdhsa_user_sgpr_kernarg_preload_length 0
		.amdhsa_user_sgpr_kernarg_preload_offset 0
		.amdhsa_user_sgpr_private_segment_size 0
		.amdhsa_uses_dynamic_stack 0
		.amdhsa_enable_private_segment 0
		.amdhsa_system_sgpr_workgroup_id_x 1
		.amdhsa_system_sgpr_workgroup_id_y 0
		.amdhsa_system_sgpr_workgroup_id_z 0
		.amdhsa_system_sgpr_workgroup_info 0
		.amdhsa_system_vgpr_workitem_id 0
		.amdhsa_next_free_vgpr 1
		.amdhsa_next_free_sgpr 0
		.amdhsa_accum_offset 4
		.amdhsa_reserve_vcc 0
		.amdhsa_float_round_mode_32 0
		.amdhsa_float_round_mode_16_64 0
		.amdhsa_float_denorm_mode_32 3
		.amdhsa_float_denorm_mode_16_64 3
		.amdhsa_dx10_clamp 1
		.amdhsa_ieee_mode 1
		.amdhsa_fp16_overflow 0
		.amdhsa_tg_split 0
		.amdhsa_exception_fp_ieee_invalid_op 0
		.amdhsa_exception_fp_denorm_src 0
		.amdhsa_exception_fp_ieee_div_zero 0
		.amdhsa_exception_fp_ieee_overflow 0
		.amdhsa_exception_fp_ieee_underflow 0
		.amdhsa_exception_fp_ieee_inexact 0
		.amdhsa_exception_int_div_zero 0
	.end_amdhsa_kernel
	.section	.text._ZN7rocprim17ROCPRIM_400000_NS6detail17trampoline_kernelINS0_14default_configENS1_35adjacent_difference_config_selectorILb0EsEEZNS1_24adjacent_difference_implIS3_Lb0ELb0EPKsPsN6thrust23THRUST_200600_302600_NS4plusIsEEEE10hipError_tPvRmT2_T3_mT4_P12ihipStream_tbEUlT_E_NS1_11comp_targetILNS1_3genE3ELNS1_11target_archE908ELNS1_3gpuE7ELNS1_3repE0EEENS1_30default_config_static_selectorELNS0_4arch9wavefront6targetE1EEEvT1_,"axG",@progbits,_ZN7rocprim17ROCPRIM_400000_NS6detail17trampoline_kernelINS0_14default_configENS1_35adjacent_difference_config_selectorILb0EsEEZNS1_24adjacent_difference_implIS3_Lb0ELb0EPKsPsN6thrust23THRUST_200600_302600_NS4plusIsEEEE10hipError_tPvRmT2_T3_mT4_P12ihipStream_tbEUlT_E_NS1_11comp_targetILNS1_3genE3ELNS1_11target_archE908ELNS1_3gpuE7ELNS1_3repE0EEENS1_30default_config_static_selectorELNS0_4arch9wavefront6targetE1EEEvT1_,comdat
.Lfunc_end520:
	.size	_ZN7rocprim17ROCPRIM_400000_NS6detail17trampoline_kernelINS0_14default_configENS1_35adjacent_difference_config_selectorILb0EsEEZNS1_24adjacent_difference_implIS3_Lb0ELb0EPKsPsN6thrust23THRUST_200600_302600_NS4plusIsEEEE10hipError_tPvRmT2_T3_mT4_P12ihipStream_tbEUlT_E_NS1_11comp_targetILNS1_3genE3ELNS1_11target_archE908ELNS1_3gpuE7ELNS1_3repE0EEENS1_30default_config_static_selectorELNS0_4arch9wavefront6targetE1EEEvT1_, .Lfunc_end520-_ZN7rocprim17ROCPRIM_400000_NS6detail17trampoline_kernelINS0_14default_configENS1_35adjacent_difference_config_selectorILb0EsEEZNS1_24adjacent_difference_implIS3_Lb0ELb0EPKsPsN6thrust23THRUST_200600_302600_NS4plusIsEEEE10hipError_tPvRmT2_T3_mT4_P12ihipStream_tbEUlT_E_NS1_11comp_targetILNS1_3genE3ELNS1_11target_archE908ELNS1_3gpuE7ELNS1_3repE0EEENS1_30default_config_static_selectorELNS0_4arch9wavefront6targetE1EEEvT1_
                                        ; -- End function
	.section	.AMDGPU.csdata,"",@progbits
; Kernel info:
; codeLenInByte = 0
; NumSgprs: 6
; NumVgprs: 0
; NumAgprs: 0
; TotalNumVgprs: 0
; ScratchSize: 0
; MemoryBound: 0
; FloatMode: 240
; IeeeMode: 1
; LDSByteSize: 0 bytes/workgroup (compile time only)
; SGPRBlocks: 0
; VGPRBlocks: 0
; NumSGPRsForWavesPerEU: 6
; NumVGPRsForWavesPerEU: 1
; AccumOffset: 4
; Occupancy: 8
; WaveLimiterHint : 0
; COMPUTE_PGM_RSRC2:SCRATCH_EN: 0
; COMPUTE_PGM_RSRC2:USER_SGPR: 2
; COMPUTE_PGM_RSRC2:TRAP_HANDLER: 0
; COMPUTE_PGM_RSRC2:TGID_X_EN: 1
; COMPUTE_PGM_RSRC2:TGID_Y_EN: 0
; COMPUTE_PGM_RSRC2:TGID_Z_EN: 0
; COMPUTE_PGM_RSRC2:TIDIG_COMP_CNT: 0
; COMPUTE_PGM_RSRC3_GFX90A:ACCUM_OFFSET: 0
; COMPUTE_PGM_RSRC3_GFX90A:TG_SPLIT: 0
	.section	.text._ZN7rocprim17ROCPRIM_400000_NS6detail17trampoline_kernelINS0_14default_configENS1_35adjacent_difference_config_selectorILb0EsEEZNS1_24adjacent_difference_implIS3_Lb0ELb0EPKsPsN6thrust23THRUST_200600_302600_NS4plusIsEEEE10hipError_tPvRmT2_T3_mT4_P12ihipStream_tbEUlT_E_NS1_11comp_targetILNS1_3genE2ELNS1_11target_archE906ELNS1_3gpuE6ELNS1_3repE0EEENS1_30default_config_static_selectorELNS0_4arch9wavefront6targetE1EEEvT1_,"axG",@progbits,_ZN7rocprim17ROCPRIM_400000_NS6detail17trampoline_kernelINS0_14default_configENS1_35adjacent_difference_config_selectorILb0EsEEZNS1_24adjacent_difference_implIS3_Lb0ELb0EPKsPsN6thrust23THRUST_200600_302600_NS4plusIsEEEE10hipError_tPvRmT2_T3_mT4_P12ihipStream_tbEUlT_E_NS1_11comp_targetILNS1_3genE2ELNS1_11target_archE906ELNS1_3gpuE6ELNS1_3repE0EEENS1_30default_config_static_selectorELNS0_4arch9wavefront6targetE1EEEvT1_,comdat
	.protected	_ZN7rocprim17ROCPRIM_400000_NS6detail17trampoline_kernelINS0_14default_configENS1_35adjacent_difference_config_selectorILb0EsEEZNS1_24adjacent_difference_implIS3_Lb0ELb0EPKsPsN6thrust23THRUST_200600_302600_NS4plusIsEEEE10hipError_tPvRmT2_T3_mT4_P12ihipStream_tbEUlT_E_NS1_11comp_targetILNS1_3genE2ELNS1_11target_archE906ELNS1_3gpuE6ELNS1_3repE0EEENS1_30default_config_static_selectorELNS0_4arch9wavefront6targetE1EEEvT1_ ; -- Begin function _ZN7rocprim17ROCPRIM_400000_NS6detail17trampoline_kernelINS0_14default_configENS1_35adjacent_difference_config_selectorILb0EsEEZNS1_24adjacent_difference_implIS3_Lb0ELb0EPKsPsN6thrust23THRUST_200600_302600_NS4plusIsEEEE10hipError_tPvRmT2_T3_mT4_P12ihipStream_tbEUlT_E_NS1_11comp_targetILNS1_3genE2ELNS1_11target_archE906ELNS1_3gpuE6ELNS1_3repE0EEENS1_30default_config_static_selectorELNS0_4arch9wavefront6targetE1EEEvT1_
	.globl	_ZN7rocprim17ROCPRIM_400000_NS6detail17trampoline_kernelINS0_14default_configENS1_35adjacent_difference_config_selectorILb0EsEEZNS1_24adjacent_difference_implIS3_Lb0ELb0EPKsPsN6thrust23THRUST_200600_302600_NS4plusIsEEEE10hipError_tPvRmT2_T3_mT4_P12ihipStream_tbEUlT_E_NS1_11comp_targetILNS1_3genE2ELNS1_11target_archE906ELNS1_3gpuE6ELNS1_3repE0EEENS1_30default_config_static_selectorELNS0_4arch9wavefront6targetE1EEEvT1_
	.p2align	8
	.type	_ZN7rocprim17ROCPRIM_400000_NS6detail17trampoline_kernelINS0_14default_configENS1_35adjacent_difference_config_selectorILb0EsEEZNS1_24adjacent_difference_implIS3_Lb0ELb0EPKsPsN6thrust23THRUST_200600_302600_NS4plusIsEEEE10hipError_tPvRmT2_T3_mT4_P12ihipStream_tbEUlT_E_NS1_11comp_targetILNS1_3genE2ELNS1_11target_archE906ELNS1_3gpuE6ELNS1_3repE0EEENS1_30default_config_static_selectorELNS0_4arch9wavefront6targetE1EEEvT1_,@function
_ZN7rocprim17ROCPRIM_400000_NS6detail17trampoline_kernelINS0_14default_configENS1_35adjacent_difference_config_selectorILb0EsEEZNS1_24adjacent_difference_implIS3_Lb0ELb0EPKsPsN6thrust23THRUST_200600_302600_NS4plusIsEEEE10hipError_tPvRmT2_T3_mT4_P12ihipStream_tbEUlT_E_NS1_11comp_targetILNS1_3genE2ELNS1_11target_archE906ELNS1_3gpuE6ELNS1_3repE0EEENS1_30default_config_static_selectorELNS0_4arch9wavefront6targetE1EEEvT1_: ; @_ZN7rocprim17ROCPRIM_400000_NS6detail17trampoline_kernelINS0_14default_configENS1_35adjacent_difference_config_selectorILb0EsEEZNS1_24adjacent_difference_implIS3_Lb0ELb0EPKsPsN6thrust23THRUST_200600_302600_NS4plusIsEEEE10hipError_tPvRmT2_T3_mT4_P12ihipStream_tbEUlT_E_NS1_11comp_targetILNS1_3genE2ELNS1_11target_archE906ELNS1_3gpuE6ELNS1_3repE0EEENS1_30default_config_static_selectorELNS0_4arch9wavefront6targetE1EEEvT1_
; %bb.0:
	.section	.rodata,"a",@progbits
	.p2align	6, 0x0
	.amdhsa_kernel _ZN7rocprim17ROCPRIM_400000_NS6detail17trampoline_kernelINS0_14default_configENS1_35adjacent_difference_config_selectorILb0EsEEZNS1_24adjacent_difference_implIS3_Lb0ELb0EPKsPsN6thrust23THRUST_200600_302600_NS4plusIsEEEE10hipError_tPvRmT2_T3_mT4_P12ihipStream_tbEUlT_E_NS1_11comp_targetILNS1_3genE2ELNS1_11target_archE906ELNS1_3gpuE6ELNS1_3repE0EEENS1_30default_config_static_selectorELNS0_4arch9wavefront6targetE1EEEvT1_
		.amdhsa_group_segment_fixed_size 0
		.amdhsa_private_segment_fixed_size 0
		.amdhsa_kernarg_size 56
		.amdhsa_user_sgpr_count 2
		.amdhsa_user_sgpr_dispatch_ptr 0
		.amdhsa_user_sgpr_queue_ptr 0
		.amdhsa_user_sgpr_kernarg_segment_ptr 1
		.amdhsa_user_sgpr_dispatch_id 0
		.amdhsa_user_sgpr_kernarg_preload_length 0
		.amdhsa_user_sgpr_kernarg_preload_offset 0
		.amdhsa_user_sgpr_private_segment_size 0
		.amdhsa_uses_dynamic_stack 0
		.amdhsa_enable_private_segment 0
		.amdhsa_system_sgpr_workgroup_id_x 1
		.amdhsa_system_sgpr_workgroup_id_y 0
		.amdhsa_system_sgpr_workgroup_id_z 0
		.amdhsa_system_sgpr_workgroup_info 0
		.amdhsa_system_vgpr_workitem_id 0
		.amdhsa_next_free_vgpr 1
		.amdhsa_next_free_sgpr 0
		.amdhsa_accum_offset 4
		.amdhsa_reserve_vcc 0
		.amdhsa_float_round_mode_32 0
		.amdhsa_float_round_mode_16_64 0
		.amdhsa_float_denorm_mode_32 3
		.amdhsa_float_denorm_mode_16_64 3
		.amdhsa_dx10_clamp 1
		.amdhsa_ieee_mode 1
		.amdhsa_fp16_overflow 0
		.amdhsa_tg_split 0
		.amdhsa_exception_fp_ieee_invalid_op 0
		.amdhsa_exception_fp_denorm_src 0
		.amdhsa_exception_fp_ieee_div_zero 0
		.amdhsa_exception_fp_ieee_overflow 0
		.amdhsa_exception_fp_ieee_underflow 0
		.amdhsa_exception_fp_ieee_inexact 0
		.amdhsa_exception_int_div_zero 0
	.end_amdhsa_kernel
	.section	.text._ZN7rocprim17ROCPRIM_400000_NS6detail17trampoline_kernelINS0_14default_configENS1_35adjacent_difference_config_selectorILb0EsEEZNS1_24adjacent_difference_implIS3_Lb0ELb0EPKsPsN6thrust23THRUST_200600_302600_NS4plusIsEEEE10hipError_tPvRmT2_T3_mT4_P12ihipStream_tbEUlT_E_NS1_11comp_targetILNS1_3genE2ELNS1_11target_archE906ELNS1_3gpuE6ELNS1_3repE0EEENS1_30default_config_static_selectorELNS0_4arch9wavefront6targetE1EEEvT1_,"axG",@progbits,_ZN7rocprim17ROCPRIM_400000_NS6detail17trampoline_kernelINS0_14default_configENS1_35adjacent_difference_config_selectorILb0EsEEZNS1_24adjacent_difference_implIS3_Lb0ELb0EPKsPsN6thrust23THRUST_200600_302600_NS4plusIsEEEE10hipError_tPvRmT2_T3_mT4_P12ihipStream_tbEUlT_E_NS1_11comp_targetILNS1_3genE2ELNS1_11target_archE906ELNS1_3gpuE6ELNS1_3repE0EEENS1_30default_config_static_selectorELNS0_4arch9wavefront6targetE1EEEvT1_,comdat
.Lfunc_end521:
	.size	_ZN7rocprim17ROCPRIM_400000_NS6detail17trampoline_kernelINS0_14default_configENS1_35adjacent_difference_config_selectorILb0EsEEZNS1_24adjacent_difference_implIS3_Lb0ELb0EPKsPsN6thrust23THRUST_200600_302600_NS4plusIsEEEE10hipError_tPvRmT2_T3_mT4_P12ihipStream_tbEUlT_E_NS1_11comp_targetILNS1_3genE2ELNS1_11target_archE906ELNS1_3gpuE6ELNS1_3repE0EEENS1_30default_config_static_selectorELNS0_4arch9wavefront6targetE1EEEvT1_, .Lfunc_end521-_ZN7rocprim17ROCPRIM_400000_NS6detail17trampoline_kernelINS0_14default_configENS1_35adjacent_difference_config_selectorILb0EsEEZNS1_24adjacent_difference_implIS3_Lb0ELb0EPKsPsN6thrust23THRUST_200600_302600_NS4plusIsEEEE10hipError_tPvRmT2_T3_mT4_P12ihipStream_tbEUlT_E_NS1_11comp_targetILNS1_3genE2ELNS1_11target_archE906ELNS1_3gpuE6ELNS1_3repE0EEENS1_30default_config_static_selectorELNS0_4arch9wavefront6targetE1EEEvT1_
                                        ; -- End function
	.section	.AMDGPU.csdata,"",@progbits
; Kernel info:
; codeLenInByte = 0
; NumSgprs: 6
; NumVgprs: 0
; NumAgprs: 0
; TotalNumVgprs: 0
; ScratchSize: 0
; MemoryBound: 0
; FloatMode: 240
; IeeeMode: 1
; LDSByteSize: 0 bytes/workgroup (compile time only)
; SGPRBlocks: 0
; VGPRBlocks: 0
; NumSGPRsForWavesPerEU: 6
; NumVGPRsForWavesPerEU: 1
; AccumOffset: 4
; Occupancy: 8
; WaveLimiterHint : 0
; COMPUTE_PGM_RSRC2:SCRATCH_EN: 0
; COMPUTE_PGM_RSRC2:USER_SGPR: 2
; COMPUTE_PGM_RSRC2:TRAP_HANDLER: 0
; COMPUTE_PGM_RSRC2:TGID_X_EN: 1
; COMPUTE_PGM_RSRC2:TGID_Y_EN: 0
; COMPUTE_PGM_RSRC2:TGID_Z_EN: 0
; COMPUTE_PGM_RSRC2:TIDIG_COMP_CNT: 0
; COMPUTE_PGM_RSRC3_GFX90A:ACCUM_OFFSET: 0
; COMPUTE_PGM_RSRC3_GFX90A:TG_SPLIT: 0
	.section	.text._ZN7rocprim17ROCPRIM_400000_NS6detail17trampoline_kernelINS0_14default_configENS1_35adjacent_difference_config_selectorILb0EsEEZNS1_24adjacent_difference_implIS3_Lb0ELb0EPKsPsN6thrust23THRUST_200600_302600_NS4plusIsEEEE10hipError_tPvRmT2_T3_mT4_P12ihipStream_tbEUlT_E_NS1_11comp_targetILNS1_3genE9ELNS1_11target_archE1100ELNS1_3gpuE3ELNS1_3repE0EEENS1_30default_config_static_selectorELNS0_4arch9wavefront6targetE1EEEvT1_,"axG",@progbits,_ZN7rocprim17ROCPRIM_400000_NS6detail17trampoline_kernelINS0_14default_configENS1_35adjacent_difference_config_selectorILb0EsEEZNS1_24adjacent_difference_implIS3_Lb0ELb0EPKsPsN6thrust23THRUST_200600_302600_NS4plusIsEEEE10hipError_tPvRmT2_T3_mT4_P12ihipStream_tbEUlT_E_NS1_11comp_targetILNS1_3genE9ELNS1_11target_archE1100ELNS1_3gpuE3ELNS1_3repE0EEENS1_30default_config_static_selectorELNS0_4arch9wavefront6targetE1EEEvT1_,comdat
	.protected	_ZN7rocprim17ROCPRIM_400000_NS6detail17trampoline_kernelINS0_14default_configENS1_35adjacent_difference_config_selectorILb0EsEEZNS1_24adjacent_difference_implIS3_Lb0ELb0EPKsPsN6thrust23THRUST_200600_302600_NS4plusIsEEEE10hipError_tPvRmT2_T3_mT4_P12ihipStream_tbEUlT_E_NS1_11comp_targetILNS1_3genE9ELNS1_11target_archE1100ELNS1_3gpuE3ELNS1_3repE0EEENS1_30default_config_static_selectorELNS0_4arch9wavefront6targetE1EEEvT1_ ; -- Begin function _ZN7rocprim17ROCPRIM_400000_NS6detail17trampoline_kernelINS0_14default_configENS1_35adjacent_difference_config_selectorILb0EsEEZNS1_24adjacent_difference_implIS3_Lb0ELb0EPKsPsN6thrust23THRUST_200600_302600_NS4plusIsEEEE10hipError_tPvRmT2_T3_mT4_P12ihipStream_tbEUlT_E_NS1_11comp_targetILNS1_3genE9ELNS1_11target_archE1100ELNS1_3gpuE3ELNS1_3repE0EEENS1_30default_config_static_selectorELNS0_4arch9wavefront6targetE1EEEvT1_
	.globl	_ZN7rocprim17ROCPRIM_400000_NS6detail17trampoline_kernelINS0_14default_configENS1_35adjacent_difference_config_selectorILb0EsEEZNS1_24adjacent_difference_implIS3_Lb0ELb0EPKsPsN6thrust23THRUST_200600_302600_NS4plusIsEEEE10hipError_tPvRmT2_T3_mT4_P12ihipStream_tbEUlT_E_NS1_11comp_targetILNS1_3genE9ELNS1_11target_archE1100ELNS1_3gpuE3ELNS1_3repE0EEENS1_30default_config_static_selectorELNS0_4arch9wavefront6targetE1EEEvT1_
	.p2align	8
	.type	_ZN7rocprim17ROCPRIM_400000_NS6detail17trampoline_kernelINS0_14default_configENS1_35adjacent_difference_config_selectorILb0EsEEZNS1_24adjacent_difference_implIS3_Lb0ELb0EPKsPsN6thrust23THRUST_200600_302600_NS4plusIsEEEE10hipError_tPvRmT2_T3_mT4_P12ihipStream_tbEUlT_E_NS1_11comp_targetILNS1_3genE9ELNS1_11target_archE1100ELNS1_3gpuE3ELNS1_3repE0EEENS1_30default_config_static_selectorELNS0_4arch9wavefront6targetE1EEEvT1_,@function
_ZN7rocprim17ROCPRIM_400000_NS6detail17trampoline_kernelINS0_14default_configENS1_35adjacent_difference_config_selectorILb0EsEEZNS1_24adjacent_difference_implIS3_Lb0ELb0EPKsPsN6thrust23THRUST_200600_302600_NS4plusIsEEEE10hipError_tPvRmT2_T3_mT4_P12ihipStream_tbEUlT_E_NS1_11comp_targetILNS1_3genE9ELNS1_11target_archE1100ELNS1_3gpuE3ELNS1_3repE0EEENS1_30default_config_static_selectorELNS0_4arch9wavefront6targetE1EEEvT1_: ; @_ZN7rocprim17ROCPRIM_400000_NS6detail17trampoline_kernelINS0_14default_configENS1_35adjacent_difference_config_selectorILb0EsEEZNS1_24adjacent_difference_implIS3_Lb0ELb0EPKsPsN6thrust23THRUST_200600_302600_NS4plusIsEEEE10hipError_tPvRmT2_T3_mT4_P12ihipStream_tbEUlT_E_NS1_11comp_targetILNS1_3genE9ELNS1_11target_archE1100ELNS1_3gpuE3ELNS1_3repE0EEENS1_30default_config_static_selectorELNS0_4arch9wavefront6targetE1EEEvT1_
; %bb.0:
	.section	.rodata,"a",@progbits
	.p2align	6, 0x0
	.amdhsa_kernel _ZN7rocprim17ROCPRIM_400000_NS6detail17trampoline_kernelINS0_14default_configENS1_35adjacent_difference_config_selectorILb0EsEEZNS1_24adjacent_difference_implIS3_Lb0ELb0EPKsPsN6thrust23THRUST_200600_302600_NS4plusIsEEEE10hipError_tPvRmT2_T3_mT4_P12ihipStream_tbEUlT_E_NS1_11comp_targetILNS1_3genE9ELNS1_11target_archE1100ELNS1_3gpuE3ELNS1_3repE0EEENS1_30default_config_static_selectorELNS0_4arch9wavefront6targetE1EEEvT1_
		.amdhsa_group_segment_fixed_size 0
		.amdhsa_private_segment_fixed_size 0
		.amdhsa_kernarg_size 56
		.amdhsa_user_sgpr_count 2
		.amdhsa_user_sgpr_dispatch_ptr 0
		.amdhsa_user_sgpr_queue_ptr 0
		.amdhsa_user_sgpr_kernarg_segment_ptr 1
		.amdhsa_user_sgpr_dispatch_id 0
		.amdhsa_user_sgpr_kernarg_preload_length 0
		.amdhsa_user_sgpr_kernarg_preload_offset 0
		.amdhsa_user_sgpr_private_segment_size 0
		.amdhsa_uses_dynamic_stack 0
		.amdhsa_enable_private_segment 0
		.amdhsa_system_sgpr_workgroup_id_x 1
		.amdhsa_system_sgpr_workgroup_id_y 0
		.amdhsa_system_sgpr_workgroup_id_z 0
		.amdhsa_system_sgpr_workgroup_info 0
		.amdhsa_system_vgpr_workitem_id 0
		.amdhsa_next_free_vgpr 1
		.amdhsa_next_free_sgpr 0
		.amdhsa_accum_offset 4
		.amdhsa_reserve_vcc 0
		.amdhsa_float_round_mode_32 0
		.amdhsa_float_round_mode_16_64 0
		.amdhsa_float_denorm_mode_32 3
		.amdhsa_float_denorm_mode_16_64 3
		.amdhsa_dx10_clamp 1
		.amdhsa_ieee_mode 1
		.amdhsa_fp16_overflow 0
		.amdhsa_tg_split 0
		.amdhsa_exception_fp_ieee_invalid_op 0
		.amdhsa_exception_fp_denorm_src 0
		.amdhsa_exception_fp_ieee_div_zero 0
		.amdhsa_exception_fp_ieee_overflow 0
		.amdhsa_exception_fp_ieee_underflow 0
		.amdhsa_exception_fp_ieee_inexact 0
		.amdhsa_exception_int_div_zero 0
	.end_amdhsa_kernel
	.section	.text._ZN7rocprim17ROCPRIM_400000_NS6detail17trampoline_kernelINS0_14default_configENS1_35adjacent_difference_config_selectorILb0EsEEZNS1_24adjacent_difference_implIS3_Lb0ELb0EPKsPsN6thrust23THRUST_200600_302600_NS4plusIsEEEE10hipError_tPvRmT2_T3_mT4_P12ihipStream_tbEUlT_E_NS1_11comp_targetILNS1_3genE9ELNS1_11target_archE1100ELNS1_3gpuE3ELNS1_3repE0EEENS1_30default_config_static_selectorELNS0_4arch9wavefront6targetE1EEEvT1_,"axG",@progbits,_ZN7rocprim17ROCPRIM_400000_NS6detail17trampoline_kernelINS0_14default_configENS1_35adjacent_difference_config_selectorILb0EsEEZNS1_24adjacent_difference_implIS3_Lb0ELb0EPKsPsN6thrust23THRUST_200600_302600_NS4plusIsEEEE10hipError_tPvRmT2_T3_mT4_P12ihipStream_tbEUlT_E_NS1_11comp_targetILNS1_3genE9ELNS1_11target_archE1100ELNS1_3gpuE3ELNS1_3repE0EEENS1_30default_config_static_selectorELNS0_4arch9wavefront6targetE1EEEvT1_,comdat
.Lfunc_end522:
	.size	_ZN7rocprim17ROCPRIM_400000_NS6detail17trampoline_kernelINS0_14default_configENS1_35adjacent_difference_config_selectorILb0EsEEZNS1_24adjacent_difference_implIS3_Lb0ELb0EPKsPsN6thrust23THRUST_200600_302600_NS4plusIsEEEE10hipError_tPvRmT2_T3_mT4_P12ihipStream_tbEUlT_E_NS1_11comp_targetILNS1_3genE9ELNS1_11target_archE1100ELNS1_3gpuE3ELNS1_3repE0EEENS1_30default_config_static_selectorELNS0_4arch9wavefront6targetE1EEEvT1_, .Lfunc_end522-_ZN7rocprim17ROCPRIM_400000_NS6detail17trampoline_kernelINS0_14default_configENS1_35adjacent_difference_config_selectorILb0EsEEZNS1_24adjacent_difference_implIS3_Lb0ELb0EPKsPsN6thrust23THRUST_200600_302600_NS4plusIsEEEE10hipError_tPvRmT2_T3_mT4_P12ihipStream_tbEUlT_E_NS1_11comp_targetILNS1_3genE9ELNS1_11target_archE1100ELNS1_3gpuE3ELNS1_3repE0EEENS1_30default_config_static_selectorELNS0_4arch9wavefront6targetE1EEEvT1_
                                        ; -- End function
	.section	.AMDGPU.csdata,"",@progbits
; Kernel info:
; codeLenInByte = 0
; NumSgprs: 6
; NumVgprs: 0
; NumAgprs: 0
; TotalNumVgprs: 0
; ScratchSize: 0
; MemoryBound: 0
; FloatMode: 240
; IeeeMode: 1
; LDSByteSize: 0 bytes/workgroup (compile time only)
; SGPRBlocks: 0
; VGPRBlocks: 0
; NumSGPRsForWavesPerEU: 6
; NumVGPRsForWavesPerEU: 1
; AccumOffset: 4
; Occupancy: 8
; WaveLimiterHint : 0
; COMPUTE_PGM_RSRC2:SCRATCH_EN: 0
; COMPUTE_PGM_RSRC2:USER_SGPR: 2
; COMPUTE_PGM_RSRC2:TRAP_HANDLER: 0
; COMPUTE_PGM_RSRC2:TGID_X_EN: 1
; COMPUTE_PGM_RSRC2:TGID_Y_EN: 0
; COMPUTE_PGM_RSRC2:TGID_Z_EN: 0
; COMPUTE_PGM_RSRC2:TIDIG_COMP_CNT: 0
; COMPUTE_PGM_RSRC3_GFX90A:ACCUM_OFFSET: 0
; COMPUTE_PGM_RSRC3_GFX90A:TG_SPLIT: 0
	.section	.text._ZN7rocprim17ROCPRIM_400000_NS6detail17trampoline_kernelINS0_14default_configENS1_35adjacent_difference_config_selectorILb0EsEEZNS1_24adjacent_difference_implIS3_Lb0ELb0EPKsPsN6thrust23THRUST_200600_302600_NS4plusIsEEEE10hipError_tPvRmT2_T3_mT4_P12ihipStream_tbEUlT_E_NS1_11comp_targetILNS1_3genE8ELNS1_11target_archE1030ELNS1_3gpuE2ELNS1_3repE0EEENS1_30default_config_static_selectorELNS0_4arch9wavefront6targetE1EEEvT1_,"axG",@progbits,_ZN7rocprim17ROCPRIM_400000_NS6detail17trampoline_kernelINS0_14default_configENS1_35adjacent_difference_config_selectorILb0EsEEZNS1_24adjacent_difference_implIS3_Lb0ELb0EPKsPsN6thrust23THRUST_200600_302600_NS4plusIsEEEE10hipError_tPvRmT2_T3_mT4_P12ihipStream_tbEUlT_E_NS1_11comp_targetILNS1_3genE8ELNS1_11target_archE1030ELNS1_3gpuE2ELNS1_3repE0EEENS1_30default_config_static_selectorELNS0_4arch9wavefront6targetE1EEEvT1_,comdat
	.protected	_ZN7rocprim17ROCPRIM_400000_NS6detail17trampoline_kernelINS0_14default_configENS1_35adjacent_difference_config_selectorILb0EsEEZNS1_24adjacent_difference_implIS3_Lb0ELb0EPKsPsN6thrust23THRUST_200600_302600_NS4plusIsEEEE10hipError_tPvRmT2_T3_mT4_P12ihipStream_tbEUlT_E_NS1_11comp_targetILNS1_3genE8ELNS1_11target_archE1030ELNS1_3gpuE2ELNS1_3repE0EEENS1_30default_config_static_selectorELNS0_4arch9wavefront6targetE1EEEvT1_ ; -- Begin function _ZN7rocprim17ROCPRIM_400000_NS6detail17trampoline_kernelINS0_14default_configENS1_35adjacent_difference_config_selectorILb0EsEEZNS1_24adjacent_difference_implIS3_Lb0ELb0EPKsPsN6thrust23THRUST_200600_302600_NS4plusIsEEEE10hipError_tPvRmT2_T3_mT4_P12ihipStream_tbEUlT_E_NS1_11comp_targetILNS1_3genE8ELNS1_11target_archE1030ELNS1_3gpuE2ELNS1_3repE0EEENS1_30default_config_static_selectorELNS0_4arch9wavefront6targetE1EEEvT1_
	.globl	_ZN7rocprim17ROCPRIM_400000_NS6detail17trampoline_kernelINS0_14default_configENS1_35adjacent_difference_config_selectorILb0EsEEZNS1_24adjacent_difference_implIS3_Lb0ELb0EPKsPsN6thrust23THRUST_200600_302600_NS4plusIsEEEE10hipError_tPvRmT2_T3_mT4_P12ihipStream_tbEUlT_E_NS1_11comp_targetILNS1_3genE8ELNS1_11target_archE1030ELNS1_3gpuE2ELNS1_3repE0EEENS1_30default_config_static_selectorELNS0_4arch9wavefront6targetE1EEEvT1_
	.p2align	8
	.type	_ZN7rocprim17ROCPRIM_400000_NS6detail17trampoline_kernelINS0_14default_configENS1_35adjacent_difference_config_selectorILb0EsEEZNS1_24adjacent_difference_implIS3_Lb0ELb0EPKsPsN6thrust23THRUST_200600_302600_NS4plusIsEEEE10hipError_tPvRmT2_T3_mT4_P12ihipStream_tbEUlT_E_NS1_11comp_targetILNS1_3genE8ELNS1_11target_archE1030ELNS1_3gpuE2ELNS1_3repE0EEENS1_30default_config_static_selectorELNS0_4arch9wavefront6targetE1EEEvT1_,@function
_ZN7rocprim17ROCPRIM_400000_NS6detail17trampoline_kernelINS0_14default_configENS1_35adjacent_difference_config_selectorILb0EsEEZNS1_24adjacent_difference_implIS3_Lb0ELb0EPKsPsN6thrust23THRUST_200600_302600_NS4plusIsEEEE10hipError_tPvRmT2_T3_mT4_P12ihipStream_tbEUlT_E_NS1_11comp_targetILNS1_3genE8ELNS1_11target_archE1030ELNS1_3gpuE2ELNS1_3repE0EEENS1_30default_config_static_selectorELNS0_4arch9wavefront6targetE1EEEvT1_: ; @_ZN7rocprim17ROCPRIM_400000_NS6detail17trampoline_kernelINS0_14default_configENS1_35adjacent_difference_config_selectorILb0EsEEZNS1_24adjacent_difference_implIS3_Lb0ELb0EPKsPsN6thrust23THRUST_200600_302600_NS4plusIsEEEE10hipError_tPvRmT2_T3_mT4_P12ihipStream_tbEUlT_E_NS1_11comp_targetILNS1_3genE8ELNS1_11target_archE1030ELNS1_3gpuE2ELNS1_3repE0EEENS1_30default_config_static_selectorELNS0_4arch9wavefront6targetE1EEEvT1_
; %bb.0:
	.section	.rodata,"a",@progbits
	.p2align	6, 0x0
	.amdhsa_kernel _ZN7rocprim17ROCPRIM_400000_NS6detail17trampoline_kernelINS0_14default_configENS1_35adjacent_difference_config_selectorILb0EsEEZNS1_24adjacent_difference_implIS3_Lb0ELb0EPKsPsN6thrust23THRUST_200600_302600_NS4plusIsEEEE10hipError_tPvRmT2_T3_mT4_P12ihipStream_tbEUlT_E_NS1_11comp_targetILNS1_3genE8ELNS1_11target_archE1030ELNS1_3gpuE2ELNS1_3repE0EEENS1_30default_config_static_selectorELNS0_4arch9wavefront6targetE1EEEvT1_
		.amdhsa_group_segment_fixed_size 0
		.amdhsa_private_segment_fixed_size 0
		.amdhsa_kernarg_size 56
		.amdhsa_user_sgpr_count 2
		.amdhsa_user_sgpr_dispatch_ptr 0
		.amdhsa_user_sgpr_queue_ptr 0
		.amdhsa_user_sgpr_kernarg_segment_ptr 1
		.amdhsa_user_sgpr_dispatch_id 0
		.amdhsa_user_sgpr_kernarg_preload_length 0
		.amdhsa_user_sgpr_kernarg_preload_offset 0
		.amdhsa_user_sgpr_private_segment_size 0
		.amdhsa_uses_dynamic_stack 0
		.amdhsa_enable_private_segment 0
		.amdhsa_system_sgpr_workgroup_id_x 1
		.amdhsa_system_sgpr_workgroup_id_y 0
		.amdhsa_system_sgpr_workgroup_id_z 0
		.amdhsa_system_sgpr_workgroup_info 0
		.amdhsa_system_vgpr_workitem_id 0
		.amdhsa_next_free_vgpr 1
		.amdhsa_next_free_sgpr 0
		.amdhsa_accum_offset 4
		.amdhsa_reserve_vcc 0
		.amdhsa_float_round_mode_32 0
		.amdhsa_float_round_mode_16_64 0
		.amdhsa_float_denorm_mode_32 3
		.amdhsa_float_denorm_mode_16_64 3
		.amdhsa_dx10_clamp 1
		.amdhsa_ieee_mode 1
		.amdhsa_fp16_overflow 0
		.amdhsa_tg_split 0
		.amdhsa_exception_fp_ieee_invalid_op 0
		.amdhsa_exception_fp_denorm_src 0
		.amdhsa_exception_fp_ieee_div_zero 0
		.amdhsa_exception_fp_ieee_overflow 0
		.amdhsa_exception_fp_ieee_underflow 0
		.amdhsa_exception_fp_ieee_inexact 0
		.amdhsa_exception_int_div_zero 0
	.end_amdhsa_kernel
	.section	.text._ZN7rocprim17ROCPRIM_400000_NS6detail17trampoline_kernelINS0_14default_configENS1_35adjacent_difference_config_selectorILb0EsEEZNS1_24adjacent_difference_implIS3_Lb0ELb0EPKsPsN6thrust23THRUST_200600_302600_NS4plusIsEEEE10hipError_tPvRmT2_T3_mT4_P12ihipStream_tbEUlT_E_NS1_11comp_targetILNS1_3genE8ELNS1_11target_archE1030ELNS1_3gpuE2ELNS1_3repE0EEENS1_30default_config_static_selectorELNS0_4arch9wavefront6targetE1EEEvT1_,"axG",@progbits,_ZN7rocprim17ROCPRIM_400000_NS6detail17trampoline_kernelINS0_14default_configENS1_35adjacent_difference_config_selectorILb0EsEEZNS1_24adjacent_difference_implIS3_Lb0ELb0EPKsPsN6thrust23THRUST_200600_302600_NS4plusIsEEEE10hipError_tPvRmT2_T3_mT4_P12ihipStream_tbEUlT_E_NS1_11comp_targetILNS1_3genE8ELNS1_11target_archE1030ELNS1_3gpuE2ELNS1_3repE0EEENS1_30default_config_static_selectorELNS0_4arch9wavefront6targetE1EEEvT1_,comdat
.Lfunc_end523:
	.size	_ZN7rocprim17ROCPRIM_400000_NS6detail17trampoline_kernelINS0_14default_configENS1_35adjacent_difference_config_selectorILb0EsEEZNS1_24adjacent_difference_implIS3_Lb0ELb0EPKsPsN6thrust23THRUST_200600_302600_NS4plusIsEEEE10hipError_tPvRmT2_T3_mT4_P12ihipStream_tbEUlT_E_NS1_11comp_targetILNS1_3genE8ELNS1_11target_archE1030ELNS1_3gpuE2ELNS1_3repE0EEENS1_30default_config_static_selectorELNS0_4arch9wavefront6targetE1EEEvT1_, .Lfunc_end523-_ZN7rocprim17ROCPRIM_400000_NS6detail17trampoline_kernelINS0_14default_configENS1_35adjacent_difference_config_selectorILb0EsEEZNS1_24adjacent_difference_implIS3_Lb0ELb0EPKsPsN6thrust23THRUST_200600_302600_NS4plusIsEEEE10hipError_tPvRmT2_T3_mT4_P12ihipStream_tbEUlT_E_NS1_11comp_targetILNS1_3genE8ELNS1_11target_archE1030ELNS1_3gpuE2ELNS1_3repE0EEENS1_30default_config_static_selectorELNS0_4arch9wavefront6targetE1EEEvT1_
                                        ; -- End function
	.section	.AMDGPU.csdata,"",@progbits
; Kernel info:
; codeLenInByte = 0
; NumSgprs: 6
; NumVgprs: 0
; NumAgprs: 0
; TotalNumVgprs: 0
; ScratchSize: 0
; MemoryBound: 0
; FloatMode: 240
; IeeeMode: 1
; LDSByteSize: 0 bytes/workgroup (compile time only)
; SGPRBlocks: 0
; VGPRBlocks: 0
; NumSGPRsForWavesPerEU: 6
; NumVGPRsForWavesPerEU: 1
; AccumOffset: 4
; Occupancy: 8
; WaveLimiterHint : 0
; COMPUTE_PGM_RSRC2:SCRATCH_EN: 0
; COMPUTE_PGM_RSRC2:USER_SGPR: 2
; COMPUTE_PGM_RSRC2:TRAP_HANDLER: 0
; COMPUTE_PGM_RSRC2:TGID_X_EN: 1
; COMPUTE_PGM_RSRC2:TGID_Y_EN: 0
; COMPUTE_PGM_RSRC2:TGID_Z_EN: 0
; COMPUTE_PGM_RSRC2:TIDIG_COMP_CNT: 0
; COMPUTE_PGM_RSRC3_GFX90A:ACCUM_OFFSET: 0
; COMPUTE_PGM_RSRC3_GFX90A:TG_SPLIT: 0
	.section	.text._ZN7rocprim17ROCPRIM_400000_NS6detail17trampoline_kernelINS0_14default_configENS1_25transform_config_selectorIsLb0EEEZNS1_14transform_implILb0ES3_S5_NS0_18transform_iteratorINS0_17counting_iteratorImlEEZNS1_24adjacent_difference_implIS3_Lb1ELb0EPKsPsN6thrust23THRUST_200600_302600_NS4plusIsEEEE10hipError_tPvRmT2_T3_mT4_P12ihipStream_tbEUlmE_sEESD_NS0_8identityIvEEEESI_SL_SM_mSN_SP_bEUlT_E_NS1_11comp_targetILNS1_3genE0ELNS1_11target_archE4294967295ELNS1_3gpuE0ELNS1_3repE0EEENS1_30default_config_static_selectorELNS0_4arch9wavefront6targetE1EEEvT1_,"axG",@progbits,_ZN7rocprim17ROCPRIM_400000_NS6detail17trampoline_kernelINS0_14default_configENS1_25transform_config_selectorIsLb0EEEZNS1_14transform_implILb0ES3_S5_NS0_18transform_iteratorINS0_17counting_iteratorImlEEZNS1_24adjacent_difference_implIS3_Lb1ELb0EPKsPsN6thrust23THRUST_200600_302600_NS4plusIsEEEE10hipError_tPvRmT2_T3_mT4_P12ihipStream_tbEUlmE_sEESD_NS0_8identityIvEEEESI_SL_SM_mSN_SP_bEUlT_E_NS1_11comp_targetILNS1_3genE0ELNS1_11target_archE4294967295ELNS1_3gpuE0ELNS1_3repE0EEENS1_30default_config_static_selectorELNS0_4arch9wavefront6targetE1EEEvT1_,comdat
	.protected	_ZN7rocprim17ROCPRIM_400000_NS6detail17trampoline_kernelINS0_14default_configENS1_25transform_config_selectorIsLb0EEEZNS1_14transform_implILb0ES3_S5_NS0_18transform_iteratorINS0_17counting_iteratorImlEEZNS1_24adjacent_difference_implIS3_Lb1ELb0EPKsPsN6thrust23THRUST_200600_302600_NS4plusIsEEEE10hipError_tPvRmT2_T3_mT4_P12ihipStream_tbEUlmE_sEESD_NS0_8identityIvEEEESI_SL_SM_mSN_SP_bEUlT_E_NS1_11comp_targetILNS1_3genE0ELNS1_11target_archE4294967295ELNS1_3gpuE0ELNS1_3repE0EEENS1_30default_config_static_selectorELNS0_4arch9wavefront6targetE1EEEvT1_ ; -- Begin function _ZN7rocprim17ROCPRIM_400000_NS6detail17trampoline_kernelINS0_14default_configENS1_25transform_config_selectorIsLb0EEEZNS1_14transform_implILb0ES3_S5_NS0_18transform_iteratorINS0_17counting_iteratorImlEEZNS1_24adjacent_difference_implIS3_Lb1ELb0EPKsPsN6thrust23THRUST_200600_302600_NS4plusIsEEEE10hipError_tPvRmT2_T3_mT4_P12ihipStream_tbEUlmE_sEESD_NS0_8identityIvEEEESI_SL_SM_mSN_SP_bEUlT_E_NS1_11comp_targetILNS1_3genE0ELNS1_11target_archE4294967295ELNS1_3gpuE0ELNS1_3repE0EEENS1_30default_config_static_selectorELNS0_4arch9wavefront6targetE1EEEvT1_
	.globl	_ZN7rocprim17ROCPRIM_400000_NS6detail17trampoline_kernelINS0_14default_configENS1_25transform_config_selectorIsLb0EEEZNS1_14transform_implILb0ES3_S5_NS0_18transform_iteratorINS0_17counting_iteratorImlEEZNS1_24adjacent_difference_implIS3_Lb1ELb0EPKsPsN6thrust23THRUST_200600_302600_NS4plusIsEEEE10hipError_tPvRmT2_T3_mT4_P12ihipStream_tbEUlmE_sEESD_NS0_8identityIvEEEESI_SL_SM_mSN_SP_bEUlT_E_NS1_11comp_targetILNS1_3genE0ELNS1_11target_archE4294967295ELNS1_3gpuE0ELNS1_3repE0EEENS1_30default_config_static_selectorELNS0_4arch9wavefront6targetE1EEEvT1_
	.p2align	8
	.type	_ZN7rocprim17ROCPRIM_400000_NS6detail17trampoline_kernelINS0_14default_configENS1_25transform_config_selectorIsLb0EEEZNS1_14transform_implILb0ES3_S5_NS0_18transform_iteratorINS0_17counting_iteratorImlEEZNS1_24adjacent_difference_implIS3_Lb1ELb0EPKsPsN6thrust23THRUST_200600_302600_NS4plusIsEEEE10hipError_tPvRmT2_T3_mT4_P12ihipStream_tbEUlmE_sEESD_NS0_8identityIvEEEESI_SL_SM_mSN_SP_bEUlT_E_NS1_11comp_targetILNS1_3genE0ELNS1_11target_archE4294967295ELNS1_3gpuE0ELNS1_3repE0EEENS1_30default_config_static_selectorELNS0_4arch9wavefront6targetE1EEEvT1_,@function
_ZN7rocprim17ROCPRIM_400000_NS6detail17trampoline_kernelINS0_14default_configENS1_25transform_config_selectorIsLb0EEEZNS1_14transform_implILb0ES3_S5_NS0_18transform_iteratorINS0_17counting_iteratorImlEEZNS1_24adjacent_difference_implIS3_Lb1ELb0EPKsPsN6thrust23THRUST_200600_302600_NS4plusIsEEEE10hipError_tPvRmT2_T3_mT4_P12ihipStream_tbEUlmE_sEESD_NS0_8identityIvEEEESI_SL_SM_mSN_SP_bEUlT_E_NS1_11comp_targetILNS1_3genE0ELNS1_11target_archE4294967295ELNS1_3gpuE0ELNS1_3repE0EEENS1_30default_config_static_selectorELNS0_4arch9wavefront6targetE1EEEvT1_: ; @_ZN7rocprim17ROCPRIM_400000_NS6detail17trampoline_kernelINS0_14default_configENS1_25transform_config_selectorIsLb0EEEZNS1_14transform_implILb0ES3_S5_NS0_18transform_iteratorINS0_17counting_iteratorImlEEZNS1_24adjacent_difference_implIS3_Lb1ELb0EPKsPsN6thrust23THRUST_200600_302600_NS4plusIsEEEE10hipError_tPvRmT2_T3_mT4_P12ihipStream_tbEUlmE_sEESD_NS0_8identityIvEEEESI_SL_SM_mSN_SP_bEUlT_E_NS1_11comp_targetILNS1_3genE0ELNS1_11target_archE4294967295ELNS1_3gpuE0ELNS1_3repE0EEENS1_30default_config_static_selectorELNS0_4arch9wavefront6targetE1EEEvT1_
; %bb.0:
	.section	.rodata,"a",@progbits
	.p2align	6, 0x0
	.amdhsa_kernel _ZN7rocprim17ROCPRIM_400000_NS6detail17trampoline_kernelINS0_14default_configENS1_25transform_config_selectorIsLb0EEEZNS1_14transform_implILb0ES3_S5_NS0_18transform_iteratorINS0_17counting_iteratorImlEEZNS1_24adjacent_difference_implIS3_Lb1ELb0EPKsPsN6thrust23THRUST_200600_302600_NS4plusIsEEEE10hipError_tPvRmT2_T3_mT4_P12ihipStream_tbEUlmE_sEESD_NS0_8identityIvEEEESI_SL_SM_mSN_SP_bEUlT_E_NS1_11comp_targetILNS1_3genE0ELNS1_11target_archE4294967295ELNS1_3gpuE0ELNS1_3repE0EEENS1_30default_config_static_selectorELNS0_4arch9wavefront6targetE1EEEvT1_
		.amdhsa_group_segment_fixed_size 0
		.amdhsa_private_segment_fixed_size 0
		.amdhsa_kernarg_size 56
		.amdhsa_user_sgpr_count 2
		.amdhsa_user_sgpr_dispatch_ptr 0
		.amdhsa_user_sgpr_queue_ptr 0
		.amdhsa_user_sgpr_kernarg_segment_ptr 1
		.amdhsa_user_sgpr_dispatch_id 0
		.amdhsa_user_sgpr_kernarg_preload_length 0
		.amdhsa_user_sgpr_kernarg_preload_offset 0
		.amdhsa_user_sgpr_private_segment_size 0
		.amdhsa_uses_dynamic_stack 0
		.amdhsa_enable_private_segment 0
		.amdhsa_system_sgpr_workgroup_id_x 1
		.amdhsa_system_sgpr_workgroup_id_y 0
		.amdhsa_system_sgpr_workgroup_id_z 0
		.amdhsa_system_sgpr_workgroup_info 0
		.amdhsa_system_vgpr_workitem_id 0
		.amdhsa_next_free_vgpr 1
		.amdhsa_next_free_sgpr 0
		.amdhsa_accum_offset 4
		.amdhsa_reserve_vcc 0
		.amdhsa_float_round_mode_32 0
		.amdhsa_float_round_mode_16_64 0
		.amdhsa_float_denorm_mode_32 3
		.amdhsa_float_denorm_mode_16_64 3
		.amdhsa_dx10_clamp 1
		.amdhsa_ieee_mode 1
		.amdhsa_fp16_overflow 0
		.amdhsa_tg_split 0
		.amdhsa_exception_fp_ieee_invalid_op 0
		.amdhsa_exception_fp_denorm_src 0
		.amdhsa_exception_fp_ieee_div_zero 0
		.amdhsa_exception_fp_ieee_overflow 0
		.amdhsa_exception_fp_ieee_underflow 0
		.amdhsa_exception_fp_ieee_inexact 0
		.amdhsa_exception_int_div_zero 0
	.end_amdhsa_kernel
	.section	.text._ZN7rocprim17ROCPRIM_400000_NS6detail17trampoline_kernelINS0_14default_configENS1_25transform_config_selectorIsLb0EEEZNS1_14transform_implILb0ES3_S5_NS0_18transform_iteratorINS0_17counting_iteratorImlEEZNS1_24adjacent_difference_implIS3_Lb1ELb0EPKsPsN6thrust23THRUST_200600_302600_NS4plusIsEEEE10hipError_tPvRmT2_T3_mT4_P12ihipStream_tbEUlmE_sEESD_NS0_8identityIvEEEESI_SL_SM_mSN_SP_bEUlT_E_NS1_11comp_targetILNS1_3genE0ELNS1_11target_archE4294967295ELNS1_3gpuE0ELNS1_3repE0EEENS1_30default_config_static_selectorELNS0_4arch9wavefront6targetE1EEEvT1_,"axG",@progbits,_ZN7rocprim17ROCPRIM_400000_NS6detail17trampoline_kernelINS0_14default_configENS1_25transform_config_selectorIsLb0EEEZNS1_14transform_implILb0ES3_S5_NS0_18transform_iteratorINS0_17counting_iteratorImlEEZNS1_24adjacent_difference_implIS3_Lb1ELb0EPKsPsN6thrust23THRUST_200600_302600_NS4plusIsEEEE10hipError_tPvRmT2_T3_mT4_P12ihipStream_tbEUlmE_sEESD_NS0_8identityIvEEEESI_SL_SM_mSN_SP_bEUlT_E_NS1_11comp_targetILNS1_3genE0ELNS1_11target_archE4294967295ELNS1_3gpuE0ELNS1_3repE0EEENS1_30default_config_static_selectorELNS0_4arch9wavefront6targetE1EEEvT1_,comdat
.Lfunc_end524:
	.size	_ZN7rocprim17ROCPRIM_400000_NS6detail17trampoline_kernelINS0_14default_configENS1_25transform_config_selectorIsLb0EEEZNS1_14transform_implILb0ES3_S5_NS0_18transform_iteratorINS0_17counting_iteratorImlEEZNS1_24adjacent_difference_implIS3_Lb1ELb0EPKsPsN6thrust23THRUST_200600_302600_NS4plusIsEEEE10hipError_tPvRmT2_T3_mT4_P12ihipStream_tbEUlmE_sEESD_NS0_8identityIvEEEESI_SL_SM_mSN_SP_bEUlT_E_NS1_11comp_targetILNS1_3genE0ELNS1_11target_archE4294967295ELNS1_3gpuE0ELNS1_3repE0EEENS1_30default_config_static_selectorELNS0_4arch9wavefront6targetE1EEEvT1_, .Lfunc_end524-_ZN7rocprim17ROCPRIM_400000_NS6detail17trampoline_kernelINS0_14default_configENS1_25transform_config_selectorIsLb0EEEZNS1_14transform_implILb0ES3_S5_NS0_18transform_iteratorINS0_17counting_iteratorImlEEZNS1_24adjacent_difference_implIS3_Lb1ELb0EPKsPsN6thrust23THRUST_200600_302600_NS4plusIsEEEE10hipError_tPvRmT2_T3_mT4_P12ihipStream_tbEUlmE_sEESD_NS0_8identityIvEEEESI_SL_SM_mSN_SP_bEUlT_E_NS1_11comp_targetILNS1_3genE0ELNS1_11target_archE4294967295ELNS1_3gpuE0ELNS1_3repE0EEENS1_30default_config_static_selectorELNS0_4arch9wavefront6targetE1EEEvT1_
                                        ; -- End function
	.section	.AMDGPU.csdata,"",@progbits
; Kernel info:
; codeLenInByte = 0
; NumSgprs: 6
; NumVgprs: 0
; NumAgprs: 0
; TotalNumVgprs: 0
; ScratchSize: 0
; MemoryBound: 0
; FloatMode: 240
; IeeeMode: 1
; LDSByteSize: 0 bytes/workgroup (compile time only)
; SGPRBlocks: 0
; VGPRBlocks: 0
; NumSGPRsForWavesPerEU: 6
; NumVGPRsForWavesPerEU: 1
; AccumOffset: 4
; Occupancy: 8
; WaveLimiterHint : 0
; COMPUTE_PGM_RSRC2:SCRATCH_EN: 0
; COMPUTE_PGM_RSRC2:USER_SGPR: 2
; COMPUTE_PGM_RSRC2:TRAP_HANDLER: 0
; COMPUTE_PGM_RSRC2:TGID_X_EN: 1
; COMPUTE_PGM_RSRC2:TGID_Y_EN: 0
; COMPUTE_PGM_RSRC2:TGID_Z_EN: 0
; COMPUTE_PGM_RSRC2:TIDIG_COMP_CNT: 0
; COMPUTE_PGM_RSRC3_GFX90A:ACCUM_OFFSET: 0
; COMPUTE_PGM_RSRC3_GFX90A:TG_SPLIT: 0
	.section	.text._ZN7rocprim17ROCPRIM_400000_NS6detail17trampoline_kernelINS0_14default_configENS1_25transform_config_selectorIsLb0EEEZNS1_14transform_implILb0ES3_S5_NS0_18transform_iteratorINS0_17counting_iteratorImlEEZNS1_24adjacent_difference_implIS3_Lb1ELb0EPKsPsN6thrust23THRUST_200600_302600_NS4plusIsEEEE10hipError_tPvRmT2_T3_mT4_P12ihipStream_tbEUlmE_sEESD_NS0_8identityIvEEEESI_SL_SM_mSN_SP_bEUlT_E_NS1_11comp_targetILNS1_3genE5ELNS1_11target_archE942ELNS1_3gpuE9ELNS1_3repE0EEENS1_30default_config_static_selectorELNS0_4arch9wavefront6targetE1EEEvT1_,"axG",@progbits,_ZN7rocprim17ROCPRIM_400000_NS6detail17trampoline_kernelINS0_14default_configENS1_25transform_config_selectorIsLb0EEEZNS1_14transform_implILb0ES3_S5_NS0_18transform_iteratorINS0_17counting_iteratorImlEEZNS1_24adjacent_difference_implIS3_Lb1ELb0EPKsPsN6thrust23THRUST_200600_302600_NS4plusIsEEEE10hipError_tPvRmT2_T3_mT4_P12ihipStream_tbEUlmE_sEESD_NS0_8identityIvEEEESI_SL_SM_mSN_SP_bEUlT_E_NS1_11comp_targetILNS1_3genE5ELNS1_11target_archE942ELNS1_3gpuE9ELNS1_3repE0EEENS1_30default_config_static_selectorELNS0_4arch9wavefront6targetE1EEEvT1_,comdat
	.protected	_ZN7rocprim17ROCPRIM_400000_NS6detail17trampoline_kernelINS0_14default_configENS1_25transform_config_selectorIsLb0EEEZNS1_14transform_implILb0ES3_S5_NS0_18transform_iteratorINS0_17counting_iteratorImlEEZNS1_24adjacent_difference_implIS3_Lb1ELb0EPKsPsN6thrust23THRUST_200600_302600_NS4plusIsEEEE10hipError_tPvRmT2_T3_mT4_P12ihipStream_tbEUlmE_sEESD_NS0_8identityIvEEEESI_SL_SM_mSN_SP_bEUlT_E_NS1_11comp_targetILNS1_3genE5ELNS1_11target_archE942ELNS1_3gpuE9ELNS1_3repE0EEENS1_30default_config_static_selectorELNS0_4arch9wavefront6targetE1EEEvT1_ ; -- Begin function _ZN7rocprim17ROCPRIM_400000_NS6detail17trampoline_kernelINS0_14default_configENS1_25transform_config_selectorIsLb0EEEZNS1_14transform_implILb0ES3_S5_NS0_18transform_iteratorINS0_17counting_iteratorImlEEZNS1_24adjacent_difference_implIS3_Lb1ELb0EPKsPsN6thrust23THRUST_200600_302600_NS4plusIsEEEE10hipError_tPvRmT2_T3_mT4_P12ihipStream_tbEUlmE_sEESD_NS0_8identityIvEEEESI_SL_SM_mSN_SP_bEUlT_E_NS1_11comp_targetILNS1_3genE5ELNS1_11target_archE942ELNS1_3gpuE9ELNS1_3repE0EEENS1_30default_config_static_selectorELNS0_4arch9wavefront6targetE1EEEvT1_
	.globl	_ZN7rocprim17ROCPRIM_400000_NS6detail17trampoline_kernelINS0_14default_configENS1_25transform_config_selectorIsLb0EEEZNS1_14transform_implILb0ES3_S5_NS0_18transform_iteratorINS0_17counting_iteratorImlEEZNS1_24adjacent_difference_implIS3_Lb1ELb0EPKsPsN6thrust23THRUST_200600_302600_NS4plusIsEEEE10hipError_tPvRmT2_T3_mT4_P12ihipStream_tbEUlmE_sEESD_NS0_8identityIvEEEESI_SL_SM_mSN_SP_bEUlT_E_NS1_11comp_targetILNS1_3genE5ELNS1_11target_archE942ELNS1_3gpuE9ELNS1_3repE0EEENS1_30default_config_static_selectorELNS0_4arch9wavefront6targetE1EEEvT1_
	.p2align	8
	.type	_ZN7rocprim17ROCPRIM_400000_NS6detail17trampoline_kernelINS0_14default_configENS1_25transform_config_selectorIsLb0EEEZNS1_14transform_implILb0ES3_S5_NS0_18transform_iteratorINS0_17counting_iteratorImlEEZNS1_24adjacent_difference_implIS3_Lb1ELb0EPKsPsN6thrust23THRUST_200600_302600_NS4plusIsEEEE10hipError_tPvRmT2_T3_mT4_P12ihipStream_tbEUlmE_sEESD_NS0_8identityIvEEEESI_SL_SM_mSN_SP_bEUlT_E_NS1_11comp_targetILNS1_3genE5ELNS1_11target_archE942ELNS1_3gpuE9ELNS1_3repE0EEENS1_30default_config_static_selectorELNS0_4arch9wavefront6targetE1EEEvT1_,@function
_ZN7rocprim17ROCPRIM_400000_NS6detail17trampoline_kernelINS0_14default_configENS1_25transform_config_selectorIsLb0EEEZNS1_14transform_implILb0ES3_S5_NS0_18transform_iteratorINS0_17counting_iteratorImlEEZNS1_24adjacent_difference_implIS3_Lb1ELb0EPKsPsN6thrust23THRUST_200600_302600_NS4plusIsEEEE10hipError_tPvRmT2_T3_mT4_P12ihipStream_tbEUlmE_sEESD_NS0_8identityIvEEEESI_SL_SM_mSN_SP_bEUlT_E_NS1_11comp_targetILNS1_3genE5ELNS1_11target_archE942ELNS1_3gpuE9ELNS1_3repE0EEENS1_30default_config_static_selectorELNS0_4arch9wavefront6targetE1EEEvT1_: ; @_ZN7rocprim17ROCPRIM_400000_NS6detail17trampoline_kernelINS0_14default_configENS1_25transform_config_selectorIsLb0EEEZNS1_14transform_implILb0ES3_S5_NS0_18transform_iteratorINS0_17counting_iteratorImlEEZNS1_24adjacent_difference_implIS3_Lb1ELb0EPKsPsN6thrust23THRUST_200600_302600_NS4plusIsEEEE10hipError_tPvRmT2_T3_mT4_P12ihipStream_tbEUlmE_sEESD_NS0_8identityIvEEEESI_SL_SM_mSN_SP_bEUlT_E_NS1_11comp_targetILNS1_3genE5ELNS1_11target_archE942ELNS1_3gpuE9ELNS1_3repE0EEENS1_30default_config_static_selectorELNS0_4arch9wavefront6targetE1EEEvT1_
; %bb.0:
	s_load_dwordx4 s[4:7], s[0:1], 0x18
	s_load_dwordx2 s[8:9], s[0:1], 0x28
	s_load_dwordx4 s[12:15], s[0:1], 0x0
	s_load_dword s20, s[0:1], 0x10
	s_load_dword s3, s[0:1], 0x38
	s_waitcnt lgkmcnt(0)
	s_lshl_b64 s[0:1], s[4:5], 1
	s_add_u32 s26, s8, s0
	s_addc_u32 s27, s9, s1
	s_lshl_b32 s18, s2, 11
	s_add_i32 s3, s3, -1
	s_add_u32 s0, s12, s18
	s_addc_u32 s1, s13, 0
	s_add_u32 s22, s0, s4
	s_addc_u32 s23, s1, s5
	s_mov_b32 s19, 0
	s_cmp_lg_u32 s2, s3
	v_lshlrev_b32_e32 v6, 1, v0
	s_cbranch_scc0 .LBB525_2
; %bb.1:
	v_mov_b32_e32 v1, 0
	v_lshl_add_u64 v[2:3], s[22:23], 0, v[0:1]
	v_mad_u64_u32 v[4:5], s[0:1], v2, s20, 0
	v_mov_b32_e32 v2, v5
	v_mad_u64_u32 v[2:3], s[0:1], v3, s20, v[2:3]
	s_mov_b32 s21, s19
	v_mov_b32_e32 v5, v2
	v_lshl_add_u64 v[2:3], v[4:5], 1, s[14:15]
	s_lshl_b64 s[0:1], s[20:21], 9
	v_lshl_add_u64 v[4:5], v[2:3], 0, s[0:1]
	v_lshl_add_u64 v[8:9], v[4:5], 0, s[0:1]
	;; [unrolled: 1-line block ×4, first 2 shown]
	global_load_ushort v14, v[2:3], off
	global_load_ushort v15, v[4:5], off
	;; [unrolled: 1-line block ×5, first 2 shown]
	v_lshl_add_u64 v[2:3], v[12:13], 0, s[0:1]
	global_load_ushort v4, v[2:3], off
	v_lshl_add_u64 v[2:3], v[2:3], 0, s[0:1]
	global_load_ushort v5, v[2:3], off
	;; [unrolled: 2-line block ×3, first 2 shown]
	s_lshl_b64 s[2:3], s[18:19], 1
	s_add_u32 s2, s26, s2
	v_mov_b32_e32 v7, v1
	s_addc_u32 s3, s27, s3
	v_lshl_add_u64 v[8:9], s[2:3], 0, v[6:7]
	s_mov_b64 s[16:17], -1
	s_waitcnt vmcnt(7)
	global_store_short v6, v14, s[2:3]
	s_waitcnt vmcnt(7)
	global_store_short v6, v15, s[2:3] offset:512
	s_waitcnt vmcnt(7)
	global_store_short v6, v16, s[2:3] offset:1024
	;; [unrolled: 2-line block ×6, first 2 shown]
	s_cbranch_execz .LBB525_3
	s_branch .LBB525_32
.LBB525_2:
	s_mov_b64 s[16:17], 0
                                        ; implicit-def: $vgpr2
                                        ; implicit-def: $vgpr8_vgpr9
.LBB525_3:
	s_sub_i32 s21, s6, s18
	v_cmp_gt_u32_e32 vcc, s21, v0
                                        ; implicit-def: $vgpr2_vgpr3_vgpr4_vgpr5
	s_and_saveexec_b64 s[0:1], vcc
	s_cbranch_execz .LBB525_5
; %bb.4:
	v_mov_b32_e32 v1, 0
	s_waitcnt vmcnt(7)
	v_lshl_add_u64 v[2:3], s[22:23], 0, v[0:1]
	v_mad_u64_u32 v[4:5], s[2:3], v2, s20, 0
	v_mov_b32_e32 v2, v5
	v_mad_u64_u32 v[2:3], s[2:3], v3, s20, v[2:3]
	v_mov_b32_e32 v5, v2
	v_lshl_add_u64 v[2:3], v[4:5], 1, s[14:15]
	global_load_ushort v2, v[2:3], off
.LBB525_5:
	s_or_b64 exec, exec, s[0:1]
	v_or_b32_e32 v8, 0x100, v0
	v_cmp_gt_u32_e64 s[0:1], s21, v8
	s_and_saveexec_b64 s[2:3], s[0:1]
	s_cbranch_execz .LBB525_7
; %bb.6:
	v_mov_b32_e32 v9, 0
	v_lshl_add_u64 v[8:9], s[22:23], 0, v[8:9]
	v_mad_u64_u32 v[10:11], s[4:5], v8, s20, 0
	v_mov_b32_e32 v8, v11
	v_mad_u64_u32 v[8:9], s[4:5], v9, s20, v[8:9]
	v_mov_b32_e32 v11, v8
	v_lshl_add_u64 v[8:9], v[10:11], 1, s[14:15]
	global_load_ushort v1, v[8:9], off
	s_mov_b32 s4, 0x5040100
	s_waitcnt vmcnt(0)
	v_perm_b32 v2, v1, v2, s4
.LBB525_7:
	s_or_b64 exec, exec, s[2:3]
	v_or_b32_e32 v8, 0x200, v0
	v_cmp_gt_u32_e64 s[2:3], s21, v8
	s_and_saveexec_b64 s[4:5], s[2:3]
	s_cbranch_execz .LBB525_9
; %bb.8:
	v_mov_b32_e32 v9, 0
	v_lshl_add_u64 v[8:9], s[22:23], 0, v[8:9]
	v_mad_u64_u32 v[10:11], s[6:7], v8, s20, 0
	v_mov_b32_e32 v8, v11
	v_mad_u64_u32 v[8:9], s[6:7], v9, s20, v[8:9]
	v_mov_b32_e32 v11, v8
	v_lshl_add_u64 v[8:9], v[10:11], 1, s[14:15]
	global_load_ushort v1, v[8:9], off
	s_mov_b32 s6, 0xffff
	s_waitcnt vmcnt(0)
	v_bfi_b32 v3, s6, v1, v3
.LBB525_9:
	s_or_b64 exec, exec, s[4:5]
	v_or_b32_e32 v8, 0x300, v0
	v_cmp_gt_u32_e64 s[4:5], s21, v8
	s_and_saveexec_b64 s[6:7], s[4:5]
	s_cbranch_execz .LBB525_11
; %bb.10:
	v_mov_b32_e32 v9, 0
	v_lshl_add_u64 v[8:9], s[22:23], 0, v[8:9]
	v_mad_u64_u32 v[10:11], s[8:9], v8, s20, 0
	v_mov_b32_e32 v8, v11
	v_mad_u64_u32 v[8:9], s[8:9], v9, s20, v[8:9]
	v_mov_b32_e32 v11, v8
	v_lshl_add_u64 v[8:9], v[10:11], 1, s[14:15]
	global_load_ushort v1, v[8:9], off
	s_mov_b32 s8, 0x5040100
	s_waitcnt vmcnt(0)
	v_perm_b32 v3, v1, v3, s8
.LBB525_11:
	s_or_b64 exec, exec, s[6:7]
	v_or_b32_e32 v8, 0x400, v0
	v_cmp_gt_u32_e64 s[6:7], s21, v8
	s_and_saveexec_b64 s[8:9], s[6:7]
	s_cbranch_execz .LBB525_13
; %bb.12:
	v_mov_b32_e32 v9, 0
	v_lshl_add_u64 v[8:9], s[22:23], 0, v[8:9]
	v_mad_u64_u32 v[10:11], s[10:11], v8, s20, 0
	v_mov_b32_e32 v8, v11
	v_mad_u64_u32 v[8:9], s[10:11], v9, s20, v[8:9]
	v_mov_b32_e32 v11, v8
	v_lshl_add_u64 v[8:9], v[10:11], 1, s[14:15]
	global_load_ushort v1, v[8:9], off
	s_mov_b32 s10, 0xffff
	s_waitcnt vmcnt(0)
	v_bfi_b32 v4, s10, v1, v4
.LBB525_13:
	s_or_b64 exec, exec, s[8:9]
	v_or_b32_e32 v8, 0x500, v0
	v_cmp_gt_u32_e64 s[8:9], s21, v8
	s_and_saveexec_b64 s[10:11], s[8:9]
	s_cbranch_execz .LBB525_15
; %bb.14:
	v_mov_b32_e32 v9, 0
	v_lshl_add_u64 v[8:9], s[22:23], 0, v[8:9]
	v_mad_u64_u32 v[10:11], s[12:13], v8, s20, 0
	v_mov_b32_e32 v8, v11
	v_mad_u64_u32 v[8:9], s[12:13], v9, s20, v[8:9]
	v_mov_b32_e32 v11, v8
	v_lshl_add_u64 v[8:9], v[10:11], 1, s[14:15]
	global_load_ushort v1, v[8:9], off
	s_mov_b32 s12, 0x5040100
	s_waitcnt vmcnt(0)
	v_perm_b32 v4, v1, v4, s12
.LBB525_15:
	s_or_b64 exec, exec, s[10:11]
	v_or_b32_e32 v8, 0x600, v0
	v_cmp_gt_u32_e64 s[10:11], s21, v8
	s_and_saveexec_b64 s[12:13], s[10:11]
	s_cbranch_execz .LBB525_17
; %bb.16:
	v_mov_b32_e32 v9, 0
	v_lshl_add_u64 v[8:9], s[22:23], 0, v[8:9]
	v_mad_u64_u32 v[10:11], s[24:25], v8, s20, 0
	v_mov_b32_e32 v8, v11
	v_mad_u64_u32 v[8:9], s[24:25], v9, s20, v[8:9]
	v_mov_b32_e32 v11, v8
	v_lshl_add_u64 v[8:9], v[10:11], 1, s[14:15]
	global_load_ushort v1, v[8:9], off
	s_mov_b32 s24, 0xffff
	s_waitcnt vmcnt(0)
	v_bfi_b32 v5, s24, v1, v5
.LBB525_17:
	s_or_b64 exec, exec, s[12:13]
	v_or_b32_e32 v0, 0x700, v0
	v_cmp_gt_u32_e64 s[12:13], s21, v0
	s_and_saveexec_b64 s[24:25], s[12:13]
	s_cbranch_execz .LBB525_19
; %bb.18:
	v_mov_b32_e32 v1, 0
	v_lshl_add_u64 v[0:1], s[22:23], 0, v[0:1]
	v_mad_u64_u32 v[8:9], s[22:23], v0, s20, 0
	v_mov_b32_e32 v0, v9
	v_mad_u64_u32 v[0:1], s[20:21], v1, s20, v[0:1]
	v_mov_b32_e32 v9, v0
	v_lshl_add_u64 v[0:1], v[8:9], 1, s[14:15]
	global_load_ushort v0, v[0:1], off
	s_mov_b32 s14, 0x5040100
	s_waitcnt vmcnt(0)
	v_perm_b32 v5, v0, v5, s14
.LBB525_19:
	s_or_b64 exec, exec, s[24:25]
	s_lshl_b64 s[14:15], s[18:19], 1
	s_add_u32 s14, s26, s14
	s_addc_u32 s15, s27, s15
	v_mov_b32_e32 v7, 0
	v_lshl_add_u64 v[8:9], s[14:15], 0, v[6:7]
	s_and_saveexec_b64 s[14:15], vcc
	s_cbranch_execnz .LBB525_35
; %bb.20:
	s_or_b64 exec, exec, s[14:15]
	s_and_saveexec_b64 s[14:15], s[0:1]
	s_cbranch_execnz .LBB525_36
.LBB525_21:
	s_or_b64 exec, exec, s[14:15]
	s_mov_b32 s14, 0xffff
	s_and_saveexec_b64 s[0:1], s[2:3]
	s_cbranch_execz .LBB525_23
.LBB525_22:
	global_store_short v[8:9], v3, off offset:1024
.LBB525_23:
	s_or_b64 exec, exec, s[0:1]
	v_bfi_b32 v0, s14, v3, v3
	v_cndmask_b32_e64 v0, v0, v3, s[4:5]
	s_and_saveexec_b64 s[0:1], s[4:5]
	s_cbranch_execz .LBB525_25
; %bb.24:
	global_store_short_d16_hi v[8:9], v0, off offset:1536
.LBB525_25:
	s_or_b64 exec, exec, s[0:1]
	s_mov_b32 s2, 0xffff
	v_cndmask_b32_e64 v0, v4, v4, s[6:7]
	s_and_saveexec_b64 s[0:1], s[6:7]
	s_cbranch_execz .LBB525_27
; %bb.26:
	global_store_short v[8:9], v0, off offset:2048
.LBB525_27:
	s_or_b64 exec, exec, s[0:1]
	v_bfi_b32 v0, s2, v0, v4
	v_cndmask_b32_e64 v0, v0, v4, s[8:9]
	s_and_saveexec_b64 s[0:1], s[8:9]
	s_cbranch_execnz .LBB525_37
; %bb.28:
	s_or_b64 exec, exec, s[0:1]
	s_and_saveexec_b64 s[0:1], s[10:11]
	s_cbranch_execnz .LBB525_38
.LBB525_29:
	s_or_b64 exec, exec, s[0:1]
                                        ; implicit-def: $vgpr2
	s_and_saveexec_b64 s[0:1], s[12:13]
	s_cbranch_execz .LBB525_31
.LBB525_30:
	v_cndmask_b32_e64 v0, v5, v5, s[12:13]
	s_waitcnt vmcnt(0)
	v_lshrrev_b32_e32 v2, 16, v0
	s_or_b64 s[16:17], s[16:17], exec
.LBB525_31:
	s_or_b64 exec, exec, s[0:1]
.LBB525_32:
	s_and_saveexec_b64 s[0:1], s[16:17]
	s_cbranch_execnz .LBB525_34
; %bb.33:
	s_endpgm
.LBB525_34:
	s_waitcnt vmcnt(0)
	global_store_short v[8:9], v2, off offset:3584
	s_endpgm
.LBB525_35:
	s_waitcnt vmcnt(0)
	global_store_short v[8:9], v2, off
	s_or_b64 exec, exec, s[14:15]
	s_and_saveexec_b64 s[14:15], s[0:1]
	s_cbranch_execz .LBB525_21
.LBB525_36:
	s_waitcnt vmcnt(0)
	global_store_short_d16_hi v[8:9], v2, off offset:512
	s_or_b64 exec, exec, s[14:15]
	s_mov_b32 s14, 0xffff
	s_and_saveexec_b64 s[0:1], s[2:3]
	s_cbranch_execnz .LBB525_22
	s_branch .LBB525_23
.LBB525_37:
	global_store_short_d16_hi v[8:9], v0, off offset:2560
	s_or_b64 exec, exec, s[0:1]
	s_and_saveexec_b64 s[0:1], s[10:11]
	s_cbranch_execz .LBB525_29
.LBB525_38:
	v_cndmask_b32_e64 v0, v5, v5, s[10:11]
	global_store_short v[8:9], v0, off offset:3072
	s_or_b64 exec, exec, s[0:1]
                                        ; implicit-def: $vgpr2
	s_and_saveexec_b64 s[0:1], s[12:13]
	s_cbranch_execnz .LBB525_30
	s_branch .LBB525_31
	.section	.rodata,"a",@progbits
	.p2align	6, 0x0
	.amdhsa_kernel _ZN7rocprim17ROCPRIM_400000_NS6detail17trampoline_kernelINS0_14default_configENS1_25transform_config_selectorIsLb0EEEZNS1_14transform_implILb0ES3_S5_NS0_18transform_iteratorINS0_17counting_iteratorImlEEZNS1_24adjacent_difference_implIS3_Lb1ELb0EPKsPsN6thrust23THRUST_200600_302600_NS4plusIsEEEE10hipError_tPvRmT2_T3_mT4_P12ihipStream_tbEUlmE_sEESD_NS0_8identityIvEEEESI_SL_SM_mSN_SP_bEUlT_E_NS1_11comp_targetILNS1_3genE5ELNS1_11target_archE942ELNS1_3gpuE9ELNS1_3repE0EEENS1_30default_config_static_selectorELNS0_4arch9wavefront6targetE1EEEvT1_
		.amdhsa_group_segment_fixed_size 0
		.amdhsa_private_segment_fixed_size 0
		.amdhsa_kernarg_size 312
		.amdhsa_user_sgpr_count 2
		.amdhsa_user_sgpr_dispatch_ptr 0
		.amdhsa_user_sgpr_queue_ptr 0
		.amdhsa_user_sgpr_kernarg_segment_ptr 1
		.amdhsa_user_sgpr_dispatch_id 0
		.amdhsa_user_sgpr_kernarg_preload_length 0
		.amdhsa_user_sgpr_kernarg_preload_offset 0
		.amdhsa_user_sgpr_private_segment_size 0
		.amdhsa_uses_dynamic_stack 0
		.amdhsa_enable_private_segment 0
		.amdhsa_system_sgpr_workgroup_id_x 1
		.amdhsa_system_sgpr_workgroup_id_y 0
		.amdhsa_system_sgpr_workgroup_id_z 0
		.amdhsa_system_sgpr_workgroup_info 0
		.amdhsa_system_vgpr_workitem_id 0
		.amdhsa_next_free_vgpr 19
		.amdhsa_next_free_sgpr 28
		.amdhsa_accum_offset 20
		.amdhsa_reserve_vcc 1
		.amdhsa_float_round_mode_32 0
		.amdhsa_float_round_mode_16_64 0
		.amdhsa_float_denorm_mode_32 3
		.amdhsa_float_denorm_mode_16_64 3
		.amdhsa_dx10_clamp 1
		.amdhsa_ieee_mode 1
		.amdhsa_fp16_overflow 0
		.amdhsa_tg_split 0
		.amdhsa_exception_fp_ieee_invalid_op 0
		.amdhsa_exception_fp_denorm_src 0
		.amdhsa_exception_fp_ieee_div_zero 0
		.amdhsa_exception_fp_ieee_overflow 0
		.amdhsa_exception_fp_ieee_underflow 0
		.amdhsa_exception_fp_ieee_inexact 0
		.amdhsa_exception_int_div_zero 0
	.end_amdhsa_kernel
	.section	.text._ZN7rocprim17ROCPRIM_400000_NS6detail17trampoline_kernelINS0_14default_configENS1_25transform_config_selectorIsLb0EEEZNS1_14transform_implILb0ES3_S5_NS0_18transform_iteratorINS0_17counting_iteratorImlEEZNS1_24adjacent_difference_implIS3_Lb1ELb0EPKsPsN6thrust23THRUST_200600_302600_NS4plusIsEEEE10hipError_tPvRmT2_T3_mT4_P12ihipStream_tbEUlmE_sEESD_NS0_8identityIvEEEESI_SL_SM_mSN_SP_bEUlT_E_NS1_11comp_targetILNS1_3genE5ELNS1_11target_archE942ELNS1_3gpuE9ELNS1_3repE0EEENS1_30default_config_static_selectorELNS0_4arch9wavefront6targetE1EEEvT1_,"axG",@progbits,_ZN7rocprim17ROCPRIM_400000_NS6detail17trampoline_kernelINS0_14default_configENS1_25transform_config_selectorIsLb0EEEZNS1_14transform_implILb0ES3_S5_NS0_18transform_iteratorINS0_17counting_iteratorImlEEZNS1_24adjacent_difference_implIS3_Lb1ELb0EPKsPsN6thrust23THRUST_200600_302600_NS4plusIsEEEE10hipError_tPvRmT2_T3_mT4_P12ihipStream_tbEUlmE_sEESD_NS0_8identityIvEEEESI_SL_SM_mSN_SP_bEUlT_E_NS1_11comp_targetILNS1_3genE5ELNS1_11target_archE942ELNS1_3gpuE9ELNS1_3repE0EEENS1_30default_config_static_selectorELNS0_4arch9wavefront6targetE1EEEvT1_,comdat
.Lfunc_end525:
	.size	_ZN7rocprim17ROCPRIM_400000_NS6detail17trampoline_kernelINS0_14default_configENS1_25transform_config_selectorIsLb0EEEZNS1_14transform_implILb0ES3_S5_NS0_18transform_iteratorINS0_17counting_iteratorImlEEZNS1_24adjacent_difference_implIS3_Lb1ELb0EPKsPsN6thrust23THRUST_200600_302600_NS4plusIsEEEE10hipError_tPvRmT2_T3_mT4_P12ihipStream_tbEUlmE_sEESD_NS0_8identityIvEEEESI_SL_SM_mSN_SP_bEUlT_E_NS1_11comp_targetILNS1_3genE5ELNS1_11target_archE942ELNS1_3gpuE9ELNS1_3repE0EEENS1_30default_config_static_selectorELNS0_4arch9wavefront6targetE1EEEvT1_, .Lfunc_end525-_ZN7rocprim17ROCPRIM_400000_NS6detail17trampoline_kernelINS0_14default_configENS1_25transform_config_selectorIsLb0EEEZNS1_14transform_implILb0ES3_S5_NS0_18transform_iteratorINS0_17counting_iteratorImlEEZNS1_24adjacent_difference_implIS3_Lb1ELb0EPKsPsN6thrust23THRUST_200600_302600_NS4plusIsEEEE10hipError_tPvRmT2_T3_mT4_P12ihipStream_tbEUlmE_sEESD_NS0_8identityIvEEEESI_SL_SM_mSN_SP_bEUlT_E_NS1_11comp_targetILNS1_3genE5ELNS1_11target_archE942ELNS1_3gpuE9ELNS1_3repE0EEENS1_30default_config_static_selectorELNS0_4arch9wavefront6targetE1EEEvT1_
                                        ; -- End function
	.section	.AMDGPU.csdata,"",@progbits
; Kernel info:
; codeLenInByte = 1528
; NumSgprs: 34
; NumVgprs: 19
; NumAgprs: 0
; TotalNumVgprs: 19
; ScratchSize: 0
; MemoryBound: 0
; FloatMode: 240
; IeeeMode: 1
; LDSByteSize: 0 bytes/workgroup (compile time only)
; SGPRBlocks: 4
; VGPRBlocks: 2
; NumSGPRsForWavesPerEU: 34
; NumVGPRsForWavesPerEU: 19
; AccumOffset: 20
; Occupancy: 8
; WaveLimiterHint : 1
; COMPUTE_PGM_RSRC2:SCRATCH_EN: 0
; COMPUTE_PGM_RSRC2:USER_SGPR: 2
; COMPUTE_PGM_RSRC2:TRAP_HANDLER: 0
; COMPUTE_PGM_RSRC2:TGID_X_EN: 1
; COMPUTE_PGM_RSRC2:TGID_Y_EN: 0
; COMPUTE_PGM_RSRC2:TGID_Z_EN: 0
; COMPUTE_PGM_RSRC2:TIDIG_COMP_CNT: 0
; COMPUTE_PGM_RSRC3_GFX90A:ACCUM_OFFSET: 4
; COMPUTE_PGM_RSRC3_GFX90A:TG_SPLIT: 0
	.section	.text._ZN7rocprim17ROCPRIM_400000_NS6detail17trampoline_kernelINS0_14default_configENS1_25transform_config_selectorIsLb0EEEZNS1_14transform_implILb0ES3_S5_NS0_18transform_iteratorINS0_17counting_iteratorImlEEZNS1_24adjacent_difference_implIS3_Lb1ELb0EPKsPsN6thrust23THRUST_200600_302600_NS4plusIsEEEE10hipError_tPvRmT2_T3_mT4_P12ihipStream_tbEUlmE_sEESD_NS0_8identityIvEEEESI_SL_SM_mSN_SP_bEUlT_E_NS1_11comp_targetILNS1_3genE4ELNS1_11target_archE910ELNS1_3gpuE8ELNS1_3repE0EEENS1_30default_config_static_selectorELNS0_4arch9wavefront6targetE1EEEvT1_,"axG",@progbits,_ZN7rocprim17ROCPRIM_400000_NS6detail17trampoline_kernelINS0_14default_configENS1_25transform_config_selectorIsLb0EEEZNS1_14transform_implILb0ES3_S5_NS0_18transform_iteratorINS0_17counting_iteratorImlEEZNS1_24adjacent_difference_implIS3_Lb1ELb0EPKsPsN6thrust23THRUST_200600_302600_NS4plusIsEEEE10hipError_tPvRmT2_T3_mT4_P12ihipStream_tbEUlmE_sEESD_NS0_8identityIvEEEESI_SL_SM_mSN_SP_bEUlT_E_NS1_11comp_targetILNS1_3genE4ELNS1_11target_archE910ELNS1_3gpuE8ELNS1_3repE0EEENS1_30default_config_static_selectorELNS0_4arch9wavefront6targetE1EEEvT1_,comdat
	.protected	_ZN7rocprim17ROCPRIM_400000_NS6detail17trampoline_kernelINS0_14default_configENS1_25transform_config_selectorIsLb0EEEZNS1_14transform_implILb0ES3_S5_NS0_18transform_iteratorINS0_17counting_iteratorImlEEZNS1_24adjacent_difference_implIS3_Lb1ELb0EPKsPsN6thrust23THRUST_200600_302600_NS4plusIsEEEE10hipError_tPvRmT2_T3_mT4_P12ihipStream_tbEUlmE_sEESD_NS0_8identityIvEEEESI_SL_SM_mSN_SP_bEUlT_E_NS1_11comp_targetILNS1_3genE4ELNS1_11target_archE910ELNS1_3gpuE8ELNS1_3repE0EEENS1_30default_config_static_selectorELNS0_4arch9wavefront6targetE1EEEvT1_ ; -- Begin function _ZN7rocprim17ROCPRIM_400000_NS6detail17trampoline_kernelINS0_14default_configENS1_25transform_config_selectorIsLb0EEEZNS1_14transform_implILb0ES3_S5_NS0_18transform_iteratorINS0_17counting_iteratorImlEEZNS1_24adjacent_difference_implIS3_Lb1ELb0EPKsPsN6thrust23THRUST_200600_302600_NS4plusIsEEEE10hipError_tPvRmT2_T3_mT4_P12ihipStream_tbEUlmE_sEESD_NS0_8identityIvEEEESI_SL_SM_mSN_SP_bEUlT_E_NS1_11comp_targetILNS1_3genE4ELNS1_11target_archE910ELNS1_3gpuE8ELNS1_3repE0EEENS1_30default_config_static_selectorELNS0_4arch9wavefront6targetE1EEEvT1_
	.globl	_ZN7rocprim17ROCPRIM_400000_NS6detail17trampoline_kernelINS0_14default_configENS1_25transform_config_selectorIsLb0EEEZNS1_14transform_implILb0ES3_S5_NS0_18transform_iteratorINS0_17counting_iteratorImlEEZNS1_24adjacent_difference_implIS3_Lb1ELb0EPKsPsN6thrust23THRUST_200600_302600_NS4plusIsEEEE10hipError_tPvRmT2_T3_mT4_P12ihipStream_tbEUlmE_sEESD_NS0_8identityIvEEEESI_SL_SM_mSN_SP_bEUlT_E_NS1_11comp_targetILNS1_3genE4ELNS1_11target_archE910ELNS1_3gpuE8ELNS1_3repE0EEENS1_30default_config_static_selectorELNS0_4arch9wavefront6targetE1EEEvT1_
	.p2align	8
	.type	_ZN7rocprim17ROCPRIM_400000_NS6detail17trampoline_kernelINS0_14default_configENS1_25transform_config_selectorIsLb0EEEZNS1_14transform_implILb0ES3_S5_NS0_18transform_iteratorINS0_17counting_iteratorImlEEZNS1_24adjacent_difference_implIS3_Lb1ELb0EPKsPsN6thrust23THRUST_200600_302600_NS4plusIsEEEE10hipError_tPvRmT2_T3_mT4_P12ihipStream_tbEUlmE_sEESD_NS0_8identityIvEEEESI_SL_SM_mSN_SP_bEUlT_E_NS1_11comp_targetILNS1_3genE4ELNS1_11target_archE910ELNS1_3gpuE8ELNS1_3repE0EEENS1_30default_config_static_selectorELNS0_4arch9wavefront6targetE1EEEvT1_,@function
_ZN7rocprim17ROCPRIM_400000_NS6detail17trampoline_kernelINS0_14default_configENS1_25transform_config_selectorIsLb0EEEZNS1_14transform_implILb0ES3_S5_NS0_18transform_iteratorINS0_17counting_iteratorImlEEZNS1_24adjacent_difference_implIS3_Lb1ELb0EPKsPsN6thrust23THRUST_200600_302600_NS4plusIsEEEE10hipError_tPvRmT2_T3_mT4_P12ihipStream_tbEUlmE_sEESD_NS0_8identityIvEEEESI_SL_SM_mSN_SP_bEUlT_E_NS1_11comp_targetILNS1_3genE4ELNS1_11target_archE910ELNS1_3gpuE8ELNS1_3repE0EEENS1_30default_config_static_selectorELNS0_4arch9wavefront6targetE1EEEvT1_: ; @_ZN7rocprim17ROCPRIM_400000_NS6detail17trampoline_kernelINS0_14default_configENS1_25transform_config_selectorIsLb0EEEZNS1_14transform_implILb0ES3_S5_NS0_18transform_iteratorINS0_17counting_iteratorImlEEZNS1_24adjacent_difference_implIS3_Lb1ELb0EPKsPsN6thrust23THRUST_200600_302600_NS4plusIsEEEE10hipError_tPvRmT2_T3_mT4_P12ihipStream_tbEUlmE_sEESD_NS0_8identityIvEEEESI_SL_SM_mSN_SP_bEUlT_E_NS1_11comp_targetILNS1_3genE4ELNS1_11target_archE910ELNS1_3gpuE8ELNS1_3repE0EEENS1_30default_config_static_selectorELNS0_4arch9wavefront6targetE1EEEvT1_
; %bb.0:
	.section	.rodata,"a",@progbits
	.p2align	6, 0x0
	.amdhsa_kernel _ZN7rocprim17ROCPRIM_400000_NS6detail17trampoline_kernelINS0_14default_configENS1_25transform_config_selectorIsLb0EEEZNS1_14transform_implILb0ES3_S5_NS0_18transform_iteratorINS0_17counting_iteratorImlEEZNS1_24adjacent_difference_implIS3_Lb1ELb0EPKsPsN6thrust23THRUST_200600_302600_NS4plusIsEEEE10hipError_tPvRmT2_T3_mT4_P12ihipStream_tbEUlmE_sEESD_NS0_8identityIvEEEESI_SL_SM_mSN_SP_bEUlT_E_NS1_11comp_targetILNS1_3genE4ELNS1_11target_archE910ELNS1_3gpuE8ELNS1_3repE0EEENS1_30default_config_static_selectorELNS0_4arch9wavefront6targetE1EEEvT1_
		.amdhsa_group_segment_fixed_size 0
		.amdhsa_private_segment_fixed_size 0
		.amdhsa_kernarg_size 56
		.amdhsa_user_sgpr_count 2
		.amdhsa_user_sgpr_dispatch_ptr 0
		.amdhsa_user_sgpr_queue_ptr 0
		.amdhsa_user_sgpr_kernarg_segment_ptr 1
		.amdhsa_user_sgpr_dispatch_id 0
		.amdhsa_user_sgpr_kernarg_preload_length 0
		.amdhsa_user_sgpr_kernarg_preload_offset 0
		.amdhsa_user_sgpr_private_segment_size 0
		.amdhsa_uses_dynamic_stack 0
		.amdhsa_enable_private_segment 0
		.amdhsa_system_sgpr_workgroup_id_x 1
		.amdhsa_system_sgpr_workgroup_id_y 0
		.amdhsa_system_sgpr_workgroup_id_z 0
		.amdhsa_system_sgpr_workgroup_info 0
		.amdhsa_system_vgpr_workitem_id 0
		.amdhsa_next_free_vgpr 1
		.amdhsa_next_free_sgpr 0
		.amdhsa_accum_offset 4
		.amdhsa_reserve_vcc 0
		.amdhsa_float_round_mode_32 0
		.amdhsa_float_round_mode_16_64 0
		.amdhsa_float_denorm_mode_32 3
		.amdhsa_float_denorm_mode_16_64 3
		.amdhsa_dx10_clamp 1
		.amdhsa_ieee_mode 1
		.amdhsa_fp16_overflow 0
		.amdhsa_tg_split 0
		.amdhsa_exception_fp_ieee_invalid_op 0
		.amdhsa_exception_fp_denorm_src 0
		.amdhsa_exception_fp_ieee_div_zero 0
		.amdhsa_exception_fp_ieee_overflow 0
		.amdhsa_exception_fp_ieee_underflow 0
		.amdhsa_exception_fp_ieee_inexact 0
		.amdhsa_exception_int_div_zero 0
	.end_amdhsa_kernel
	.section	.text._ZN7rocprim17ROCPRIM_400000_NS6detail17trampoline_kernelINS0_14default_configENS1_25transform_config_selectorIsLb0EEEZNS1_14transform_implILb0ES3_S5_NS0_18transform_iteratorINS0_17counting_iteratorImlEEZNS1_24adjacent_difference_implIS3_Lb1ELb0EPKsPsN6thrust23THRUST_200600_302600_NS4plusIsEEEE10hipError_tPvRmT2_T3_mT4_P12ihipStream_tbEUlmE_sEESD_NS0_8identityIvEEEESI_SL_SM_mSN_SP_bEUlT_E_NS1_11comp_targetILNS1_3genE4ELNS1_11target_archE910ELNS1_3gpuE8ELNS1_3repE0EEENS1_30default_config_static_selectorELNS0_4arch9wavefront6targetE1EEEvT1_,"axG",@progbits,_ZN7rocprim17ROCPRIM_400000_NS6detail17trampoline_kernelINS0_14default_configENS1_25transform_config_selectorIsLb0EEEZNS1_14transform_implILb0ES3_S5_NS0_18transform_iteratorINS0_17counting_iteratorImlEEZNS1_24adjacent_difference_implIS3_Lb1ELb0EPKsPsN6thrust23THRUST_200600_302600_NS4plusIsEEEE10hipError_tPvRmT2_T3_mT4_P12ihipStream_tbEUlmE_sEESD_NS0_8identityIvEEEESI_SL_SM_mSN_SP_bEUlT_E_NS1_11comp_targetILNS1_3genE4ELNS1_11target_archE910ELNS1_3gpuE8ELNS1_3repE0EEENS1_30default_config_static_selectorELNS0_4arch9wavefront6targetE1EEEvT1_,comdat
.Lfunc_end526:
	.size	_ZN7rocprim17ROCPRIM_400000_NS6detail17trampoline_kernelINS0_14default_configENS1_25transform_config_selectorIsLb0EEEZNS1_14transform_implILb0ES3_S5_NS0_18transform_iteratorINS0_17counting_iteratorImlEEZNS1_24adjacent_difference_implIS3_Lb1ELb0EPKsPsN6thrust23THRUST_200600_302600_NS4plusIsEEEE10hipError_tPvRmT2_T3_mT4_P12ihipStream_tbEUlmE_sEESD_NS0_8identityIvEEEESI_SL_SM_mSN_SP_bEUlT_E_NS1_11comp_targetILNS1_3genE4ELNS1_11target_archE910ELNS1_3gpuE8ELNS1_3repE0EEENS1_30default_config_static_selectorELNS0_4arch9wavefront6targetE1EEEvT1_, .Lfunc_end526-_ZN7rocprim17ROCPRIM_400000_NS6detail17trampoline_kernelINS0_14default_configENS1_25transform_config_selectorIsLb0EEEZNS1_14transform_implILb0ES3_S5_NS0_18transform_iteratorINS0_17counting_iteratorImlEEZNS1_24adjacent_difference_implIS3_Lb1ELb0EPKsPsN6thrust23THRUST_200600_302600_NS4plusIsEEEE10hipError_tPvRmT2_T3_mT4_P12ihipStream_tbEUlmE_sEESD_NS0_8identityIvEEEESI_SL_SM_mSN_SP_bEUlT_E_NS1_11comp_targetILNS1_3genE4ELNS1_11target_archE910ELNS1_3gpuE8ELNS1_3repE0EEENS1_30default_config_static_selectorELNS0_4arch9wavefront6targetE1EEEvT1_
                                        ; -- End function
	.section	.AMDGPU.csdata,"",@progbits
; Kernel info:
; codeLenInByte = 0
; NumSgprs: 6
; NumVgprs: 0
; NumAgprs: 0
; TotalNumVgprs: 0
; ScratchSize: 0
; MemoryBound: 0
; FloatMode: 240
; IeeeMode: 1
; LDSByteSize: 0 bytes/workgroup (compile time only)
; SGPRBlocks: 0
; VGPRBlocks: 0
; NumSGPRsForWavesPerEU: 6
; NumVGPRsForWavesPerEU: 1
; AccumOffset: 4
; Occupancy: 8
; WaveLimiterHint : 0
; COMPUTE_PGM_RSRC2:SCRATCH_EN: 0
; COMPUTE_PGM_RSRC2:USER_SGPR: 2
; COMPUTE_PGM_RSRC2:TRAP_HANDLER: 0
; COMPUTE_PGM_RSRC2:TGID_X_EN: 1
; COMPUTE_PGM_RSRC2:TGID_Y_EN: 0
; COMPUTE_PGM_RSRC2:TGID_Z_EN: 0
; COMPUTE_PGM_RSRC2:TIDIG_COMP_CNT: 0
; COMPUTE_PGM_RSRC3_GFX90A:ACCUM_OFFSET: 0
; COMPUTE_PGM_RSRC3_GFX90A:TG_SPLIT: 0
	.section	.text._ZN7rocprim17ROCPRIM_400000_NS6detail17trampoline_kernelINS0_14default_configENS1_25transform_config_selectorIsLb0EEEZNS1_14transform_implILb0ES3_S5_NS0_18transform_iteratorINS0_17counting_iteratorImlEEZNS1_24adjacent_difference_implIS3_Lb1ELb0EPKsPsN6thrust23THRUST_200600_302600_NS4plusIsEEEE10hipError_tPvRmT2_T3_mT4_P12ihipStream_tbEUlmE_sEESD_NS0_8identityIvEEEESI_SL_SM_mSN_SP_bEUlT_E_NS1_11comp_targetILNS1_3genE3ELNS1_11target_archE908ELNS1_3gpuE7ELNS1_3repE0EEENS1_30default_config_static_selectorELNS0_4arch9wavefront6targetE1EEEvT1_,"axG",@progbits,_ZN7rocprim17ROCPRIM_400000_NS6detail17trampoline_kernelINS0_14default_configENS1_25transform_config_selectorIsLb0EEEZNS1_14transform_implILb0ES3_S5_NS0_18transform_iteratorINS0_17counting_iteratorImlEEZNS1_24adjacent_difference_implIS3_Lb1ELb0EPKsPsN6thrust23THRUST_200600_302600_NS4plusIsEEEE10hipError_tPvRmT2_T3_mT4_P12ihipStream_tbEUlmE_sEESD_NS0_8identityIvEEEESI_SL_SM_mSN_SP_bEUlT_E_NS1_11comp_targetILNS1_3genE3ELNS1_11target_archE908ELNS1_3gpuE7ELNS1_3repE0EEENS1_30default_config_static_selectorELNS0_4arch9wavefront6targetE1EEEvT1_,comdat
	.protected	_ZN7rocprim17ROCPRIM_400000_NS6detail17trampoline_kernelINS0_14default_configENS1_25transform_config_selectorIsLb0EEEZNS1_14transform_implILb0ES3_S5_NS0_18transform_iteratorINS0_17counting_iteratorImlEEZNS1_24adjacent_difference_implIS3_Lb1ELb0EPKsPsN6thrust23THRUST_200600_302600_NS4plusIsEEEE10hipError_tPvRmT2_T3_mT4_P12ihipStream_tbEUlmE_sEESD_NS0_8identityIvEEEESI_SL_SM_mSN_SP_bEUlT_E_NS1_11comp_targetILNS1_3genE3ELNS1_11target_archE908ELNS1_3gpuE7ELNS1_3repE0EEENS1_30default_config_static_selectorELNS0_4arch9wavefront6targetE1EEEvT1_ ; -- Begin function _ZN7rocprim17ROCPRIM_400000_NS6detail17trampoline_kernelINS0_14default_configENS1_25transform_config_selectorIsLb0EEEZNS1_14transform_implILb0ES3_S5_NS0_18transform_iteratorINS0_17counting_iteratorImlEEZNS1_24adjacent_difference_implIS3_Lb1ELb0EPKsPsN6thrust23THRUST_200600_302600_NS4plusIsEEEE10hipError_tPvRmT2_T3_mT4_P12ihipStream_tbEUlmE_sEESD_NS0_8identityIvEEEESI_SL_SM_mSN_SP_bEUlT_E_NS1_11comp_targetILNS1_3genE3ELNS1_11target_archE908ELNS1_3gpuE7ELNS1_3repE0EEENS1_30default_config_static_selectorELNS0_4arch9wavefront6targetE1EEEvT1_
	.globl	_ZN7rocprim17ROCPRIM_400000_NS6detail17trampoline_kernelINS0_14default_configENS1_25transform_config_selectorIsLb0EEEZNS1_14transform_implILb0ES3_S5_NS0_18transform_iteratorINS0_17counting_iteratorImlEEZNS1_24adjacent_difference_implIS3_Lb1ELb0EPKsPsN6thrust23THRUST_200600_302600_NS4plusIsEEEE10hipError_tPvRmT2_T3_mT4_P12ihipStream_tbEUlmE_sEESD_NS0_8identityIvEEEESI_SL_SM_mSN_SP_bEUlT_E_NS1_11comp_targetILNS1_3genE3ELNS1_11target_archE908ELNS1_3gpuE7ELNS1_3repE0EEENS1_30default_config_static_selectorELNS0_4arch9wavefront6targetE1EEEvT1_
	.p2align	8
	.type	_ZN7rocprim17ROCPRIM_400000_NS6detail17trampoline_kernelINS0_14default_configENS1_25transform_config_selectorIsLb0EEEZNS1_14transform_implILb0ES3_S5_NS0_18transform_iteratorINS0_17counting_iteratorImlEEZNS1_24adjacent_difference_implIS3_Lb1ELb0EPKsPsN6thrust23THRUST_200600_302600_NS4plusIsEEEE10hipError_tPvRmT2_T3_mT4_P12ihipStream_tbEUlmE_sEESD_NS0_8identityIvEEEESI_SL_SM_mSN_SP_bEUlT_E_NS1_11comp_targetILNS1_3genE3ELNS1_11target_archE908ELNS1_3gpuE7ELNS1_3repE0EEENS1_30default_config_static_selectorELNS0_4arch9wavefront6targetE1EEEvT1_,@function
_ZN7rocprim17ROCPRIM_400000_NS6detail17trampoline_kernelINS0_14default_configENS1_25transform_config_selectorIsLb0EEEZNS1_14transform_implILb0ES3_S5_NS0_18transform_iteratorINS0_17counting_iteratorImlEEZNS1_24adjacent_difference_implIS3_Lb1ELb0EPKsPsN6thrust23THRUST_200600_302600_NS4plusIsEEEE10hipError_tPvRmT2_T3_mT4_P12ihipStream_tbEUlmE_sEESD_NS0_8identityIvEEEESI_SL_SM_mSN_SP_bEUlT_E_NS1_11comp_targetILNS1_3genE3ELNS1_11target_archE908ELNS1_3gpuE7ELNS1_3repE0EEENS1_30default_config_static_selectorELNS0_4arch9wavefront6targetE1EEEvT1_: ; @_ZN7rocprim17ROCPRIM_400000_NS6detail17trampoline_kernelINS0_14default_configENS1_25transform_config_selectorIsLb0EEEZNS1_14transform_implILb0ES3_S5_NS0_18transform_iteratorINS0_17counting_iteratorImlEEZNS1_24adjacent_difference_implIS3_Lb1ELb0EPKsPsN6thrust23THRUST_200600_302600_NS4plusIsEEEE10hipError_tPvRmT2_T3_mT4_P12ihipStream_tbEUlmE_sEESD_NS0_8identityIvEEEESI_SL_SM_mSN_SP_bEUlT_E_NS1_11comp_targetILNS1_3genE3ELNS1_11target_archE908ELNS1_3gpuE7ELNS1_3repE0EEENS1_30default_config_static_selectorELNS0_4arch9wavefront6targetE1EEEvT1_
; %bb.0:
	.section	.rodata,"a",@progbits
	.p2align	6, 0x0
	.amdhsa_kernel _ZN7rocprim17ROCPRIM_400000_NS6detail17trampoline_kernelINS0_14default_configENS1_25transform_config_selectorIsLb0EEEZNS1_14transform_implILb0ES3_S5_NS0_18transform_iteratorINS0_17counting_iteratorImlEEZNS1_24adjacent_difference_implIS3_Lb1ELb0EPKsPsN6thrust23THRUST_200600_302600_NS4plusIsEEEE10hipError_tPvRmT2_T3_mT4_P12ihipStream_tbEUlmE_sEESD_NS0_8identityIvEEEESI_SL_SM_mSN_SP_bEUlT_E_NS1_11comp_targetILNS1_3genE3ELNS1_11target_archE908ELNS1_3gpuE7ELNS1_3repE0EEENS1_30default_config_static_selectorELNS0_4arch9wavefront6targetE1EEEvT1_
		.amdhsa_group_segment_fixed_size 0
		.amdhsa_private_segment_fixed_size 0
		.amdhsa_kernarg_size 56
		.amdhsa_user_sgpr_count 2
		.amdhsa_user_sgpr_dispatch_ptr 0
		.amdhsa_user_sgpr_queue_ptr 0
		.amdhsa_user_sgpr_kernarg_segment_ptr 1
		.amdhsa_user_sgpr_dispatch_id 0
		.amdhsa_user_sgpr_kernarg_preload_length 0
		.amdhsa_user_sgpr_kernarg_preload_offset 0
		.amdhsa_user_sgpr_private_segment_size 0
		.amdhsa_uses_dynamic_stack 0
		.amdhsa_enable_private_segment 0
		.amdhsa_system_sgpr_workgroup_id_x 1
		.amdhsa_system_sgpr_workgroup_id_y 0
		.amdhsa_system_sgpr_workgroup_id_z 0
		.amdhsa_system_sgpr_workgroup_info 0
		.amdhsa_system_vgpr_workitem_id 0
		.amdhsa_next_free_vgpr 1
		.amdhsa_next_free_sgpr 0
		.amdhsa_accum_offset 4
		.amdhsa_reserve_vcc 0
		.amdhsa_float_round_mode_32 0
		.amdhsa_float_round_mode_16_64 0
		.amdhsa_float_denorm_mode_32 3
		.amdhsa_float_denorm_mode_16_64 3
		.amdhsa_dx10_clamp 1
		.amdhsa_ieee_mode 1
		.amdhsa_fp16_overflow 0
		.amdhsa_tg_split 0
		.amdhsa_exception_fp_ieee_invalid_op 0
		.amdhsa_exception_fp_denorm_src 0
		.amdhsa_exception_fp_ieee_div_zero 0
		.amdhsa_exception_fp_ieee_overflow 0
		.amdhsa_exception_fp_ieee_underflow 0
		.amdhsa_exception_fp_ieee_inexact 0
		.amdhsa_exception_int_div_zero 0
	.end_amdhsa_kernel
	.section	.text._ZN7rocprim17ROCPRIM_400000_NS6detail17trampoline_kernelINS0_14default_configENS1_25transform_config_selectorIsLb0EEEZNS1_14transform_implILb0ES3_S5_NS0_18transform_iteratorINS0_17counting_iteratorImlEEZNS1_24adjacent_difference_implIS3_Lb1ELb0EPKsPsN6thrust23THRUST_200600_302600_NS4plusIsEEEE10hipError_tPvRmT2_T3_mT4_P12ihipStream_tbEUlmE_sEESD_NS0_8identityIvEEEESI_SL_SM_mSN_SP_bEUlT_E_NS1_11comp_targetILNS1_3genE3ELNS1_11target_archE908ELNS1_3gpuE7ELNS1_3repE0EEENS1_30default_config_static_selectorELNS0_4arch9wavefront6targetE1EEEvT1_,"axG",@progbits,_ZN7rocprim17ROCPRIM_400000_NS6detail17trampoline_kernelINS0_14default_configENS1_25transform_config_selectorIsLb0EEEZNS1_14transform_implILb0ES3_S5_NS0_18transform_iteratorINS0_17counting_iteratorImlEEZNS1_24adjacent_difference_implIS3_Lb1ELb0EPKsPsN6thrust23THRUST_200600_302600_NS4plusIsEEEE10hipError_tPvRmT2_T3_mT4_P12ihipStream_tbEUlmE_sEESD_NS0_8identityIvEEEESI_SL_SM_mSN_SP_bEUlT_E_NS1_11comp_targetILNS1_3genE3ELNS1_11target_archE908ELNS1_3gpuE7ELNS1_3repE0EEENS1_30default_config_static_selectorELNS0_4arch9wavefront6targetE1EEEvT1_,comdat
.Lfunc_end527:
	.size	_ZN7rocprim17ROCPRIM_400000_NS6detail17trampoline_kernelINS0_14default_configENS1_25transform_config_selectorIsLb0EEEZNS1_14transform_implILb0ES3_S5_NS0_18transform_iteratorINS0_17counting_iteratorImlEEZNS1_24adjacent_difference_implIS3_Lb1ELb0EPKsPsN6thrust23THRUST_200600_302600_NS4plusIsEEEE10hipError_tPvRmT2_T3_mT4_P12ihipStream_tbEUlmE_sEESD_NS0_8identityIvEEEESI_SL_SM_mSN_SP_bEUlT_E_NS1_11comp_targetILNS1_3genE3ELNS1_11target_archE908ELNS1_3gpuE7ELNS1_3repE0EEENS1_30default_config_static_selectorELNS0_4arch9wavefront6targetE1EEEvT1_, .Lfunc_end527-_ZN7rocprim17ROCPRIM_400000_NS6detail17trampoline_kernelINS0_14default_configENS1_25transform_config_selectorIsLb0EEEZNS1_14transform_implILb0ES3_S5_NS0_18transform_iteratorINS0_17counting_iteratorImlEEZNS1_24adjacent_difference_implIS3_Lb1ELb0EPKsPsN6thrust23THRUST_200600_302600_NS4plusIsEEEE10hipError_tPvRmT2_T3_mT4_P12ihipStream_tbEUlmE_sEESD_NS0_8identityIvEEEESI_SL_SM_mSN_SP_bEUlT_E_NS1_11comp_targetILNS1_3genE3ELNS1_11target_archE908ELNS1_3gpuE7ELNS1_3repE0EEENS1_30default_config_static_selectorELNS0_4arch9wavefront6targetE1EEEvT1_
                                        ; -- End function
	.section	.AMDGPU.csdata,"",@progbits
; Kernel info:
; codeLenInByte = 0
; NumSgprs: 6
; NumVgprs: 0
; NumAgprs: 0
; TotalNumVgprs: 0
; ScratchSize: 0
; MemoryBound: 0
; FloatMode: 240
; IeeeMode: 1
; LDSByteSize: 0 bytes/workgroup (compile time only)
; SGPRBlocks: 0
; VGPRBlocks: 0
; NumSGPRsForWavesPerEU: 6
; NumVGPRsForWavesPerEU: 1
; AccumOffset: 4
; Occupancy: 8
; WaveLimiterHint : 0
; COMPUTE_PGM_RSRC2:SCRATCH_EN: 0
; COMPUTE_PGM_RSRC2:USER_SGPR: 2
; COMPUTE_PGM_RSRC2:TRAP_HANDLER: 0
; COMPUTE_PGM_RSRC2:TGID_X_EN: 1
; COMPUTE_PGM_RSRC2:TGID_Y_EN: 0
; COMPUTE_PGM_RSRC2:TGID_Z_EN: 0
; COMPUTE_PGM_RSRC2:TIDIG_COMP_CNT: 0
; COMPUTE_PGM_RSRC3_GFX90A:ACCUM_OFFSET: 0
; COMPUTE_PGM_RSRC3_GFX90A:TG_SPLIT: 0
	.section	.text._ZN7rocprim17ROCPRIM_400000_NS6detail17trampoline_kernelINS0_14default_configENS1_25transform_config_selectorIsLb0EEEZNS1_14transform_implILb0ES3_S5_NS0_18transform_iteratorINS0_17counting_iteratorImlEEZNS1_24adjacent_difference_implIS3_Lb1ELb0EPKsPsN6thrust23THRUST_200600_302600_NS4plusIsEEEE10hipError_tPvRmT2_T3_mT4_P12ihipStream_tbEUlmE_sEESD_NS0_8identityIvEEEESI_SL_SM_mSN_SP_bEUlT_E_NS1_11comp_targetILNS1_3genE2ELNS1_11target_archE906ELNS1_3gpuE6ELNS1_3repE0EEENS1_30default_config_static_selectorELNS0_4arch9wavefront6targetE1EEEvT1_,"axG",@progbits,_ZN7rocprim17ROCPRIM_400000_NS6detail17trampoline_kernelINS0_14default_configENS1_25transform_config_selectorIsLb0EEEZNS1_14transform_implILb0ES3_S5_NS0_18transform_iteratorINS0_17counting_iteratorImlEEZNS1_24adjacent_difference_implIS3_Lb1ELb0EPKsPsN6thrust23THRUST_200600_302600_NS4plusIsEEEE10hipError_tPvRmT2_T3_mT4_P12ihipStream_tbEUlmE_sEESD_NS0_8identityIvEEEESI_SL_SM_mSN_SP_bEUlT_E_NS1_11comp_targetILNS1_3genE2ELNS1_11target_archE906ELNS1_3gpuE6ELNS1_3repE0EEENS1_30default_config_static_selectorELNS0_4arch9wavefront6targetE1EEEvT1_,comdat
	.protected	_ZN7rocprim17ROCPRIM_400000_NS6detail17trampoline_kernelINS0_14default_configENS1_25transform_config_selectorIsLb0EEEZNS1_14transform_implILb0ES3_S5_NS0_18transform_iteratorINS0_17counting_iteratorImlEEZNS1_24adjacent_difference_implIS3_Lb1ELb0EPKsPsN6thrust23THRUST_200600_302600_NS4plusIsEEEE10hipError_tPvRmT2_T3_mT4_P12ihipStream_tbEUlmE_sEESD_NS0_8identityIvEEEESI_SL_SM_mSN_SP_bEUlT_E_NS1_11comp_targetILNS1_3genE2ELNS1_11target_archE906ELNS1_3gpuE6ELNS1_3repE0EEENS1_30default_config_static_selectorELNS0_4arch9wavefront6targetE1EEEvT1_ ; -- Begin function _ZN7rocprim17ROCPRIM_400000_NS6detail17trampoline_kernelINS0_14default_configENS1_25transform_config_selectorIsLb0EEEZNS1_14transform_implILb0ES3_S5_NS0_18transform_iteratorINS0_17counting_iteratorImlEEZNS1_24adjacent_difference_implIS3_Lb1ELb0EPKsPsN6thrust23THRUST_200600_302600_NS4plusIsEEEE10hipError_tPvRmT2_T3_mT4_P12ihipStream_tbEUlmE_sEESD_NS0_8identityIvEEEESI_SL_SM_mSN_SP_bEUlT_E_NS1_11comp_targetILNS1_3genE2ELNS1_11target_archE906ELNS1_3gpuE6ELNS1_3repE0EEENS1_30default_config_static_selectorELNS0_4arch9wavefront6targetE1EEEvT1_
	.globl	_ZN7rocprim17ROCPRIM_400000_NS6detail17trampoline_kernelINS0_14default_configENS1_25transform_config_selectorIsLb0EEEZNS1_14transform_implILb0ES3_S5_NS0_18transform_iteratorINS0_17counting_iteratorImlEEZNS1_24adjacent_difference_implIS3_Lb1ELb0EPKsPsN6thrust23THRUST_200600_302600_NS4plusIsEEEE10hipError_tPvRmT2_T3_mT4_P12ihipStream_tbEUlmE_sEESD_NS0_8identityIvEEEESI_SL_SM_mSN_SP_bEUlT_E_NS1_11comp_targetILNS1_3genE2ELNS1_11target_archE906ELNS1_3gpuE6ELNS1_3repE0EEENS1_30default_config_static_selectorELNS0_4arch9wavefront6targetE1EEEvT1_
	.p2align	8
	.type	_ZN7rocprim17ROCPRIM_400000_NS6detail17trampoline_kernelINS0_14default_configENS1_25transform_config_selectorIsLb0EEEZNS1_14transform_implILb0ES3_S5_NS0_18transform_iteratorINS0_17counting_iteratorImlEEZNS1_24adjacent_difference_implIS3_Lb1ELb0EPKsPsN6thrust23THRUST_200600_302600_NS4plusIsEEEE10hipError_tPvRmT2_T3_mT4_P12ihipStream_tbEUlmE_sEESD_NS0_8identityIvEEEESI_SL_SM_mSN_SP_bEUlT_E_NS1_11comp_targetILNS1_3genE2ELNS1_11target_archE906ELNS1_3gpuE6ELNS1_3repE0EEENS1_30default_config_static_selectorELNS0_4arch9wavefront6targetE1EEEvT1_,@function
_ZN7rocprim17ROCPRIM_400000_NS6detail17trampoline_kernelINS0_14default_configENS1_25transform_config_selectorIsLb0EEEZNS1_14transform_implILb0ES3_S5_NS0_18transform_iteratorINS0_17counting_iteratorImlEEZNS1_24adjacent_difference_implIS3_Lb1ELb0EPKsPsN6thrust23THRUST_200600_302600_NS4plusIsEEEE10hipError_tPvRmT2_T3_mT4_P12ihipStream_tbEUlmE_sEESD_NS0_8identityIvEEEESI_SL_SM_mSN_SP_bEUlT_E_NS1_11comp_targetILNS1_3genE2ELNS1_11target_archE906ELNS1_3gpuE6ELNS1_3repE0EEENS1_30default_config_static_selectorELNS0_4arch9wavefront6targetE1EEEvT1_: ; @_ZN7rocprim17ROCPRIM_400000_NS6detail17trampoline_kernelINS0_14default_configENS1_25transform_config_selectorIsLb0EEEZNS1_14transform_implILb0ES3_S5_NS0_18transform_iteratorINS0_17counting_iteratorImlEEZNS1_24adjacent_difference_implIS3_Lb1ELb0EPKsPsN6thrust23THRUST_200600_302600_NS4plusIsEEEE10hipError_tPvRmT2_T3_mT4_P12ihipStream_tbEUlmE_sEESD_NS0_8identityIvEEEESI_SL_SM_mSN_SP_bEUlT_E_NS1_11comp_targetILNS1_3genE2ELNS1_11target_archE906ELNS1_3gpuE6ELNS1_3repE0EEENS1_30default_config_static_selectorELNS0_4arch9wavefront6targetE1EEEvT1_
; %bb.0:
	.section	.rodata,"a",@progbits
	.p2align	6, 0x0
	.amdhsa_kernel _ZN7rocprim17ROCPRIM_400000_NS6detail17trampoline_kernelINS0_14default_configENS1_25transform_config_selectorIsLb0EEEZNS1_14transform_implILb0ES3_S5_NS0_18transform_iteratorINS0_17counting_iteratorImlEEZNS1_24adjacent_difference_implIS3_Lb1ELb0EPKsPsN6thrust23THRUST_200600_302600_NS4plusIsEEEE10hipError_tPvRmT2_T3_mT4_P12ihipStream_tbEUlmE_sEESD_NS0_8identityIvEEEESI_SL_SM_mSN_SP_bEUlT_E_NS1_11comp_targetILNS1_3genE2ELNS1_11target_archE906ELNS1_3gpuE6ELNS1_3repE0EEENS1_30default_config_static_selectorELNS0_4arch9wavefront6targetE1EEEvT1_
		.amdhsa_group_segment_fixed_size 0
		.amdhsa_private_segment_fixed_size 0
		.amdhsa_kernarg_size 56
		.amdhsa_user_sgpr_count 2
		.amdhsa_user_sgpr_dispatch_ptr 0
		.amdhsa_user_sgpr_queue_ptr 0
		.amdhsa_user_sgpr_kernarg_segment_ptr 1
		.amdhsa_user_sgpr_dispatch_id 0
		.amdhsa_user_sgpr_kernarg_preload_length 0
		.amdhsa_user_sgpr_kernarg_preload_offset 0
		.amdhsa_user_sgpr_private_segment_size 0
		.amdhsa_uses_dynamic_stack 0
		.amdhsa_enable_private_segment 0
		.amdhsa_system_sgpr_workgroup_id_x 1
		.amdhsa_system_sgpr_workgroup_id_y 0
		.amdhsa_system_sgpr_workgroup_id_z 0
		.amdhsa_system_sgpr_workgroup_info 0
		.amdhsa_system_vgpr_workitem_id 0
		.amdhsa_next_free_vgpr 1
		.amdhsa_next_free_sgpr 0
		.amdhsa_accum_offset 4
		.amdhsa_reserve_vcc 0
		.amdhsa_float_round_mode_32 0
		.amdhsa_float_round_mode_16_64 0
		.amdhsa_float_denorm_mode_32 3
		.amdhsa_float_denorm_mode_16_64 3
		.amdhsa_dx10_clamp 1
		.amdhsa_ieee_mode 1
		.amdhsa_fp16_overflow 0
		.amdhsa_tg_split 0
		.amdhsa_exception_fp_ieee_invalid_op 0
		.amdhsa_exception_fp_denorm_src 0
		.amdhsa_exception_fp_ieee_div_zero 0
		.amdhsa_exception_fp_ieee_overflow 0
		.amdhsa_exception_fp_ieee_underflow 0
		.amdhsa_exception_fp_ieee_inexact 0
		.amdhsa_exception_int_div_zero 0
	.end_amdhsa_kernel
	.section	.text._ZN7rocprim17ROCPRIM_400000_NS6detail17trampoline_kernelINS0_14default_configENS1_25transform_config_selectorIsLb0EEEZNS1_14transform_implILb0ES3_S5_NS0_18transform_iteratorINS0_17counting_iteratorImlEEZNS1_24adjacent_difference_implIS3_Lb1ELb0EPKsPsN6thrust23THRUST_200600_302600_NS4plusIsEEEE10hipError_tPvRmT2_T3_mT4_P12ihipStream_tbEUlmE_sEESD_NS0_8identityIvEEEESI_SL_SM_mSN_SP_bEUlT_E_NS1_11comp_targetILNS1_3genE2ELNS1_11target_archE906ELNS1_3gpuE6ELNS1_3repE0EEENS1_30default_config_static_selectorELNS0_4arch9wavefront6targetE1EEEvT1_,"axG",@progbits,_ZN7rocprim17ROCPRIM_400000_NS6detail17trampoline_kernelINS0_14default_configENS1_25transform_config_selectorIsLb0EEEZNS1_14transform_implILb0ES3_S5_NS0_18transform_iteratorINS0_17counting_iteratorImlEEZNS1_24adjacent_difference_implIS3_Lb1ELb0EPKsPsN6thrust23THRUST_200600_302600_NS4plusIsEEEE10hipError_tPvRmT2_T3_mT4_P12ihipStream_tbEUlmE_sEESD_NS0_8identityIvEEEESI_SL_SM_mSN_SP_bEUlT_E_NS1_11comp_targetILNS1_3genE2ELNS1_11target_archE906ELNS1_3gpuE6ELNS1_3repE0EEENS1_30default_config_static_selectorELNS0_4arch9wavefront6targetE1EEEvT1_,comdat
.Lfunc_end528:
	.size	_ZN7rocprim17ROCPRIM_400000_NS6detail17trampoline_kernelINS0_14default_configENS1_25transform_config_selectorIsLb0EEEZNS1_14transform_implILb0ES3_S5_NS0_18transform_iteratorINS0_17counting_iteratorImlEEZNS1_24adjacent_difference_implIS3_Lb1ELb0EPKsPsN6thrust23THRUST_200600_302600_NS4plusIsEEEE10hipError_tPvRmT2_T3_mT4_P12ihipStream_tbEUlmE_sEESD_NS0_8identityIvEEEESI_SL_SM_mSN_SP_bEUlT_E_NS1_11comp_targetILNS1_3genE2ELNS1_11target_archE906ELNS1_3gpuE6ELNS1_3repE0EEENS1_30default_config_static_selectorELNS0_4arch9wavefront6targetE1EEEvT1_, .Lfunc_end528-_ZN7rocprim17ROCPRIM_400000_NS6detail17trampoline_kernelINS0_14default_configENS1_25transform_config_selectorIsLb0EEEZNS1_14transform_implILb0ES3_S5_NS0_18transform_iteratorINS0_17counting_iteratorImlEEZNS1_24adjacent_difference_implIS3_Lb1ELb0EPKsPsN6thrust23THRUST_200600_302600_NS4plusIsEEEE10hipError_tPvRmT2_T3_mT4_P12ihipStream_tbEUlmE_sEESD_NS0_8identityIvEEEESI_SL_SM_mSN_SP_bEUlT_E_NS1_11comp_targetILNS1_3genE2ELNS1_11target_archE906ELNS1_3gpuE6ELNS1_3repE0EEENS1_30default_config_static_selectorELNS0_4arch9wavefront6targetE1EEEvT1_
                                        ; -- End function
	.section	.AMDGPU.csdata,"",@progbits
; Kernel info:
; codeLenInByte = 0
; NumSgprs: 6
; NumVgprs: 0
; NumAgprs: 0
; TotalNumVgprs: 0
; ScratchSize: 0
; MemoryBound: 0
; FloatMode: 240
; IeeeMode: 1
; LDSByteSize: 0 bytes/workgroup (compile time only)
; SGPRBlocks: 0
; VGPRBlocks: 0
; NumSGPRsForWavesPerEU: 6
; NumVGPRsForWavesPerEU: 1
; AccumOffset: 4
; Occupancy: 8
; WaveLimiterHint : 0
; COMPUTE_PGM_RSRC2:SCRATCH_EN: 0
; COMPUTE_PGM_RSRC2:USER_SGPR: 2
; COMPUTE_PGM_RSRC2:TRAP_HANDLER: 0
; COMPUTE_PGM_RSRC2:TGID_X_EN: 1
; COMPUTE_PGM_RSRC2:TGID_Y_EN: 0
; COMPUTE_PGM_RSRC2:TGID_Z_EN: 0
; COMPUTE_PGM_RSRC2:TIDIG_COMP_CNT: 0
; COMPUTE_PGM_RSRC3_GFX90A:ACCUM_OFFSET: 0
; COMPUTE_PGM_RSRC3_GFX90A:TG_SPLIT: 0
	.section	.text._ZN7rocprim17ROCPRIM_400000_NS6detail17trampoline_kernelINS0_14default_configENS1_25transform_config_selectorIsLb0EEEZNS1_14transform_implILb0ES3_S5_NS0_18transform_iteratorINS0_17counting_iteratorImlEEZNS1_24adjacent_difference_implIS3_Lb1ELb0EPKsPsN6thrust23THRUST_200600_302600_NS4plusIsEEEE10hipError_tPvRmT2_T3_mT4_P12ihipStream_tbEUlmE_sEESD_NS0_8identityIvEEEESI_SL_SM_mSN_SP_bEUlT_E_NS1_11comp_targetILNS1_3genE10ELNS1_11target_archE1201ELNS1_3gpuE5ELNS1_3repE0EEENS1_30default_config_static_selectorELNS0_4arch9wavefront6targetE1EEEvT1_,"axG",@progbits,_ZN7rocprim17ROCPRIM_400000_NS6detail17trampoline_kernelINS0_14default_configENS1_25transform_config_selectorIsLb0EEEZNS1_14transform_implILb0ES3_S5_NS0_18transform_iteratorINS0_17counting_iteratorImlEEZNS1_24adjacent_difference_implIS3_Lb1ELb0EPKsPsN6thrust23THRUST_200600_302600_NS4plusIsEEEE10hipError_tPvRmT2_T3_mT4_P12ihipStream_tbEUlmE_sEESD_NS0_8identityIvEEEESI_SL_SM_mSN_SP_bEUlT_E_NS1_11comp_targetILNS1_3genE10ELNS1_11target_archE1201ELNS1_3gpuE5ELNS1_3repE0EEENS1_30default_config_static_selectorELNS0_4arch9wavefront6targetE1EEEvT1_,comdat
	.protected	_ZN7rocprim17ROCPRIM_400000_NS6detail17trampoline_kernelINS0_14default_configENS1_25transform_config_selectorIsLb0EEEZNS1_14transform_implILb0ES3_S5_NS0_18transform_iteratorINS0_17counting_iteratorImlEEZNS1_24adjacent_difference_implIS3_Lb1ELb0EPKsPsN6thrust23THRUST_200600_302600_NS4plusIsEEEE10hipError_tPvRmT2_T3_mT4_P12ihipStream_tbEUlmE_sEESD_NS0_8identityIvEEEESI_SL_SM_mSN_SP_bEUlT_E_NS1_11comp_targetILNS1_3genE10ELNS1_11target_archE1201ELNS1_3gpuE5ELNS1_3repE0EEENS1_30default_config_static_selectorELNS0_4arch9wavefront6targetE1EEEvT1_ ; -- Begin function _ZN7rocprim17ROCPRIM_400000_NS6detail17trampoline_kernelINS0_14default_configENS1_25transform_config_selectorIsLb0EEEZNS1_14transform_implILb0ES3_S5_NS0_18transform_iteratorINS0_17counting_iteratorImlEEZNS1_24adjacent_difference_implIS3_Lb1ELb0EPKsPsN6thrust23THRUST_200600_302600_NS4plusIsEEEE10hipError_tPvRmT2_T3_mT4_P12ihipStream_tbEUlmE_sEESD_NS0_8identityIvEEEESI_SL_SM_mSN_SP_bEUlT_E_NS1_11comp_targetILNS1_3genE10ELNS1_11target_archE1201ELNS1_3gpuE5ELNS1_3repE0EEENS1_30default_config_static_selectorELNS0_4arch9wavefront6targetE1EEEvT1_
	.globl	_ZN7rocprim17ROCPRIM_400000_NS6detail17trampoline_kernelINS0_14default_configENS1_25transform_config_selectorIsLb0EEEZNS1_14transform_implILb0ES3_S5_NS0_18transform_iteratorINS0_17counting_iteratorImlEEZNS1_24adjacent_difference_implIS3_Lb1ELb0EPKsPsN6thrust23THRUST_200600_302600_NS4plusIsEEEE10hipError_tPvRmT2_T3_mT4_P12ihipStream_tbEUlmE_sEESD_NS0_8identityIvEEEESI_SL_SM_mSN_SP_bEUlT_E_NS1_11comp_targetILNS1_3genE10ELNS1_11target_archE1201ELNS1_3gpuE5ELNS1_3repE0EEENS1_30default_config_static_selectorELNS0_4arch9wavefront6targetE1EEEvT1_
	.p2align	8
	.type	_ZN7rocprim17ROCPRIM_400000_NS6detail17trampoline_kernelINS0_14default_configENS1_25transform_config_selectorIsLb0EEEZNS1_14transform_implILb0ES3_S5_NS0_18transform_iteratorINS0_17counting_iteratorImlEEZNS1_24adjacent_difference_implIS3_Lb1ELb0EPKsPsN6thrust23THRUST_200600_302600_NS4plusIsEEEE10hipError_tPvRmT2_T3_mT4_P12ihipStream_tbEUlmE_sEESD_NS0_8identityIvEEEESI_SL_SM_mSN_SP_bEUlT_E_NS1_11comp_targetILNS1_3genE10ELNS1_11target_archE1201ELNS1_3gpuE5ELNS1_3repE0EEENS1_30default_config_static_selectorELNS0_4arch9wavefront6targetE1EEEvT1_,@function
_ZN7rocprim17ROCPRIM_400000_NS6detail17trampoline_kernelINS0_14default_configENS1_25transform_config_selectorIsLb0EEEZNS1_14transform_implILb0ES3_S5_NS0_18transform_iteratorINS0_17counting_iteratorImlEEZNS1_24adjacent_difference_implIS3_Lb1ELb0EPKsPsN6thrust23THRUST_200600_302600_NS4plusIsEEEE10hipError_tPvRmT2_T3_mT4_P12ihipStream_tbEUlmE_sEESD_NS0_8identityIvEEEESI_SL_SM_mSN_SP_bEUlT_E_NS1_11comp_targetILNS1_3genE10ELNS1_11target_archE1201ELNS1_3gpuE5ELNS1_3repE0EEENS1_30default_config_static_selectorELNS0_4arch9wavefront6targetE1EEEvT1_: ; @_ZN7rocprim17ROCPRIM_400000_NS6detail17trampoline_kernelINS0_14default_configENS1_25transform_config_selectorIsLb0EEEZNS1_14transform_implILb0ES3_S5_NS0_18transform_iteratorINS0_17counting_iteratorImlEEZNS1_24adjacent_difference_implIS3_Lb1ELb0EPKsPsN6thrust23THRUST_200600_302600_NS4plusIsEEEE10hipError_tPvRmT2_T3_mT4_P12ihipStream_tbEUlmE_sEESD_NS0_8identityIvEEEESI_SL_SM_mSN_SP_bEUlT_E_NS1_11comp_targetILNS1_3genE10ELNS1_11target_archE1201ELNS1_3gpuE5ELNS1_3repE0EEENS1_30default_config_static_selectorELNS0_4arch9wavefront6targetE1EEEvT1_
; %bb.0:
	.section	.rodata,"a",@progbits
	.p2align	6, 0x0
	.amdhsa_kernel _ZN7rocprim17ROCPRIM_400000_NS6detail17trampoline_kernelINS0_14default_configENS1_25transform_config_selectorIsLb0EEEZNS1_14transform_implILb0ES3_S5_NS0_18transform_iteratorINS0_17counting_iteratorImlEEZNS1_24adjacent_difference_implIS3_Lb1ELb0EPKsPsN6thrust23THRUST_200600_302600_NS4plusIsEEEE10hipError_tPvRmT2_T3_mT4_P12ihipStream_tbEUlmE_sEESD_NS0_8identityIvEEEESI_SL_SM_mSN_SP_bEUlT_E_NS1_11comp_targetILNS1_3genE10ELNS1_11target_archE1201ELNS1_3gpuE5ELNS1_3repE0EEENS1_30default_config_static_selectorELNS0_4arch9wavefront6targetE1EEEvT1_
		.amdhsa_group_segment_fixed_size 0
		.amdhsa_private_segment_fixed_size 0
		.amdhsa_kernarg_size 56
		.amdhsa_user_sgpr_count 2
		.amdhsa_user_sgpr_dispatch_ptr 0
		.amdhsa_user_sgpr_queue_ptr 0
		.amdhsa_user_sgpr_kernarg_segment_ptr 1
		.amdhsa_user_sgpr_dispatch_id 0
		.amdhsa_user_sgpr_kernarg_preload_length 0
		.amdhsa_user_sgpr_kernarg_preload_offset 0
		.amdhsa_user_sgpr_private_segment_size 0
		.amdhsa_uses_dynamic_stack 0
		.amdhsa_enable_private_segment 0
		.amdhsa_system_sgpr_workgroup_id_x 1
		.amdhsa_system_sgpr_workgroup_id_y 0
		.amdhsa_system_sgpr_workgroup_id_z 0
		.amdhsa_system_sgpr_workgroup_info 0
		.amdhsa_system_vgpr_workitem_id 0
		.amdhsa_next_free_vgpr 1
		.amdhsa_next_free_sgpr 0
		.amdhsa_accum_offset 4
		.amdhsa_reserve_vcc 0
		.amdhsa_float_round_mode_32 0
		.amdhsa_float_round_mode_16_64 0
		.amdhsa_float_denorm_mode_32 3
		.amdhsa_float_denorm_mode_16_64 3
		.amdhsa_dx10_clamp 1
		.amdhsa_ieee_mode 1
		.amdhsa_fp16_overflow 0
		.amdhsa_tg_split 0
		.amdhsa_exception_fp_ieee_invalid_op 0
		.amdhsa_exception_fp_denorm_src 0
		.amdhsa_exception_fp_ieee_div_zero 0
		.amdhsa_exception_fp_ieee_overflow 0
		.amdhsa_exception_fp_ieee_underflow 0
		.amdhsa_exception_fp_ieee_inexact 0
		.amdhsa_exception_int_div_zero 0
	.end_amdhsa_kernel
	.section	.text._ZN7rocprim17ROCPRIM_400000_NS6detail17trampoline_kernelINS0_14default_configENS1_25transform_config_selectorIsLb0EEEZNS1_14transform_implILb0ES3_S5_NS0_18transform_iteratorINS0_17counting_iteratorImlEEZNS1_24adjacent_difference_implIS3_Lb1ELb0EPKsPsN6thrust23THRUST_200600_302600_NS4plusIsEEEE10hipError_tPvRmT2_T3_mT4_P12ihipStream_tbEUlmE_sEESD_NS0_8identityIvEEEESI_SL_SM_mSN_SP_bEUlT_E_NS1_11comp_targetILNS1_3genE10ELNS1_11target_archE1201ELNS1_3gpuE5ELNS1_3repE0EEENS1_30default_config_static_selectorELNS0_4arch9wavefront6targetE1EEEvT1_,"axG",@progbits,_ZN7rocprim17ROCPRIM_400000_NS6detail17trampoline_kernelINS0_14default_configENS1_25transform_config_selectorIsLb0EEEZNS1_14transform_implILb0ES3_S5_NS0_18transform_iteratorINS0_17counting_iteratorImlEEZNS1_24adjacent_difference_implIS3_Lb1ELb0EPKsPsN6thrust23THRUST_200600_302600_NS4plusIsEEEE10hipError_tPvRmT2_T3_mT4_P12ihipStream_tbEUlmE_sEESD_NS0_8identityIvEEEESI_SL_SM_mSN_SP_bEUlT_E_NS1_11comp_targetILNS1_3genE10ELNS1_11target_archE1201ELNS1_3gpuE5ELNS1_3repE0EEENS1_30default_config_static_selectorELNS0_4arch9wavefront6targetE1EEEvT1_,comdat
.Lfunc_end529:
	.size	_ZN7rocprim17ROCPRIM_400000_NS6detail17trampoline_kernelINS0_14default_configENS1_25transform_config_selectorIsLb0EEEZNS1_14transform_implILb0ES3_S5_NS0_18transform_iteratorINS0_17counting_iteratorImlEEZNS1_24adjacent_difference_implIS3_Lb1ELb0EPKsPsN6thrust23THRUST_200600_302600_NS4plusIsEEEE10hipError_tPvRmT2_T3_mT4_P12ihipStream_tbEUlmE_sEESD_NS0_8identityIvEEEESI_SL_SM_mSN_SP_bEUlT_E_NS1_11comp_targetILNS1_3genE10ELNS1_11target_archE1201ELNS1_3gpuE5ELNS1_3repE0EEENS1_30default_config_static_selectorELNS0_4arch9wavefront6targetE1EEEvT1_, .Lfunc_end529-_ZN7rocprim17ROCPRIM_400000_NS6detail17trampoline_kernelINS0_14default_configENS1_25transform_config_selectorIsLb0EEEZNS1_14transform_implILb0ES3_S5_NS0_18transform_iteratorINS0_17counting_iteratorImlEEZNS1_24adjacent_difference_implIS3_Lb1ELb0EPKsPsN6thrust23THRUST_200600_302600_NS4plusIsEEEE10hipError_tPvRmT2_T3_mT4_P12ihipStream_tbEUlmE_sEESD_NS0_8identityIvEEEESI_SL_SM_mSN_SP_bEUlT_E_NS1_11comp_targetILNS1_3genE10ELNS1_11target_archE1201ELNS1_3gpuE5ELNS1_3repE0EEENS1_30default_config_static_selectorELNS0_4arch9wavefront6targetE1EEEvT1_
                                        ; -- End function
	.section	.AMDGPU.csdata,"",@progbits
; Kernel info:
; codeLenInByte = 0
; NumSgprs: 6
; NumVgprs: 0
; NumAgprs: 0
; TotalNumVgprs: 0
; ScratchSize: 0
; MemoryBound: 0
; FloatMode: 240
; IeeeMode: 1
; LDSByteSize: 0 bytes/workgroup (compile time only)
; SGPRBlocks: 0
; VGPRBlocks: 0
; NumSGPRsForWavesPerEU: 6
; NumVGPRsForWavesPerEU: 1
; AccumOffset: 4
; Occupancy: 8
; WaveLimiterHint : 0
; COMPUTE_PGM_RSRC2:SCRATCH_EN: 0
; COMPUTE_PGM_RSRC2:USER_SGPR: 2
; COMPUTE_PGM_RSRC2:TRAP_HANDLER: 0
; COMPUTE_PGM_RSRC2:TGID_X_EN: 1
; COMPUTE_PGM_RSRC2:TGID_Y_EN: 0
; COMPUTE_PGM_RSRC2:TGID_Z_EN: 0
; COMPUTE_PGM_RSRC2:TIDIG_COMP_CNT: 0
; COMPUTE_PGM_RSRC3_GFX90A:ACCUM_OFFSET: 0
; COMPUTE_PGM_RSRC3_GFX90A:TG_SPLIT: 0
	.section	.text._ZN7rocprim17ROCPRIM_400000_NS6detail17trampoline_kernelINS0_14default_configENS1_25transform_config_selectorIsLb0EEEZNS1_14transform_implILb0ES3_S5_NS0_18transform_iteratorINS0_17counting_iteratorImlEEZNS1_24adjacent_difference_implIS3_Lb1ELb0EPKsPsN6thrust23THRUST_200600_302600_NS4plusIsEEEE10hipError_tPvRmT2_T3_mT4_P12ihipStream_tbEUlmE_sEESD_NS0_8identityIvEEEESI_SL_SM_mSN_SP_bEUlT_E_NS1_11comp_targetILNS1_3genE10ELNS1_11target_archE1200ELNS1_3gpuE4ELNS1_3repE0EEENS1_30default_config_static_selectorELNS0_4arch9wavefront6targetE1EEEvT1_,"axG",@progbits,_ZN7rocprim17ROCPRIM_400000_NS6detail17trampoline_kernelINS0_14default_configENS1_25transform_config_selectorIsLb0EEEZNS1_14transform_implILb0ES3_S5_NS0_18transform_iteratorINS0_17counting_iteratorImlEEZNS1_24adjacent_difference_implIS3_Lb1ELb0EPKsPsN6thrust23THRUST_200600_302600_NS4plusIsEEEE10hipError_tPvRmT2_T3_mT4_P12ihipStream_tbEUlmE_sEESD_NS0_8identityIvEEEESI_SL_SM_mSN_SP_bEUlT_E_NS1_11comp_targetILNS1_3genE10ELNS1_11target_archE1200ELNS1_3gpuE4ELNS1_3repE0EEENS1_30default_config_static_selectorELNS0_4arch9wavefront6targetE1EEEvT1_,comdat
	.protected	_ZN7rocprim17ROCPRIM_400000_NS6detail17trampoline_kernelINS0_14default_configENS1_25transform_config_selectorIsLb0EEEZNS1_14transform_implILb0ES3_S5_NS0_18transform_iteratorINS0_17counting_iteratorImlEEZNS1_24adjacent_difference_implIS3_Lb1ELb0EPKsPsN6thrust23THRUST_200600_302600_NS4plusIsEEEE10hipError_tPvRmT2_T3_mT4_P12ihipStream_tbEUlmE_sEESD_NS0_8identityIvEEEESI_SL_SM_mSN_SP_bEUlT_E_NS1_11comp_targetILNS1_3genE10ELNS1_11target_archE1200ELNS1_3gpuE4ELNS1_3repE0EEENS1_30default_config_static_selectorELNS0_4arch9wavefront6targetE1EEEvT1_ ; -- Begin function _ZN7rocprim17ROCPRIM_400000_NS6detail17trampoline_kernelINS0_14default_configENS1_25transform_config_selectorIsLb0EEEZNS1_14transform_implILb0ES3_S5_NS0_18transform_iteratorINS0_17counting_iteratorImlEEZNS1_24adjacent_difference_implIS3_Lb1ELb0EPKsPsN6thrust23THRUST_200600_302600_NS4plusIsEEEE10hipError_tPvRmT2_T3_mT4_P12ihipStream_tbEUlmE_sEESD_NS0_8identityIvEEEESI_SL_SM_mSN_SP_bEUlT_E_NS1_11comp_targetILNS1_3genE10ELNS1_11target_archE1200ELNS1_3gpuE4ELNS1_3repE0EEENS1_30default_config_static_selectorELNS0_4arch9wavefront6targetE1EEEvT1_
	.globl	_ZN7rocprim17ROCPRIM_400000_NS6detail17trampoline_kernelINS0_14default_configENS1_25transform_config_selectorIsLb0EEEZNS1_14transform_implILb0ES3_S5_NS0_18transform_iteratorINS0_17counting_iteratorImlEEZNS1_24adjacent_difference_implIS3_Lb1ELb0EPKsPsN6thrust23THRUST_200600_302600_NS4plusIsEEEE10hipError_tPvRmT2_T3_mT4_P12ihipStream_tbEUlmE_sEESD_NS0_8identityIvEEEESI_SL_SM_mSN_SP_bEUlT_E_NS1_11comp_targetILNS1_3genE10ELNS1_11target_archE1200ELNS1_3gpuE4ELNS1_3repE0EEENS1_30default_config_static_selectorELNS0_4arch9wavefront6targetE1EEEvT1_
	.p2align	8
	.type	_ZN7rocprim17ROCPRIM_400000_NS6detail17trampoline_kernelINS0_14default_configENS1_25transform_config_selectorIsLb0EEEZNS1_14transform_implILb0ES3_S5_NS0_18transform_iteratorINS0_17counting_iteratorImlEEZNS1_24adjacent_difference_implIS3_Lb1ELb0EPKsPsN6thrust23THRUST_200600_302600_NS4plusIsEEEE10hipError_tPvRmT2_T3_mT4_P12ihipStream_tbEUlmE_sEESD_NS0_8identityIvEEEESI_SL_SM_mSN_SP_bEUlT_E_NS1_11comp_targetILNS1_3genE10ELNS1_11target_archE1200ELNS1_3gpuE4ELNS1_3repE0EEENS1_30default_config_static_selectorELNS0_4arch9wavefront6targetE1EEEvT1_,@function
_ZN7rocprim17ROCPRIM_400000_NS6detail17trampoline_kernelINS0_14default_configENS1_25transform_config_selectorIsLb0EEEZNS1_14transform_implILb0ES3_S5_NS0_18transform_iteratorINS0_17counting_iteratorImlEEZNS1_24adjacent_difference_implIS3_Lb1ELb0EPKsPsN6thrust23THRUST_200600_302600_NS4plusIsEEEE10hipError_tPvRmT2_T3_mT4_P12ihipStream_tbEUlmE_sEESD_NS0_8identityIvEEEESI_SL_SM_mSN_SP_bEUlT_E_NS1_11comp_targetILNS1_3genE10ELNS1_11target_archE1200ELNS1_3gpuE4ELNS1_3repE0EEENS1_30default_config_static_selectorELNS0_4arch9wavefront6targetE1EEEvT1_: ; @_ZN7rocprim17ROCPRIM_400000_NS6detail17trampoline_kernelINS0_14default_configENS1_25transform_config_selectorIsLb0EEEZNS1_14transform_implILb0ES3_S5_NS0_18transform_iteratorINS0_17counting_iteratorImlEEZNS1_24adjacent_difference_implIS3_Lb1ELb0EPKsPsN6thrust23THRUST_200600_302600_NS4plusIsEEEE10hipError_tPvRmT2_T3_mT4_P12ihipStream_tbEUlmE_sEESD_NS0_8identityIvEEEESI_SL_SM_mSN_SP_bEUlT_E_NS1_11comp_targetILNS1_3genE10ELNS1_11target_archE1200ELNS1_3gpuE4ELNS1_3repE0EEENS1_30default_config_static_selectorELNS0_4arch9wavefront6targetE1EEEvT1_
; %bb.0:
	.section	.rodata,"a",@progbits
	.p2align	6, 0x0
	.amdhsa_kernel _ZN7rocprim17ROCPRIM_400000_NS6detail17trampoline_kernelINS0_14default_configENS1_25transform_config_selectorIsLb0EEEZNS1_14transform_implILb0ES3_S5_NS0_18transform_iteratorINS0_17counting_iteratorImlEEZNS1_24adjacent_difference_implIS3_Lb1ELb0EPKsPsN6thrust23THRUST_200600_302600_NS4plusIsEEEE10hipError_tPvRmT2_T3_mT4_P12ihipStream_tbEUlmE_sEESD_NS0_8identityIvEEEESI_SL_SM_mSN_SP_bEUlT_E_NS1_11comp_targetILNS1_3genE10ELNS1_11target_archE1200ELNS1_3gpuE4ELNS1_3repE0EEENS1_30default_config_static_selectorELNS0_4arch9wavefront6targetE1EEEvT1_
		.amdhsa_group_segment_fixed_size 0
		.amdhsa_private_segment_fixed_size 0
		.amdhsa_kernarg_size 56
		.amdhsa_user_sgpr_count 2
		.amdhsa_user_sgpr_dispatch_ptr 0
		.amdhsa_user_sgpr_queue_ptr 0
		.amdhsa_user_sgpr_kernarg_segment_ptr 1
		.amdhsa_user_sgpr_dispatch_id 0
		.amdhsa_user_sgpr_kernarg_preload_length 0
		.amdhsa_user_sgpr_kernarg_preload_offset 0
		.amdhsa_user_sgpr_private_segment_size 0
		.amdhsa_uses_dynamic_stack 0
		.amdhsa_enable_private_segment 0
		.amdhsa_system_sgpr_workgroup_id_x 1
		.amdhsa_system_sgpr_workgroup_id_y 0
		.amdhsa_system_sgpr_workgroup_id_z 0
		.amdhsa_system_sgpr_workgroup_info 0
		.amdhsa_system_vgpr_workitem_id 0
		.amdhsa_next_free_vgpr 1
		.amdhsa_next_free_sgpr 0
		.amdhsa_accum_offset 4
		.amdhsa_reserve_vcc 0
		.amdhsa_float_round_mode_32 0
		.amdhsa_float_round_mode_16_64 0
		.amdhsa_float_denorm_mode_32 3
		.amdhsa_float_denorm_mode_16_64 3
		.amdhsa_dx10_clamp 1
		.amdhsa_ieee_mode 1
		.amdhsa_fp16_overflow 0
		.amdhsa_tg_split 0
		.amdhsa_exception_fp_ieee_invalid_op 0
		.amdhsa_exception_fp_denorm_src 0
		.amdhsa_exception_fp_ieee_div_zero 0
		.amdhsa_exception_fp_ieee_overflow 0
		.amdhsa_exception_fp_ieee_underflow 0
		.amdhsa_exception_fp_ieee_inexact 0
		.amdhsa_exception_int_div_zero 0
	.end_amdhsa_kernel
	.section	.text._ZN7rocprim17ROCPRIM_400000_NS6detail17trampoline_kernelINS0_14default_configENS1_25transform_config_selectorIsLb0EEEZNS1_14transform_implILb0ES3_S5_NS0_18transform_iteratorINS0_17counting_iteratorImlEEZNS1_24adjacent_difference_implIS3_Lb1ELb0EPKsPsN6thrust23THRUST_200600_302600_NS4plusIsEEEE10hipError_tPvRmT2_T3_mT4_P12ihipStream_tbEUlmE_sEESD_NS0_8identityIvEEEESI_SL_SM_mSN_SP_bEUlT_E_NS1_11comp_targetILNS1_3genE10ELNS1_11target_archE1200ELNS1_3gpuE4ELNS1_3repE0EEENS1_30default_config_static_selectorELNS0_4arch9wavefront6targetE1EEEvT1_,"axG",@progbits,_ZN7rocprim17ROCPRIM_400000_NS6detail17trampoline_kernelINS0_14default_configENS1_25transform_config_selectorIsLb0EEEZNS1_14transform_implILb0ES3_S5_NS0_18transform_iteratorINS0_17counting_iteratorImlEEZNS1_24adjacent_difference_implIS3_Lb1ELb0EPKsPsN6thrust23THRUST_200600_302600_NS4plusIsEEEE10hipError_tPvRmT2_T3_mT4_P12ihipStream_tbEUlmE_sEESD_NS0_8identityIvEEEESI_SL_SM_mSN_SP_bEUlT_E_NS1_11comp_targetILNS1_3genE10ELNS1_11target_archE1200ELNS1_3gpuE4ELNS1_3repE0EEENS1_30default_config_static_selectorELNS0_4arch9wavefront6targetE1EEEvT1_,comdat
.Lfunc_end530:
	.size	_ZN7rocprim17ROCPRIM_400000_NS6detail17trampoline_kernelINS0_14default_configENS1_25transform_config_selectorIsLb0EEEZNS1_14transform_implILb0ES3_S5_NS0_18transform_iteratorINS0_17counting_iteratorImlEEZNS1_24adjacent_difference_implIS3_Lb1ELb0EPKsPsN6thrust23THRUST_200600_302600_NS4plusIsEEEE10hipError_tPvRmT2_T3_mT4_P12ihipStream_tbEUlmE_sEESD_NS0_8identityIvEEEESI_SL_SM_mSN_SP_bEUlT_E_NS1_11comp_targetILNS1_3genE10ELNS1_11target_archE1200ELNS1_3gpuE4ELNS1_3repE0EEENS1_30default_config_static_selectorELNS0_4arch9wavefront6targetE1EEEvT1_, .Lfunc_end530-_ZN7rocprim17ROCPRIM_400000_NS6detail17trampoline_kernelINS0_14default_configENS1_25transform_config_selectorIsLb0EEEZNS1_14transform_implILb0ES3_S5_NS0_18transform_iteratorINS0_17counting_iteratorImlEEZNS1_24adjacent_difference_implIS3_Lb1ELb0EPKsPsN6thrust23THRUST_200600_302600_NS4plusIsEEEE10hipError_tPvRmT2_T3_mT4_P12ihipStream_tbEUlmE_sEESD_NS0_8identityIvEEEESI_SL_SM_mSN_SP_bEUlT_E_NS1_11comp_targetILNS1_3genE10ELNS1_11target_archE1200ELNS1_3gpuE4ELNS1_3repE0EEENS1_30default_config_static_selectorELNS0_4arch9wavefront6targetE1EEEvT1_
                                        ; -- End function
	.section	.AMDGPU.csdata,"",@progbits
; Kernel info:
; codeLenInByte = 0
; NumSgprs: 6
; NumVgprs: 0
; NumAgprs: 0
; TotalNumVgprs: 0
; ScratchSize: 0
; MemoryBound: 0
; FloatMode: 240
; IeeeMode: 1
; LDSByteSize: 0 bytes/workgroup (compile time only)
; SGPRBlocks: 0
; VGPRBlocks: 0
; NumSGPRsForWavesPerEU: 6
; NumVGPRsForWavesPerEU: 1
; AccumOffset: 4
; Occupancy: 8
; WaveLimiterHint : 0
; COMPUTE_PGM_RSRC2:SCRATCH_EN: 0
; COMPUTE_PGM_RSRC2:USER_SGPR: 2
; COMPUTE_PGM_RSRC2:TRAP_HANDLER: 0
; COMPUTE_PGM_RSRC2:TGID_X_EN: 1
; COMPUTE_PGM_RSRC2:TGID_Y_EN: 0
; COMPUTE_PGM_RSRC2:TGID_Z_EN: 0
; COMPUTE_PGM_RSRC2:TIDIG_COMP_CNT: 0
; COMPUTE_PGM_RSRC3_GFX90A:ACCUM_OFFSET: 0
; COMPUTE_PGM_RSRC3_GFX90A:TG_SPLIT: 0
	.section	.text._ZN7rocprim17ROCPRIM_400000_NS6detail17trampoline_kernelINS0_14default_configENS1_25transform_config_selectorIsLb0EEEZNS1_14transform_implILb0ES3_S5_NS0_18transform_iteratorINS0_17counting_iteratorImlEEZNS1_24adjacent_difference_implIS3_Lb1ELb0EPKsPsN6thrust23THRUST_200600_302600_NS4plusIsEEEE10hipError_tPvRmT2_T3_mT4_P12ihipStream_tbEUlmE_sEESD_NS0_8identityIvEEEESI_SL_SM_mSN_SP_bEUlT_E_NS1_11comp_targetILNS1_3genE9ELNS1_11target_archE1100ELNS1_3gpuE3ELNS1_3repE0EEENS1_30default_config_static_selectorELNS0_4arch9wavefront6targetE1EEEvT1_,"axG",@progbits,_ZN7rocprim17ROCPRIM_400000_NS6detail17trampoline_kernelINS0_14default_configENS1_25transform_config_selectorIsLb0EEEZNS1_14transform_implILb0ES3_S5_NS0_18transform_iteratorINS0_17counting_iteratorImlEEZNS1_24adjacent_difference_implIS3_Lb1ELb0EPKsPsN6thrust23THRUST_200600_302600_NS4plusIsEEEE10hipError_tPvRmT2_T3_mT4_P12ihipStream_tbEUlmE_sEESD_NS0_8identityIvEEEESI_SL_SM_mSN_SP_bEUlT_E_NS1_11comp_targetILNS1_3genE9ELNS1_11target_archE1100ELNS1_3gpuE3ELNS1_3repE0EEENS1_30default_config_static_selectorELNS0_4arch9wavefront6targetE1EEEvT1_,comdat
	.protected	_ZN7rocprim17ROCPRIM_400000_NS6detail17trampoline_kernelINS0_14default_configENS1_25transform_config_selectorIsLb0EEEZNS1_14transform_implILb0ES3_S5_NS0_18transform_iteratorINS0_17counting_iteratorImlEEZNS1_24adjacent_difference_implIS3_Lb1ELb0EPKsPsN6thrust23THRUST_200600_302600_NS4plusIsEEEE10hipError_tPvRmT2_T3_mT4_P12ihipStream_tbEUlmE_sEESD_NS0_8identityIvEEEESI_SL_SM_mSN_SP_bEUlT_E_NS1_11comp_targetILNS1_3genE9ELNS1_11target_archE1100ELNS1_3gpuE3ELNS1_3repE0EEENS1_30default_config_static_selectorELNS0_4arch9wavefront6targetE1EEEvT1_ ; -- Begin function _ZN7rocprim17ROCPRIM_400000_NS6detail17trampoline_kernelINS0_14default_configENS1_25transform_config_selectorIsLb0EEEZNS1_14transform_implILb0ES3_S5_NS0_18transform_iteratorINS0_17counting_iteratorImlEEZNS1_24adjacent_difference_implIS3_Lb1ELb0EPKsPsN6thrust23THRUST_200600_302600_NS4plusIsEEEE10hipError_tPvRmT2_T3_mT4_P12ihipStream_tbEUlmE_sEESD_NS0_8identityIvEEEESI_SL_SM_mSN_SP_bEUlT_E_NS1_11comp_targetILNS1_3genE9ELNS1_11target_archE1100ELNS1_3gpuE3ELNS1_3repE0EEENS1_30default_config_static_selectorELNS0_4arch9wavefront6targetE1EEEvT1_
	.globl	_ZN7rocprim17ROCPRIM_400000_NS6detail17trampoline_kernelINS0_14default_configENS1_25transform_config_selectorIsLb0EEEZNS1_14transform_implILb0ES3_S5_NS0_18transform_iteratorINS0_17counting_iteratorImlEEZNS1_24adjacent_difference_implIS3_Lb1ELb0EPKsPsN6thrust23THRUST_200600_302600_NS4plusIsEEEE10hipError_tPvRmT2_T3_mT4_P12ihipStream_tbEUlmE_sEESD_NS0_8identityIvEEEESI_SL_SM_mSN_SP_bEUlT_E_NS1_11comp_targetILNS1_3genE9ELNS1_11target_archE1100ELNS1_3gpuE3ELNS1_3repE0EEENS1_30default_config_static_selectorELNS0_4arch9wavefront6targetE1EEEvT1_
	.p2align	8
	.type	_ZN7rocprim17ROCPRIM_400000_NS6detail17trampoline_kernelINS0_14default_configENS1_25transform_config_selectorIsLb0EEEZNS1_14transform_implILb0ES3_S5_NS0_18transform_iteratorINS0_17counting_iteratorImlEEZNS1_24adjacent_difference_implIS3_Lb1ELb0EPKsPsN6thrust23THRUST_200600_302600_NS4plusIsEEEE10hipError_tPvRmT2_T3_mT4_P12ihipStream_tbEUlmE_sEESD_NS0_8identityIvEEEESI_SL_SM_mSN_SP_bEUlT_E_NS1_11comp_targetILNS1_3genE9ELNS1_11target_archE1100ELNS1_3gpuE3ELNS1_3repE0EEENS1_30default_config_static_selectorELNS0_4arch9wavefront6targetE1EEEvT1_,@function
_ZN7rocprim17ROCPRIM_400000_NS6detail17trampoline_kernelINS0_14default_configENS1_25transform_config_selectorIsLb0EEEZNS1_14transform_implILb0ES3_S5_NS0_18transform_iteratorINS0_17counting_iteratorImlEEZNS1_24adjacent_difference_implIS3_Lb1ELb0EPKsPsN6thrust23THRUST_200600_302600_NS4plusIsEEEE10hipError_tPvRmT2_T3_mT4_P12ihipStream_tbEUlmE_sEESD_NS0_8identityIvEEEESI_SL_SM_mSN_SP_bEUlT_E_NS1_11comp_targetILNS1_3genE9ELNS1_11target_archE1100ELNS1_3gpuE3ELNS1_3repE0EEENS1_30default_config_static_selectorELNS0_4arch9wavefront6targetE1EEEvT1_: ; @_ZN7rocprim17ROCPRIM_400000_NS6detail17trampoline_kernelINS0_14default_configENS1_25transform_config_selectorIsLb0EEEZNS1_14transform_implILb0ES3_S5_NS0_18transform_iteratorINS0_17counting_iteratorImlEEZNS1_24adjacent_difference_implIS3_Lb1ELb0EPKsPsN6thrust23THRUST_200600_302600_NS4plusIsEEEE10hipError_tPvRmT2_T3_mT4_P12ihipStream_tbEUlmE_sEESD_NS0_8identityIvEEEESI_SL_SM_mSN_SP_bEUlT_E_NS1_11comp_targetILNS1_3genE9ELNS1_11target_archE1100ELNS1_3gpuE3ELNS1_3repE0EEENS1_30default_config_static_selectorELNS0_4arch9wavefront6targetE1EEEvT1_
; %bb.0:
	.section	.rodata,"a",@progbits
	.p2align	6, 0x0
	.amdhsa_kernel _ZN7rocprim17ROCPRIM_400000_NS6detail17trampoline_kernelINS0_14default_configENS1_25transform_config_selectorIsLb0EEEZNS1_14transform_implILb0ES3_S5_NS0_18transform_iteratorINS0_17counting_iteratorImlEEZNS1_24adjacent_difference_implIS3_Lb1ELb0EPKsPsN6thrust23THRUST_200600_302600_NS4plusIsEEEE10hipError_tPvRmT2_T3_mT4_P12ihipStream_tbEUlmE_sEESD_NS0_8identityIvEEEESI_SL_SM_mSN_SP_bEUlT_E_NS1_11comp_targetILNS1_3genE9ELNS1_11target_archE1100ELNS1_3gpuE3ELNS1_3repE0EEENS1_30default_config_static_selectorELNS0_4arch9wavefront6targetE1EEEvT1_
		.amdhsa_group_segment_fixed_size 0
		.amdhsa_private_segment_fixed_size 0
		.amdhsa_kernarg_size 56
		.amdhsa_user_sgpr_count 2
		.amdhsa_user_sgpr_dispatch_ptr 0
		.amdhsa_user_sgpr_queue_ptr 0
		.amdhsa_user_sgpr_kernarg_segment_ptr 1
		.amdhsa_user_sgpr_dispatch_id 0
		.amdhsa_user_sgpr_kernarg_preload_length 0
		.amdhsa_user_sgpr_kernarg_preload_offset 0
		.amdhsa_user_sgpr_private_segment_size 0
		.amdhsa_uses_dynamic_stack 0
		.amdhsa_enable_private_segment 0
		.amdhsa_system_sgpr_workgroup_id_x 1
		.amdhsa_system_sgpr_workgroup_id_y 0
		.amdhsa_system_sgpr_workgroup_id_z 0
		.amdhsa_system_sgpr_workgroup_info 0
		.amdhsa_system_vgpr_workitem_id 0
		.amdhsa_next_free_vgpr 1
		.amdhsa_next_free_sgpr 0
		.amdhsa_accum_offset 4
		.amdhsa_reserve_vcc 0
		.amdhsa_float_round_mode_32 0
		.amdhsa_float_round_mode_16_64 0
		.amdhsa_float_denorm_mode_32 3
		.amdhsa_float_denorm_mode_16_64 3
		.amdhsa_dx10_clamp 1
		.amdhsa_ieee_mode 1
		.amdhsa_fp16_overflow 0
		.amdhsa_tg_split 0
		.amdhsa_exception_fp_ieee_invalid_op 0
		.amdhsa_exception_fp_denorm_src 0
		.amdhsa_exception_fp_ieee_div_zero 0
		.amdhsa_exception_fp_ieee_overflow 0
		.amdhsa_exception_fp_ieee_underflow 0
		.amdhsa_exception_fp_ieee_inexact 0
		.amdhsa_exception_int_div_zero 0
	.end_amdhsa_kernel
	.section	.text._ZN7rocprim17ROCPRIM_400000_NS6detail17trampoline_kernelINS0_14default_configENS1_25transform_config_selectorIsLb0EEEZNS1_14transform_implILb0ES3_S5_NS0_18transform_iteratorINS0_17counting_iteratorImlEEZNS1_24adjacent_difference_implIS3_Lb1ELb0EPKsPsN6thrust23THRUST_200600_302600_NS4plusIsEEEE10hipError_tPvRmT2_T3_mT4_P12ihipStream_tbEUlmE_sEESD_NS0_8identityIvEEEESI_SL_SM_mSN_SP_bEUlT_E_NS1_11comp_targetILNS1_3genE9ELNS1_11target_archE1100ELNS1_3gpuE3ELNS1_3repE0EEENS1_30default_config_static_selectorELNS0_4arch9wavefront6targetE1EEEvT1_,"axG",@progbits,_ZN7rocprim17ROCPRIM_400000_NS6detail17trampoline_kernelINS0_14default_configENS1_25transform_config_selectorIsLb0EEEZNS1_14transform_implILb0ES3_S5_NS0_18transform_iteratorINS0_17counting_iteratorImlEEZNS1_24adjacent_difference_implIS3_Lb1ELb0EPKsPsN6thrust23THRUST_200600_302600_NS4plusIsEEEE10hipError_tPvRmT2_T3_mT4_P12ihipStream_tbEUlmE_sEESD_NS0_8identityIvEEEESI_SL_SM_mSN_SP_bEUlT_E_NS1_11comp_targetILNS1_3genE9ELNS1_11target_archE1100ELNS1_3gpuE3ELNS1_3repE0EEENS1_30default_config_static_selectorELNS0_4arch9wavefront6targetE1EEEvT1_,comdat
.Lfunc_end531:
	.size	_ZN7rocprim17ROCPRIM_400000_NS6detail17trampoline_kernelINS0_14default_configENS1_25transform_config_selectorIsLb0EEEZNS1_14transform_implILb0ES3_S5_NS0_18transform_iteratorINS0_17counting_iteratorImlEEZNS1_24adjacent_difference_implIS3_Lb1ELb0EPKsPsN6thrust23THRUST_200600_302600_NS4plusIsEEEE10hipError_tPvRmT2_T3_mT4_P12ihipStream_tbEUlmE_sEESD_NS0_8identityIvEEEESI_SL_SM_mSN_SP_bEUlT_E_NS1_11comp_targetILNS1_3genE9ELNS1_11target_archE1100ELNS1_3gpuE3ELNS1_3repE0EEENS1_30default_config_static_selectorELNS0_4arch9wavefront6targetE1EEEvT1_, .Lfunc_end531-_ZN7rocprim17ROCPRIM_400000_NS6detail17trampoline_kernelINS0_14default_configENS1_25transform_config_selectorIsLb0EEEZNS1_14transform_implILb0ES3_S5_NS0_18transform_iteratorINS0_17counting_iteratorImlEEZNS1_24adjacent_difference_implIS3_Lb1ELb0EPKsPsN6thrust23THRUST_200600_302600_NS4plusIsEEEE10hipError_tPvRmT2_T3_mT4_P12ihipStream_tbEUlmE_sEESD_NS0_8identityIvEEEESI_SL_SM_mSN_SP_bEUlT_E_NS1_11comp_targetILNS1_3genE9ELNS1_11target_archE1100ELNS1_3gpuE3ELNS1_3repE0EEENS1_30default_config_static_selectorELNS0_4arch9wavefront6targetE1EEEvT1_
                                        ; -- End function
	.section	.AMDGPU.csdata,"",@progbits
; Kernel info:
; codeLenInByte = 0
; NumSgprs: 6
; NumVgprs: 0
; NumAgprs: 0
; TotalNumVgprs: 0
; ScratchSize: 0
; MemoryBound: 0
; FloatMode: 240
; IeeeMode: 1
; LDSByteSize: 0 bytes/workgroup (compile time only)
; SGPRBlocks: 0
; VGPRBlocks: 0
; NumSGPRsForWavesPerEU: 6
; NumVGPRsForWavesPerEU: 1
; AccumOffset: 4
; Occupancy: 8
; WaveLimiterHint : 0
; COMPUTE_PGM_RSRC2:SCRATCH_EN: 0
; COMPUTE_PGM_RSRC2:USER_SGPR: 2
; COMPUTE_PGM_RSRC2:TRAP_HANDLER: 0
; COMPUTE_PGM_RSRC2:TGID_X_EN: 1
; COMPUTE_PGM_RSRC2:TGID_Y_EN: 0
; COMPUTE_PGM_RSRC2:TGID_Z_EN: 0
; COMPUTE_PGM_RSRC2:TIDIG_COMP_CNT: 0
; COMPUTE_PGM_RSRC3_GFX90A:ACCUM_OFFSET: 0
; COMPUTE_PGM_RSRC3_GFX90A:TG_SPLIT: 0
	.section	.text._ZN7rocprim17ROCPRIM_400000_NS6detail17trampoline_kernelINS0_14default_configENS1_25transform_config_selectorIsLb0EEEZNS1_14transform_implILb0ES3_S5_NS0_18transform_iteratorINS0_17counting_iteratorImlEEZNS1_24adjacent_difference_implIS3_Lb1ELb0EPKsPsN6thrust23THRUST_200600_302600_NS4plusIsEEEE10hipError_tPvRmT2_T3_mT4_P12ihipStream_tbEUlmE_sEESD_NS0_8identityIvEEEESI_SL_SM_mSN_SP_bEUlT_E_NS1_11comp_targetILNS1_3genE8ELNS1_11target_archE1030ELNS1_3gpuE2ELNS1_3repE0EEENS1_30default_config_static_selectorELNS0_4arch9wavefront6targetE1EEEvT1_,"axG",@progbits,_ZN7rocprim17ROCPRIM_400000_NS6detail17trampoline_kernelINS0_14default_configENS1_25transform_config_selectorIsLb0EEEZNS1_14transform_implILb0ES3_S5_NS0_18transform_iteratorINS0_17counting_iteratorImlEEZNS1_24adjacent_difference_implIS3_Lb1ELb0EPKsPsN6thrust23THRUST_200600_302600_NS4plusIsEEEE10hipError_tPvRmT2_T3_mT4_P12ihipStream_tbEUlmE_sEESD_NS0_8identityIvEEEESI_SL_SM_mSN_SP_bEUlT_E_NS1_11comp_targetILNS1_3genE8ELNS1_11target_archE1030ELNS1_3gpuE2ELNS1_3repE0EEENS1_30default_config_static_selectorELNS0_4arch9wavefront6targetE1EEEvT1_,comdat
	.protected	_ZN7rocprim17ROCPRIM_400000_NS6detail17trampoline_kernelINS0_14default_configENS1_25transform_config_selectorIsLb0EEEZNS1_14transform_implILb0ES3_S5_NS0_18transform_iteratorINS0_17counting_iteratorImlEEZNS1_24adjacent_difference_implIS3_Lb1ELb0EPKsPsN6thrust23THRUST_200600_302600_NS4plusIsEEEE10hipError_tPvRmT2_T3_mT4_P12ihipStream_tbEUlmE_sEESD_NS0_8identityIvEEEESI_SL_SM_mSN_SP_bEUlT_E_NS1_11comp_targetILNS1_3genE8ELNS1_11target_archE1030ELNS1_3gpuE2ELNS1_3repE0EEENS1_30default_config_static_selectorELNS0_4arch9wavefront6targetE1EEEvT1_ ; -- Begin function _ZN7rocprim17ROCPRIM_400000_NS6detail17trampoline_kernelINS0_14default_configENS1_25transform_config_selectorIsLb0EEEZNS1_14transform_implILb0ES3_S5_NS0_18transform_iteratorINS0_17counting_iteratorImlEEZNS1_24adjacent_difference_implIS3_Lb1ELb0EPKsPsN6thrust23THRUST_200600_302600_NS4plusIsEEEE10hipError_tPvRmT2_T3_mT4_P12ihipStream_tbEUlmE_sEESD_NS0_8identityIvEEEESI_SL_SM_mSN_SP_bEUlT_E_NS1_11comp_targetILNS1_3genE8ELNS1_11target_archE1030ELNS1_3gpuE2ELNS1_3repE0EEENS1_30default_config_static_selectorELNS0_4arch9wavefront6targetE1EEEvT1_
	.globl	_ZN7rocprim17ROCPRIM_400000_NS6detail17trampoline_kernelINS0_14default_configENS1_25transform_config_selectorIsLb0EEEZNS1_14transform_implILb0ES3_S5_NS0_18transform_iteratorINS0_17counting_iteratorImlEEZNS1_24adjacent_difference_implIS3_Lb1ELb0EPKsPsN6thrust23THRUST_200600_302600_NS4plusIsEEEE10hipError_tPvRmT2_T3_mT4_P12ihipStream_tbEUlmE_sEESD_NS0_8identityIvEEEESI_SL_SM_mSN_SP_bEUlT_E_NS1_11comp_targetILNS1_3genE8ELNS1_11target_archE1030ELNS1_3gpuE2ELNS1_3repE0EEENS1_30default_config_static_selectorELNS0_4arch9wavefront6targetE1EEEvT1_
	.p2align	8
	.type	_ZN7rocprim17ROCPRIM_400000_NS6detail17trampoline_kernelINS0_14default_configENS1_25transform_config_selectorIsLb0EEEZNS1_14transform_implILb0ES3_S5_NS0_18transform_iteratorINS0_17counting_iteratorImlEEZNS1_24adjacent_difference_implIS3_Lb1ELb0EPKsPsN6thrust23THRUST_200600_302600_NS4plusIsEEEE10hipError_tPvRmT2_T3_mT4_P12ihipStream_tbEUlmE_sEESD_NS0_8identityIvEEEESI_SL_SM_mSN_SP_bEUlT_E_NS1_11comp_targetILNS1_3genE8ELNS1_11target_archE1030ELNS1_3gpuE2ELNS1_3repE0EEENS1_30default_config_static_selectorELNS0_4arch9wavefront6targetE1EEEvT1_,@function
_ZN7rocprim17ROCPRIM_400000_NS6detail17trampoline_kernelINS0_14default_configENS1_25transform_config_selectorIsLb0EEEZNS1_14transform_implILb0ES3_S5_NS0_18transform_iteratorINS0_17counting_iteratorImlEEZNS1_24adjacent_difference_implIS3_Lb1ELb0EPKsPsN6thrust23THRUST_200600_302600_NS4plusIsEEEE10hipError_tPvRmT2_T3_mT4_P12ihipStream_tbEUlmE_sEESD_NS0_8identityIvEEEESI_SL_SM_mSN_SP_bEUlT_E_NS1_11comp_targetILNS1_3genE8ELNS1_11target_archE1030ELNS1_3gpuE2ELNS1_3repE0EEENS1_30default_config_static_selectorELNS0_4arch9wavefront6targetE1EEEvT1_: ; @_ZN7rocprim17ROCPRIM_400000_NS6detail17trampoline_kernelINS0_14default_configENS1_25transform_config_selectorIsLb0EEEZNS1_14transform_implILb0ES3_S5_NS0_18transform_iteratorINS0_17counting_iteratorImlEEZNS1_24adjacent_difference_implIS3_Lb1ELb0EPKsPsN6thrust23THRUST_200600_302600_NS4plusIsEEEE10hipError_tPvRmT2_T3_mT4_P12ihipStream_tbEUlmE_sEESD_NS0_8identityIvEEEESI_SL_SM_mSN_SP_bEUlT_E_NS1_11comp_targetILNS1_3genE8ELNS1_11target_archE1030ELNS1_3gpuE2ELNS1_3repE0EEENS1_30default_config_static_selectorELNS0_4arch9wavefront6targetE1EEEvT1_
; %bb.0:
	.section	.rodata,"a",@progbits
	.p2align	6, 0x0
	.amdhsa_kernel _ZN7rocprim17ROCPRIM_400000_NS6detail17trampoline_kernelINS0_14default_configENS1_25transform_config_selectorIsLb0EEEZNS1_14transform_implILb0ES3_S5_NS0_18transform_iteratorINS0_17counting_iteratorImlEEZNS1_24adjacent_difference_implIS3_Lb1ELb0EPKsPsN6thrust23THRUST_200600_302600_NS4plusIsEEEE10hipError_tPvRmT2_T3_mT4_P12ihipStream_tbEUlmE_sEESD_NS0_8identityIvEEEESI_SL_SM_mSN_SP_bEUlT_E_NS1_11comp_targetILNS1_3genE8ELNS1_11target_archE1030ELNS1_3gpuE2ELNS1_3repE0EEENS1_30default_config_static_selectorELNS0_4arch9wavefront6targetE1EEEvT1_
		.amdhsa_group_segment_fixed_size 0
		.amdhsa_private_segment_fixed_size 0
		.amdhsa_kernarg_size 56
		.amdhsa_user_sgpr_count 2
		.amdhsa_user_sgpr_dispatch_ptr 0
		.amdhsa_user_sgpr_queue_ptr 0
		.amdhsa_user_sgpr_kernarg_segment_ptr 1
		.amdhsa_user_sgpr_dispatch_id 0
		.amdhsa_user_sgpr_kernarg_preload_length 0
		.amdhsa_user_sgpr_kernarg_preload_offset 0
		.amdhsa_user_sgpr_private_segment_size 0
		.amdhsa_uses_dynamic_stack 0
		.amdhsa_enable_private_segment 0
		.amdhsa_system_sgpr_workgroup_id_x 1
		.amdhsa_system_sgpr_workgroup_id_y 0
		.amdhsa_system_sgpr_workgroup_id_z 0
		.amdhsa_system_sgpr_workgroup_info 0
		.amdhsa_system_vgpr_workitem_id 0
		.amdhsa_next_free_vgpr 1
		.amdhsa_next_free_sgpr 0
		.amdhsa_accum_offset 4
		.amdhsa_reserve_vcc 0
		.amdhsa_float_round_mode_32 0
		.amdhsa_float_round_mode_16_64 0
		.amdhsa_float_denorm_mode_32 3
		.amdhsa_float_denorm_mode_16_64 3
		.amdhsa_dx10_clamp 1
		.amdhsa_ieee_mode 1
		.amdhsa_fp16_overflow 0
		.amdhsa_tg_split 0
		.amdhsa_exception_fp_ieee_invalid_op 0
		.amdhsa_exception_fp_denorm_src 0
		.amdhsa_exception_fp_ieee_div_zero 0
		.amdhsa_exception_fp_ieee_overflow 0
		.amdhsa_exception_fp_ieee_underflow 0
		.amdhsa_exception_fp_ieee_inexact 0
		.amdhsa_exception_int_div_zero 0
	.end_amdhsa_kernel
	.section	.text._ZN7rocprim17ROCPRIM_400000_NS6detail17trampoline_kernelINS0_14default_configENS1_25transform_config_selectorIsLb0EEEZNS1_14transform_implILb0ES3_S5_NS0_18transform_iteratorINS0_17counting_iteratorImlEEZNS1_24adjacent_difference_implIS3_Lb1ELb0EPKsPsN6thrust23THRUST_200600_302600_NS4plusIsEEEE10hipError_tPvRmT2_T3_mT4_P12ihipStream_tbEUlmE_sEESD_NS0_8identityIvEEEESI_SL_SM_mSN_SP_bEUlT_E_NS1_11comp_targetILNS1_3genE8ELNS1_11target_archE1030ELNS1_3gpuE2ELNS1_3repE0EEENS1_30default_config_static_selectorELNS0_4arch9wavefront6targetE1EEEvT1_,"axG",@progbits,_ZN7rocprim17ROCPRIM_400000_NS6detail17trampoline_kernelINS0_14default_configENS1_25transform_config_selectorIsLb0EEEZNS1_14transform_implILb0ES3_S5_NS0_18transform_iteratorINS0_17counting_iteratorImlEEZNS1_24adjacent_difference_implIS3_Lb1ELb0EPKsPsN6thrust23THRUST_200600_302600_NS4plusIsEEEE10hipError_tPvRmT2_T3_mT4_P12ihipStream_tbEUlmE_sEESD_NS0_8identityIvEEEESI_SL_SM_mSN_SP_bEUlT_E_NS1_11comp_targetILNS1_3genE8ELNS1_11target_archE1030ELNS1_3gpuE2ELNS1_3repE0EEENS1_30default_config_static_selectorELNS0_4arch9wavefront6targetE1EEEvT1_,comdat
.Lfunc_end532:
	.size	_ZN7rocprim17ROCPRIM_400000_NS6detail17trampoline_kernelINS0_14default_configENS1_25transform_config_selectorIsLb0EEEZNS1_14transform_implILb0ES3_S5_NS0_18transform_iteratorINS0_17counting_iteratorImlEEZNS1_24adjacent_difference_implIS3_Lb1ELb0EPKsPsN6thrust23THRUST_200600_302600_NS4plusIsEEEE10hipError_tPvRmT2_T3_mT4_P12ihipStream_tbEUlmE_sEESD_NS0_8identityIvEEEESI_SL_SM_mSN_SP_bEUlT_E_NS1_11comp_targetILNS1_3genE8ELNS1_11target_archE1030ELNS1_3gpuE2ELNS1_3repE0EEENS1_30default_config_static_selectorELNS0_4arch9wavefront6targetE1EEEvT1_, .Lfunc_end532-_ZN7rocprim17ROCPRIM_400000_NS6detail17trampoline_kernelINS0_14default_configENS1_25transform_config_selectorIsLb0EEEZNS1_14transform_implILb0ES3_S5_NS0_18transform_iteratorINS0_17counting_iteratorImlEEZNS1_24adjacent_difference_implIS3_Lb1ELb0EPKsPsN6thrust23THRUST_200600_302600_NS4plusIsEEEE10hipError_tPvRmT2_T3_mT4_P12ihipStream_tbEUlmE_sEESD_NS0_8identityIvEEEESI_SL_SM_mSN_SP_bEUlT_E_NS1_11comp_targetILNS1_3genE8ELNS1_11target_archE1030ELNS1_3gpuE2ELNS1_3repE0EEENS1_30default_config_static_selectorELNS0_4arch9wavefront6targetE1EEEvT1_
                                        ; -- End function
	.section	.AMDGPU.csdata,"",@progbits
; Kernel info:
; codeLenInByte = 0
; NumSgprs: 6
; NumVgprs: 0
; NumAgprs: 0
; TotalNumVgprs: 0
; ScratchSize: 0
; MemoryBound: 0
; FloatMode: 240
; IeeeMode: 1
; LDSByteSize: 0 bytes/workgroup (compile time only)
; SGPRBlocks: 0
; VGPRBlocks: 0
; NumSGPRsForWavesPerEU: 6
; NumVGPRsForWavesPerEU: 1
; AccumOffset: 4
; Occupancy: 8
; WaveLimiterHint : 0
; COMPUTE_PGM_RSRC2:SCRATCH_EN: 0
; COMPUTE_PGM_RSRC2:USER_SGPR: 2
; COMPUTE_PGM_RSRC2:TRAP_HANDLER: 0
; COMPUTE_PGM_RSRC2:TGID_X_EN: 1
; COMPUTE_PGM_RSRC2:TGID_Y_EN: 0
; COMPUTE_PGM_RSRC2:TGID_Z_EN: 0
; COMPUTE_PGM_RSRC2:TIDIG_COMP_CNT: 0
; COMPUTE_PGM_RSRC3_GFX90A:ACCUM_OFFSET: 0
; COMPUTE_PGM_RSRC3_GFX90A:TG_SPLIT: 0
	.section	.text._ZN7rocprim17ROCPRIM_400000_NS6detail17trampoline_kernelINS0_14default_configENS1_35adjacent_difference_config_selectorILb1EsEEZNS1_24adjacent_difference_implIS3_Lb1ELb0EPKsPsN6thrust23THRUST_200600_302600_NS4plusIsEEEE10hipError_tPvRmT2_T3_mT4_P12ihipStream_tbEUlT_E_NS1_11comp_targetILNS1_3genE0ELNS1_11target_archE4294967295ELNS1_3gpuE0ELNS1_3repE0EEENS1_30default_config_static_selectorELNS0_4arch9wavefront6targetE1EEEvT1_,"axG",@progbits,_ZN7rocprim17ROCPRIM_400000_NS6detail17trampoline_kernelINS0_14default_configENS1_35adjacent_difference_config_selectorILb1EsEEZNS1_24adjacent_difference_implIS3_Lb1ELb0EPKsPsN6thrust23THRUST_200600_302600_NS4plusIsEEEE10hipError_tPvRmT2_T3_mT4_P12ihipStream_tbEUlT_E_NS1_11comp_targetILNS1_3genE0ELNS1_11target_archE4294967295ELNS1_3gpuE0ELNS1_3repE0EEENS1_30default_config_static_selectorELNS0_4arch9wavefront6targetE1EEEvT1_,comdat
	.protected	_ZN7rocprim17ROCPRIM_400000_NS6detail17trampoline_kernelINS0_14default_configENS1_35adjacent_difference_config_selectorILb1EsEEZNS1_24adjacent_difference_implIS3_Lb1ELb0EPKsPsN6thrust23THRUST_200600_302600_NS4plusIsEEEE10hipError_tPvRmT2_T3_mT4_P12ihipStream_tbEUlT_E_NS1_11comp_targetILNS1_3genE0ELNS1_11target_archE4294967295ELNS1_3gpuE0ELNS1_3repE0EEENS1_30default_config_static_selectorELNS0_4arch9wavefront6targetE1EEEvT1_ ; -- Begin function _ZN7rocprim17ROCPRIM_400000_NS6detail17trampoline_kernelINS0_14default_configENS1_35adjacent_difference_config_selectorILb1EsEEZNS1_24adjacent_difference_implIS3_Lb1ELb0EPKsPsN6thrust23THRUST_200600_302600_NS4plusIsEEEE10hipError_tPvRmT2_T3_mT4_P12ihipStream_tbEUlT_E_NS1_11comp_targetILNS1_3genE0ELNS1_11target_archE4294967295ELNS1_3gpuE0ELNS1_3repE0EEENS1_30default_config_static_selectorELNS0_4arch9wavefront6targetE1EEEvT1_
	.globl	_ZN7rocprim17ROCPRIM_400000_NS6detail17trampoline_kernelINS0_14default_configENS1_35adjacent_difference_config_selectorILb1EsEEZNS1_24adjacent_difference_implIS3_Lb1ELb0EPKsPsN6thrust23THRUST_200600_302600_NS4plusIsEEEE10hipError_tPvRmT2_T3_mT4_P12ihipStream_tbEUlT_E_NS1_11comp_targetILNS1_3genE0ELNS1_11target_archE4294967295ELNS1_3gpuE0ELNS1_3repE0EEENS1_30default_config_static_selectorELNS0_4arch9wavefront6targetE1EEEvT1_
	.p2align	8
	.type	_ZN7rocprim17ROCPRIM_400000_NS6detail17trampoline_kernelINS0_14default_configENS1_35adjacent_difference_config_selectorILb1EsEEZNS1_24adjacent_difference_implIS3_Lb1ELb0EPKsPsN6thrust23THRUST_200600_302600_NS4plusIsEEEE10hipError_tPvRmT2_T3_mT4_P12ihipStream_tbEUlT_E_NS1_11comp_targetILNS1_3genE0ELNS1_11target_archE4294967295ELNS1_3gpuE0ELNS1_3repE0EEENS1_30default_config_static_selectorELNS0_4arch9wavefront6targetE1EEEvT1_,@function
_ZN7rocprim17ROCPRIM_400000_NS6detail17trampoline_kernelINS0_14default_configENS1_35adjacent_difference_config_selectorILb1EsEEZNS1_24adjacent_difference_implIS3_Lb1ELb0EPKsPsN6thrust23THRUST_200600_302600_NS4plusIsEEEE10hipError_tPvRmT2_T3_mT4_P12ihipStream_tbEUlT_E_NS1_11comp_targetILNS1_3genE0ELNS1_11target_archE4294967295ELNS1_3gpuE0ELNS1_3repE0EEENS1_30default_config_static_selectorELNS0_4arch9wavefront6targetE1EEEvT1_: ; @_ZN7rocprim17ROCPRIM_400000_NS6detail17trampoline_kernelINS0_14default_configENS1_35adjacent_difference_config_selectorILb1EsEEZNS1_24adjacent_difference_implIS3_Lb1ELb0EPKsPsN6thrust23THRUST_200600_302600_NS4plusIsEEEE10hipError_tPvRmT2_T3_mT4_P12ihipStream_tbEUlT_E_NS1_11comp_targetILNS1_3genE0ELNS1_11target_archE4294967295ELNS1_3gpuE0ELNS1_3repE0EEENS1_30default_config_static_selectorELNS0_4arch9wavefront6targetE1EEEvT1_
; %bb.0:
	.section	.rodata,"a",@progbits
	.p2align	6, 0x0
	.amdhsa_kernel _ZN7rocprim17ROCPRIM_400000_NS6detail17trampoline_kernelINS0_14default_configENS1_35adjacent_difference_config_selectorILb1EsEEZNS1_24adjacent_difference_implIS3_Lb1ELb0EPKsPsN6thrust23THRUST_200600_302600_NS4plusIsEEEE10hipError_tPvRmT2_T3_mT4_P12ihipStream_tbEUlT_E_NS1_11comp_targetILNS1_3genE0ELNS1_11target_archE4294967295ELNS1_3gpuE0ELNS1_3repE0EEENS1_30default_config_static_selectorELNS0_4arch9wavefront6targetE1EEEvT1_
		.amdhsa_group_segment_fixed_size 0
		.amdhsa_private_segment_fixed_size 0
		.amdhsa_kernarg_size 56
		.amdhsa_user_sgpr_count 2
		.amdhsa_user_sgpr_dispatch_ptr 0
		.amdhsa_user_sgpr_queue_ptr 0
		.amdhsa_user_sgpr_kernarg_segment_ptr 1
		.amdhsa_user_sgpr_dispatch_id 0
		.amdhsa_user_sgpr_kernarg_preload_length 0
		.amdhsa_user_sgpr_kernarg_preload_offset 0
		.amdhsa_user_sgpr_private_segment_size 0
		.amdhsa_uses_dynamic_stack 0
		.amdhsa_enable_private_segment 0
		.amdhsa_system_sgpr_workgroup_id_x 1
		.amdhsa_system_sgpr_workgroup_id_y 0
		.amdhsa_system_sgpr_workgroup_id_z 0
		.amdhsa_system_sgpr_workgroup_info 0
		.amdhsa_system_vgpr_workitem_id 0
		.amdhsa_next_free_vgpr 1
		.amdhsa_next_free_sgpr 0
		.amdhsa_accum_offset 4
		.amdhsa_reserve_vcc 0
		.amdhsa_float_round_mode_32 0
		.amdhsa_float_round_mode_16_64 0
		.amdhsa_float_denorm_mode_32 3
		.amdhsa_float_denorm_mode_16_64 3
		.amdhsa_dx10_clamp 1
		.amdhsa_ieee_mode 1
		.amdhsa_fp16_overflow 0
		.amdhsa_tg_split 0
		.amdhsa_exception_fp_ieee_invalid_op 0
		.amdhsa_exception_fp_denorm_src 0
		.amdhsa_exception_fp_ieee_div_zero 0
		.amdhsa_exception_fp_ieee_overflow 0
		.amdhsa_exception_fp_ieee_underflow 0
		.amdhsa_exception_fp_ieee_inexact 0
		.amdhsa_exception_int_div_zero 0
	.end_amdhsa_kernel
	.section	.text._ZN7rocprim17ROCPRIM_400000_NS6detail17trampoline_kernelINS0_14default_configENS1_35adjacent_difference_config_selectorILb1EsEEZNS1_24adjacent_difference_implIS3_Lb1ELb0EPKsPsN6thrust23THRUST_200600_302600_NS4plusIsEEEE10hipError_tPvRmT2_T3_mT4_P12ihipStream_tbEUlT_E_NS1_11comp_targetILNS1_3genE0ELNS1_11target_archE4294967295ELNS1_3gpuE0ELNS1_3repE0EEENS1_30default_config_static_selectorELNS0_4arch9wavefront6targetE1EEEvT1_,"axG",@progbits,_ZN7rocprim17ROCPRIM_400000_NS6detail17trampoline_kernelINS0_14default_configENS1_35adjacent_difference_config_selectorILb1EsEEZNS1_24adjacent_difference_implIS3_Lb1ELb0EPKsPsN6thrust23THRUST_200600_302600_NS4plusIsEEEE10hipError_tPvRmT2_T3_mT4_P12ihipStream_tbEUlT_E_NS1_11comp_targetILNS1_3genE0ELNS1_11target_archE4294967295ELNS1_3gpuE0ELNS1_3repE0EEENS1_30default_config_static_selectorELNS0_4arch9wavefront6targetE1EEEvT1_,comdat
.Lfunc_end533:
	.size	_ZN7rocprim17ROCPRIM_400000_NS6detail17trampoline_kernelINS0_14default_configENS1_35adjacent_difference_config_selectorILb1EsEEZNS1_24adjacent_difference_implIS3_Lb1ELb0EPKsPsN6thrust23THRUST_200600_302600_NS4plusIsEEEE10hipError_tPvRmT2_T3_mT4_P12ihipStream_tbEUlT_E_NS1_11comp_targetILNS1_3genE0ELNS1_11target_archE4294967295ELNS1_3gpuE0ELNS1_3repE0EEENS1_30default_config_static_selectorELNS0_4arch9wavefront6targetE1EEEvT1_, .Lfunc_end533-_ZN7rocprim17ROCPRIM_400000_NS6detail17trampoline_kernelINS0_14default_configENS1_35adjacent_difference_config_selectorILb1EsEEZNS1_24adjacent_difference_implIS3_Lb1ELb0EPKsPsN6thrust23THRUST_200600_302600_NS4plusIsEEEE10hipError_tPvRmT2_T3_mT4_P12ihipStream_tbEUlT_E_NS1_11comp_targetILNS1_3genE0ELNS1_11target_archE4294967295ELNS1_3gpuE0ELNS1_3repE0EEENS1_30default_config_static_selectorELNS0_4arch9wavefront6targetE1EEEvT1_
                                        ; -- End function
	.section	.AMDGPU.csdata,"",@progbits
; Kernel info:
; codeLenInByte = 0
; NumSgprs: 6
; NumVgprs: 0
; NumAgprs: 0
; TotalNumVgprs: 0
; ScratchSize: 0
; MemoryBound: 0
; FloatMode: 240
; IeeeMode: 1
; LDSByteSize: 0 bytes/workgroup (compile time only)
; SGPRBlocks: 0
; VGPRBlocks: 0
; NumSGPRsForWavesPerEU: 6
; NumVGPRsForWavesPerEU: 1
; AccumOffset: 4
; Occupancy: 8
; WaveLimiterHint : 0
; COMPUTE_PGM_RSRC2:SCRATCH_EN: 0
; COMPUTE_PGM_RSRC2:USER_SGPR: 2
; COMPUTE_PGM_RSRC2:TRAP_HANDLER: 0
; COMPUTE_PGM_RSRC2:TGID_X_EN: 1
; COMPUTE_PGM_RSRC2:TGID_Y_EN: 0
; COMPUTE_PGM_RSRC2:TGID_Z_EN: 0
; COMPUTE_PGM_RSRC2:TIDIG_COMP_CNT: 0
; COMPUTE_PGM_RSRC3_GFX90A:ACCUM_OFFSET: 0
; COMPUTE_PGM_RSRC3_GFX90A:TG_SPLIT: 0
	.section	.text._ZN7rocprim17ROCPRIM_400000_NS6detail17trampoline_kernelINS0_14default_configENS1_35adjacent_difference_config_selectorILb1EsEEZNS1_24adjacent_difference_implIS3_Lb1ELb0EPKsPsN6thrust23THRUST_200600_302600_NS4plusIsEEEE10hipError_tPvRmT2_T3_mT4_P12ihipStream_tbEUlT_E_NS1_11comp_targetILNS1_3genE10ELNS1_11target_archE1201ELNS1_3gpuE5ELNS1_3repE0EEENS1_30default_config_static_selectorELNS0_4arch9wavefront6targetE1EEEvT1_,"axG",@progbits,_ZN7rocprim17ROCPRIM_400000_NS6detail17trampoline_kernelINS0_14default_configENS1_35adjacent_difference_config_selectorILb1EsEEZNS1_24adjacent_difference_implIS3_Lb1ELb0EPKsPsN6thrust23THRUST_200600_302600_NS4plusIsEEEE10hipError_tPvRmT2_T3_mT4_P12ihipStream_tbEUlT_E_NS1_11comp_targetILNS1_3genE10ELNS1_11target_archE1201ELNS1_3gpuE5ELNS1_3repE0EEENS1_30default_config_static_selectorELNS0_4arch9wavefront6targetE1EEEvT1_,comdat
	.protected	_ZN7rocprim17ROCPRIM_400000_NS6detail17trampoline_kernelINS0_14default_configENS1_35adjacent_difference_config_selectorILb1EsEEZNS1_24adjacent_difference_implIS3_Lb1ELb0EPKsPsN6thrust23THRUST_200600_302600_NS4plusIsEEEE10hipError_tPvRmT2_T3_mT4_P12ihipStream_tbEUlT_E_NS1_11comp_targetILNS1_3genE10ELNS1_11target_archE1201ELNS1_3gpuE5ELNS1_3repE0EEENS1_30default_config_static_selectorELNS0_4arch9wavefront6targetE1EEEvT1_ ; -- Begin function _ZN7rocprim17ROCPRIM_400000_NS6detail17trampoline_kernelINS0_14default_configENS1_35adjacent_difference_config_selectorILb1EsEEZNS1_24adjacent_difference_implIS3_Lb1ELb0EPKsPsN6thrust23THRUST_200600_302600_NS4plusIsEEEE10hipError_tPvRmT2_T3_mT4_P12ihipStream_tbEUlT_E_NS1_11comp_targetILNS1_3genE10ELNS1_11target_archE1201ELNS1_3gpuE5ELNS1_3repE0EEENS1_30default_config_static_selectorELNS0_4arch9wavefront6targetE1EEEvT1_
	.globl	_ZN7rocprim17ROCPRIM_400000_NS6detail17trampoline_kernelINS0_14default_configENS1_35adjacent_difference_config_selectorILb1EsEEZNS1_24adjacent_difference_implIS3_Lb1ELb0EPKsPsN6thrust23THRUST_200600_302600_NS4plusIsEEEE10hipError_tPvRmT2_T3_mT4_P12ihipStream_tbEUlT_E_NS1_11comp_targetILNS1_3genE10ELNS1_11target_archE1201ELNS1_3gpuE5ELNS1_3repE0EEENS1_30default_config_static_selectorELNS0_4arch9wavefront6targetE1EEEvT1_
	.p2align	8
	.type	_ZN7rocprim17ROCPRIM_400000_NS6detail17trampoline_kernelINS0_14default_configENS1_35adjacent_difference_config_selectorILb1EsEEZNS1_24adjacent_difference_implIS3_Lb1ELb0EPKsPsN6thrust23THRUST_200600_302600_NS4plusIsEEEE10hipError_tPvRmT2_T3_mT4_P12ihipStream_tbEUlT_E_NS1_11comp_targetILNS1_3genE10ELNS1_11target_archE1201ELNS1_3gpuE5ELNS1_3repE0EEENS1_30default_config_static_selectorELNS0_4arch9wavefront6targetE1EEEvT1_,@function
_ZN7rocprim17ROCPRIM_400000_NS6detail17trampoline_kernelINS0_14default_configENS1_35adjacent_difference_config_selectorILb1EsEEZNS1_24adjacent_difference_implIS3_Lb1ELb0EPKsPsN6thrust23THRUST_200600_302600_NS4plusIsEEEE10hipError_tPvRmT2_T3_mT4_P12ihipStream_tbEUlT_E_NS1_11comp_targetILNS1_3genE10ELNS1_11target_archE1201ELNS1_3gpuE5ELNS1_3repE0EEENS1_30default_config_static_selectorELNS0_4arch9wavefront6targetE1EEEvT1_: ; @_ZN7rocprim17ROCPRIM_400000_NS6detail17trampoline_kernelINS0_14default_configENS1_35adjacent_difference_config_selectorILb1EsEEZNS1_24adjacent_difference_implIS3_Lb1ELb0EPKsPsN6thrust23THRUST_200600_302600_NS4plusIsEEEE10hipError_tPvRmT2_T3_mT4_P12ihipStream_tbEUlT_E_NS1_11comp_targetILNS1_3genE10ELNS1_11target_archE1201ELNS1_3gpuE5ELNS1_3repE0EEENS1_30default_config_static_selectorELNS0_4arch9wavefront6targetE1EEEvT1_
; %bb.0:
	.section	.rodata,"a",@progbits
	.p2align	6, 0x0
	.amdhsa_kernel _ZN7rocprim17ROCPRIM_400000_NS6detail17trampoline_kernelINS0_14default_configENS1_35adjacent_difference_config_selectorILb1EsEEZNS1_24adjacent_difference_implIS3_Lb1ELb0EPKsPsN6thrust23THRUST_200600_302600_NS4plusIsEEEE10hipError_tPvRmT2_T3_mT4_P12ihipStream_tbEUlT_E_NS1_11comp_targetILNS1_3genE10ELNS1_11target_archE1201ELNS1_3gpuE5ELNS1_3repE0EEENS1_30default_config_static_selectorELNS0_4arch9wavefront6targetE1EEEvT1_
		.amdhsa_group_segment_fixed_size 0
		.amdhsa_private_segment_fixed_size 0
		.amdhsa_kernarg_size 56
		.amdhsa_user_sgpr_count 2
		.amdhsa_user_sgpr_dispatch_ptr 0
		.amdhsa_user_sgpr_queue_ptr 0
		.amdhsa_user_sgpr_kernarg_segment_ptr 1
		.amdhsa_user_sgpr_dispatch_id 0
		.amdhsa_user_sgpr_kernarg_preload_length 0
		.amdhsa_user_sgpr_kernarg_preload_offset 0
		.amdhsa_user_sgpr_private_segment_size 0
		.amdhsa_uses_dynamic_stack 0
		.amdhsa_enable_private_segment 0
		.amdhsa_system_sgpr_workgroup_id_x 1
		.amdhsa_system_sgpr_workgroup_id_y 0
		.amdhsa_system_sgpr_workgroup_id_z 0
		.amdhsa_system_sgpr_workgroup_info 0
		.amdhsa_system_vgpr_workitem_id 0
		.amdhsa_next_free_vgpr 1
		.amdhsa_next_free_sgpr 0
		.amdhsa_accum_offset 4
		.amdhsa_reserve_vcc 0
		.amdhsa_float_round_mode_32 0
		.amdhsa_float_round_mode_16_64 0
		.amdhsa_float_denorm_mode_32 3
		.amdhsa_float_denorm_mode_16_64 3
		.amdhsa_dx10_clamp 1
		.amdhsa_ieee_mode 1
		.amdhsa_fp16_overflow 0
		.amdhsa_tg_split 0
		.amdhsa_exception_fp_ieee_invalid_op 0
		.amdhsa_exception_fp_denorm_src 0
		.amdhsa_exception_fp_ieee_div_zero 0
		.amdhsa_exception_fp_ieee_overflow 0
		.amdhsa_exception_fp_ieee_underflow 0
		.amdhsa_exception_fp_ieee_inexact 0
		.amdhsa_exception_int_div_zero 0
	.end_amdhsa_kernel
	.section	.text._ZN7rocprim17ROCPRIM_400000_NS6detail17trampoline_kernelINS0_14default_configENS1_35adjacent_difference_config_selectorILb1EsEEZNS1_24adjacent_difference_implIS3_Lb1ELb0EPKsPsN6thrust23THRUST_200600_302600_NS4plusIsEEEE10hipError_tPvRmT2_T3_mT4_P12ihipStream_tbEUlT_E_NS1_11comp_targetILNS1_3genE10ELNS1_11target_archE1201ELNS1_3gpuE5ELNS1_3repE0EEENS1_30default_config_static_selectorELNS0_4arch9wavefront6targetE1EEEvT1_,"axG",@progbits,_ZN7rocprim17ROCPRIM_400000_NS6detail17trampoline_kernelINS0_14default_configENS1_35adjacent_difference_config_selectorILb1EsEEZNS1_24adjacent_difference_implIS3_Lb1ELb0EPKsPsN6thrust23THRUST_200600_302600_NS4plusIsEEEE10hipError_tPvRmT2_T3_mT4_P12ihipStream_tbEUlT_E_NS1_11comp_targetILNS1_3genE10ELNS1_11target_archE1201ELNS1_3gpuE5ELNS1_3repE0EEENS1_30default_config_static_selectorELNS0_4arch9wavefront6targetE1EEEvT1_,comdat
.Lfunc_end534:
	.size	_ZN7rocprim17ROCPRIM_400000_NS6detail17trampoline_kernelINS0_14default_configENS1_35adjacent_difference_config_selectorILb1EsEEZNS1_24adjacent_difference_implIS3_Lb1ELb0EPKsPsN6thrust23THRUST_200600_302600_NS4plusIsEEEE10hipError_tPvRmT2_T3_mT4_P12ihipStream_tbEUlT_E_NS1_11comp_targetILNS1_3genE10ELNS1_11target_archE1201ELNS1_3gpuE5ELNS1_3repE0EEENS1_30default_config_static_selectorELNS0_4arch9wavefront6targetE1EEEvT1_, .Lfunc_end534-_ZN7rocprim17ROCPRIM_400000_NS6detail17trampoline_kernelINS0_14default_configENS1_35adjacent_difference_config_selectorILb1EsEEZNS1_24adjacent_difference_implIS3_Lb1ELb0EPKsPsN6thrust23THRUST_200600_302600_NS4plusIsEEEE10hipError_tPvRmT2_T3_mT4_P12ihipStream_tbEUlT_E_NS1_11comp_targetILNS1_3genE10ELNS1_11target_archE1201ELNS1_3gpuE5ELNS1_3repE0EEENS1_30default_config_static_selectorELNS0_4arch9wavefront6targetE1EEEvT1_
                                        ; -- End function
	.section	.AMDGPU.csdata,"",@progbits
; Kernel info:
; codeLenInByte = 0
; NumSgprs: 6
; NumVgprs: 0
; NumAgprs: 0
; TotalNumVgprs: 0
; ScratchSize: 0
; MemoryBound: 0
; FloatMode: 240
; IeeeMode: 1
; LDSByteSize: 0 bytes/workgroup (compile time only)
; SGPRBlocks: 0
; VGPRBlocks: 0
; NumSGPRsForWavesPerEU: 6
; NumVGPRsForWavesPerEU: 1
; AccumOffset: 4
; Occupancy: 8
; WaveLimiterHint : 0
; COMPUTE_PGM_RSRC2:SCRATCH_EN: 0
; COMPUTE_PGM_RSRC2:USER_SGPR: 2
; COMPUTE_PGM_RSRC2:TRAP_HANDLER: 0
; COMPUTE_PGM_RSRC2:TGID_X_EN: 1
; COMPUTE_PGM_RSRC2:TGID_Y_EN: 0
; COMPUTE_PGM_RSRC2:TGID_Z_EN: 0
; COMPUTE_PGM_RSRC2:TIDIG_COMP_CNT: 0
; COMPUTE_PGM_RSRC3_GFX90A:ACCUM_OFFSET: 0
; COMPUTE_PGM_RSRC3_GFX90A:TG_SPLIT: 0
	.section	.text._ZN7rocprim17ROCPRIM_400000_NS6detail17trampoline_kernelINS0_14default_configENS1_35adjacent_difference_config_selectorILb1EsEEZNS1_24adjacent_difference_implIS3_Lb1ELb0EPKsPsN6thrust23THRUST_200600_302600_NS4plusIsEEEE10hipError_tPvRmT2_T3_mT4_P12ihipStream_tbEUlT_E_NS1_11comp_targetILNS1_3genE5ELNS1_11target_archE942ELNS1_3gpuE9ELNS1_3repE0EEENS1_30default_config_static_selectorELNS0_4arch9wavefront6targetE1EEEvT1_,"axG",@progbits,_ZN7rocprim17ROCPRIM_400000_NS6detail17trampoline_kernelINS0_14default_configENS1_35adjacent_difference_config_selectorILb1EsEEZNS1_24adjacent_difference_implIS3_Lb1ELb0EPKsPsN6thrust23THRUST_200600_302600_NS4plusIsEEEE10hipError_tPvRmT2_T3_mT4_P12ihipStream_tbEUlT_E_NS1_11comp_targetILNS1_3genE5ELNS1_11target_archE942ELNS1_3gpuE9ELNS1_3repE0EEENS1_30default_config_static_selectorELNS0_4arch9wavefront6targetE1EEEvT1_,comdat
	.protected	_ZN7rocprim17ROCPRIM_400000_NS6detail17trampoline_kernelINS0_14default_configENS1_35adjacent_difference_config_selectorILb1EsEEZNS1_24adjacent_difference_implIS3_Lb1ELb0EPKsPsN6thrust23THRUST_200600_302600_NS4plusIsEEEE10hipError_tPvRmT2_T3_mT4_P12ihipStream_tbEUlT_E_NS1_11comp_targetILNS1_3genE5ELNS1_11target_archE942ELNS1_3gpuE9ELNS1_3repE0EEENS1_30default_config_static_selectorELNS0_4arch9wavefront6targetE1EEEvT1_ ; -- Begin function _ZN7rocprim17ROCPRIM_400000_NS6detail17trampoline_kernelINS0_14default_configENS1_35adjacent_difference_config_selectorILb1EsEEZNS1_24adjacent_difference_implIS3_Lb1ELb0EPKsPsN6thrust23THRUST_200600_302600_NS4plusIsEEEE10hipError_tPvRmT2_T3_mT4_P12ihipStream_tbEUlT_E_NS1_11comp_targetILNS1_3genE5ELNS1_11target_archE942ELNS1_3gpuE9ELNS1_3repE0EEENS1_30default_config_static_selectorELNS0_4arch9wavefront6targetE1EEEvT1_
	.globl	_ZN7rocprim17ROCPRIM_400000_NS6detail17trampoline_kernelINS0_14default_configENS1_35adjacent_difference_config_selectorILb1EsEEZNS1_24adjacent_difference_implIS3_Lb1ELb0EPKsPsN6thrust23THRUST_200600_302600_NS4plusIsEEEE10hipError_tPvRmT2_T3_mT4_P12ihipStream_tbEUlT_E_NS1_11comp_targetILNS1_3genE5ELNS1_11target_archE942ELNS1_3gpuE9ELNS1_3repE0EEENS1_30default_config_static_selectorELNS0_4arch9wavefront6targetE1EEEvT1_
	.p2align	8
	.type	_ZN7rocprim17ROCPRIM_400000_NS6detail17trampoline_kernelINS0_14default_configENS1_35adjacent_difference_config_selectorILb1EsEEZNS1_24adjacent_difference_implIS3_Lb1ELb0EPKsPsN6thrust23THRUST_200600_302600_NS4plusIsEEEE10hipError_tPvRmT2_T3_mT4_P12ihipStream_tbEUlT_E_NS1_11comp_targetILNS1_3genE5ELNS1_11target_archE942ELNS1_3gpuE9ELNS1_3repE0EEENS1_30default_config_static_selectorELNS0_4arch9wavefront6targetE1EEEvT1_,@function
_ZN7rocprim17ROCPRIM_400000_NS6detail17trampoline_kernelINS0_14default_configENS1_35adjacent_difference_config_selectorILb1EsEEZNS1_24adjacent_difference_implIS3_Lb1ELb0EPKsPsN6thrust23THRUST_200600_302600_NS4plusIsEEEE10hipError_tPvRmT2_T3_mT4_P12ihipStream_tbEUlT_E_NS1_11comp_targetILNS1_3genE5ELNS1_11target_archE942ELNS1_3gpuE9ELNS1_3repE0EEENS1_30default_config_static_selectorELNS0_4arch9wavefront6targetE1EEEvT1_: ; @_ZN7rocprim17ROCPRIM_400000_NS6detail17trampoline_kernelINS0_14default_configENS1_35adjacent_difference_config_selectorILb1EsEEZNS1_24adjacent_difference_implIS3_Lb1ELb0EPKsPsN6thrust23THRUST_200600_302600_NS4plusIsEEEE10hipError_tPvRmT2_T3_mT4_P12ihipStream_tbEUlT_E_NS1_11comp_targetILNS1_3genE5ELNS1_11target_archE942ELNS1_3gpuE9ELNS1_3repE0EEENS1_30default_config_static_selectorELNS0_4arch9wavefront6targetE1EEEvT1_
; %bb.0:
	s_load_dwordx8 s[4:11], s[0:1], 0x0
	s_load_dwordx4 s[12:15], s[0:1], 0x28
	s_mov_b32 s0, 0x90841c60
	v_bfrev_b32_e32 v1, 1
	s_movk_i32 s16, 0x7c0
	s_waitcnt lgkmcnt(0)
	s_lshl_b64 s[6:7], s[6:7], 1
	s_add_u32 s26, s4, s6
	s_addc_u32 s27, s5, s7
	s_add_u32 s0, 0x230, s0
	s_addc_u32 s1, 0, 0
	v_add_co_u32_e32 v1, vcc, s0, v1
	s_cmp_lg_u64 vcc, 0
	v_readfirstlane_b32 s5, v1
	s_addc_u32 s0, s1, 0x210841
	s_mul_hi_u32 s17, s5, 0xfffff840
	s_mul_i32 s1, s0, 0xfffff840
	s_sub_i32 s17, s17, s5
	s_add_i32 s17, s17, s1
	s_mul_i32 s19, s5, 0xfffff840
	s_mul_hi_u32 s1, s5, s17
	s_mul_i32 s18, s5, s17
	s_mul_hi_u32 s5, s5, s19
	s_add_u32 s5, s5, s18
	s_addc_u32 s1, 0, s1
	s_mul_hi_u32 s20, s0, s19
	s_mul_i32 s19, s0, s19
	s_add_u32 s5, s5, s19
	s_mul_hi_u32 s18, s0, s17
	s_addc_u32 s1, s1, s20
	s_addc_u32 s5, s18, 0
	s_mul_i32 s17, s0, s17
	s_add_u32 s1, s1, s17
	s_addc_u32 s5, 0, s5
	v_add_co_u32_e32 v1, vcc, s1, v1
	s_cmp_lg_u64 vcc, 0
	s_addc_u32 s0, s0, s5
	v_readfirstlane_b32 s17, v1
	s_mul_i32 s5, s10, s0
	s_mul_hi_u32 s18, s10, s17
	s_mul_hi_u32 s1, s10, s0
	s_add_u32 s5, s18, s5
	s_addc_u32 s1, 0, s1
	s_mul_hi_u32 s19, s11, s17
	s_mul_i32 s17, s11, s17
	s_add_u32 s5, s5, s17
	s_mul_hi_u32 s18, s11, s0
	s_addc_u32 s1, s1, s19
	s_addc_u32 s5, s18, 0
	s_mul_i32 s0, s11, s0
	s_add_u32 s0, s1, s0
	s_addc_u32 s1, 0, s5
	s_add_u32 s5, s0, 1
	s_addc_u32 s17, s1, 0
	s_add_u32 s18, s0, 2
	s_mul_i32 s20, s1, 0x7c0
	s_mul_hi_u32 s21, s0, 0x7c0
	s_addc_u32 s19, s1, 0
	s_add_i32 s21, s21, s20
	s_mul_i32 s20, s0, 0x7c0
	v_mov_b32_e32 v1, s20
	v_sub_co_u32_e32 v1, vcc, s10, v1
	s_cmp_lg_u64 vcc, 0
	s_subb_u32 s20, s11, s21
	v_subrev_co_u32_e32 v2, vcc, s16, v1
	s_cmp_lg_u64 vcc, 0
	s_subb_u32 s16, s20, 0
	v_readfirstlane_b32 s21, v2
	s_cmpk_gt_u32 s21, 0x7bf
	s_cselect_b32 s21, -1, 0
	s_cmp_eq_u32 s16, 0
	s_cselect_b32 s16, s21, -1
	s_cmp_lg_u32 s16, 0
	s_cselect_b32 s16, s19, s17
	v_readfirstlane_b32 s17, v1
	s_cselect_b32 s5, s18, s5
	s_cmpk_gt_u32 s17, 0x7bf
	s_cselect_b32 s17, -1, 0
	s_cmp_eq_u32 s20, 0
	s_cselect_b32 s17, s17, -1
	s_cmp_lg_u32 s17, 0
	s_cselect_b32 s17, s16, s1
	s_cselect_b32 s5, s5, s0
	s_mul_i32 s0, s17, 0x7c0
	s_mul_hi_u32 s1, s5, 0x7c0
	s_add_i32 s1, s1, s0
	s_mul_i32 s0, s5, 0x7c0
	s_sub_u32 s0, s10, s0
	s_subb_u32 s1, s11, s1
	s_cmp_lg_u64 s[0:1], 0
	s_cselect_b64 s[0:1], -1, 0
	v_cndmask_b32_e64 v1, 0, 1, s[0:1]
	s_mul_i32 s4, s2, 0x7c0
	v_readfirstlane_b32 s0, v1
	s_add_u32 s16, s5, s0
	s_addc_u32 s17, s17, 0
	s_add_u32 s18, s14, s2
	s_addc_u32 s19, s15, 0
	s_add_u32 s20, s16, -1
	s_addc_u32 s21, s17, -1
	v_mov_b64_e32 v[2:3], s[20:21]
	v_cmp_ge_u64_e64 s[0:1], s[18:19], v[2:3]
	s_mov_b32 s3, 0
	s_mov_b64 s[22:23], -1
	s_and_b64 vcc, exec, s[0:1]
	s_mul_i32 s11, s20, 0xfffff840
	s_cbranch_vccz .LBB535_64
; %bb.1:
	s_mov_b32 s5, s3
	s_add_i32 s28, s11, s10
	s_lshl_b64 s[22:23], s[4:5], 1
	s_add_u32 s22, s26, s22
	s_addc_u32 s23, s27, s23
	v_cmp_gt_u32_e32 vcc, s28, v0
                                        ; implicit-def: $vgpr1
	s_and_saveexec_b64 s[24:25], vcc
	s_cbranch_execz .LBB535_3
; %bb.2:
	v_lshlrev_b32_e32 v1, 1, v0
	global_load_ushort v1, v1, s[22:23]
.LBB535_3:
	s_or_b64 exec, exec, s[24:25]
	v_or_b32_e32 v2, 64, v0
	v_cmp_gt_u32_e32 vcc, s28, v2
                                        ; implicit-def: $vgpr2
	s_and_saveexec_b64 s[24:25], vcc
	s_cbranch_execz .LBB535_5
; %bb.4:
	v_lshlrev_b32_e32 v2, 1, v0
	global_load_ushort v2, v2, s[22:23] offset:128
.LBB535_5:
	s_or_b64 exec, exec, s[24:25]
	v_or_b32_e32 v3, 0x80, v0
	v_cmp_gt_u32_e32 vcc, s28, v3
                                        ; implicit-def: $vgpr3
	s_and_saveexec_b64 s[24:25], vcc
	s_cbranch_execz .LBB535_7
; %bb.6:
	v_lshlrev_b32_e32 v3, 1, v0
	global_load_ushort v3, v3, s[22:23] offset:256
.LBB535_7:
	s_or_b64 exec, exec, s[24:25]
	v_or_b32_e32 v4, 0xc0, v0
	v_cmp_gt_u32_e32 vcc, s28, v4
                                        ; implicit-def: $vgpr4
	s_and_saveexec_b64 s[24:25], vcc
	s_cbranch_execz .LBB535_9
; %bb.8:
	v_lshlrev_b32_e32 v4, 1, v0
	global_load_ushort v4, v4, s[22:23] offset:384
.LBB535_9:
	s_or_b64 exec, exec, s[24:25]
	v_or_b32_e32 v5, 0x100, v0
	v_cmp_gt_u32_e32 vcc, s28, v5
                                        ; implicit-def: $vgpr5
	s_and_saveexec_b64 s[24:25], vcc
	s_cbranch_execz .LBB535_11
; %bb.10:
	v_lshlrev_b32_e32 v5, 1, v0
	global_load_ushort v5, v5, s[22:23] offset:512
.LBB535_11:
	s_or_b64 exec, exec, s[24:25]
	v_or_b32_e32 v6, 0x140, v0
	v_cmp_gt_u32_e32 vcc, s28, v6
                                        ; implicit-def: $vgpr6
	s_and_saveexec_b64 s[24:25], vcc
	s_cbranch_execz .LBB535_13
; %bb.12:
	v_lshlrev_b32_e32 v6, 1, v0
	global_load_ushort v6, v6, s[22:23] offset:640
.LBB535_13:
	s_or_b64 exec, exec, s[24:25]
	v_or_b32_e32 v7, 0x180, v0
	v_cmp_gt_u32_e32 vcc, s28, v7
                                        ; implicit-def: $vgpr7
	s_and_saveexec_b64 s[24:25], vcc
	s_cbranch_execz .LBB535_15
; %bb.14:
	v_lshlrev_b32_e32 v7, 1, v0
	global_load_ushort v7, v7, s[22:23] offset:768
.LBB535_15:
	s_or_b64 exec, exec, s[24:25]
	v_or_b32_e32 v8, 0x1c0, v0
	v_cmp_gt_u32_e32 vcc, s28, v8
                                        ; implicit-def: $vgpr8
	s_and_saveexec_b64 s[24:25], vcc
	s_cbranch_execz .LBB535_17
; %bb.16:
	v_lshlrev_b32_e32 v8, 1, v0
	global_load_ushort v8, v8, s[22:23] offset:896
.LBB535_17:
	s_or_b64 exec, exec, s[24:25]
	v_or_b32_e32 v9, 0x200, v0
	v_cmp_gt_u32_e32 vcc, s28, v9
                                        ; implicit-def: $vgpr9
	s_and_saveexec_b64 s[24:25], vcc
	s_cbranch_execz .LBB535_19
; %bb.18:
	v_lshlrev_b32_e32 v9, 1, v0
	global_load_ushort v9, v9, s[22:23] offset:1024
.LBB535_19:
	s_or_b64 exec, exec, s[24:25]
	v_or_b32_e32 v10, 0x240, v0
	v_cmp_gt_u32_e32 vcc, s28, v10
                                        ; implicit-def: $vgpr10
	s_and_saveexec_b64 s[24:25], vcc
	s_cbranch_execz .LBB535_21
; %bb.20:
	v_lshlrev_b32_e32 v10, 1, v0
	global_load_ushort v10, v10, s[22:23] offset:1152
.LBB535_21:
	s_or_b64 exec, exec, s[24:25]
	v_or_b32_e32 v11, 0x280, v0
	v_cmp_gt_u32_e32 vcc, s28, v11
                                        ; implicit-def: $vgpr11
	s_and_saveexec_b64 s[24:25], vcc
	s_cbranch_execz .LBB535_23
; %bb.22:
	v_lshlrev_b32_e32 v11, 1, v0
	global_load_ushort v11, v11, s[22:23] offset:1280
.LBB535_23:
	s_or_b64 exec, exec, s[24:25]
	v_or_b32_e32 v12, 0x2c0, v0
	v_cmp_gt_u32_e32 vcc, s28, v12
                                        ; implicit-def: $vgpr12
	s_and_saveexec_b64 s[24:25], vcc
	s_cbranch_execz .LBB535_25
; %bb.24:
	v_lshlrev_b32_e32 v12, 1, v0
	global_load_ushort v12, v12, s[22:23] offset:1408
.LBB535_25:
	s_or_b64 exec, exec, s[24:25]
	v_or_b32_e32 v13, 0x300, v0
	v_cmp_gt_u32_e32 vcc, s28, v13
                                        ; implicit-def: $vgpr13
	s_and_saveexec_b64 s[24:25], vcc
	s_cbranch_execz .LBB535_27
; %bb.26:
	v_lshlrev_b32_e32 v13, 1, v0
	global_load_ushort v13, v13, s[22:23] offset:1536
.LBB535_27:
	s_or_b64 exec, exec, s[24:25]
	v_or_b32_e32 v14, 0x340, v0
	v_cmp_gt_u32_e32 vcc, s28, v14
                                        ; implicit-def: $vgpr14
	s_and_saveexec_b64 s[24:25], vcc
	s_cbranch_execz .LBB535_29
; %bb.28:
	v_lshlrev_b32_e32 v14, 1, v0
	global_load_ushort v14, v14, s[22:23] offset:1664
.LBB535_29:
	s_or_b64 exec, exec, s[24:25]
	v_or_b32_e32 v15, 0x380, v0
	v_cmp_gt_u32_e32 vcc, s28, v15
                                        ; implicit-def: $vgpr15
	s_and_saveexec_b64 s[24:25], vcc
	s_cbranch_execz .LBB535_31
; %bb.30:
	v_lshlrev_b32_e32 v15, 1, v0
	global_load_ushort v15, v15, s[22:23] offset:1792
.LBB535_31:
	s_or_b64 exec, exec, s[24:25]
	v_or_b32_e32 v16, 0x3c0, v0
	v_cmp_gt_u32_e32 vcc, s28, v16
                                        ; implicit-def: $vgpr16
	s_and_saveexec_b64 s[24:25], vcc
	s_cbranch_execz .LBB535_33
; %bb.32:
	v_lshlrev_b32_e32 v16, 1, v0
	global_load_ushort v16, v16, s[22:23] offset:1920
.LBB535_33:
	s_or_b64 exec, exec, s[24:25]
	v_or_b32_e32 v17, 0x400, v0
	v_cmp_gt_u32_e32 vcc, s28, v17
                                        ; implicit-def: $vgpr17
	s_and_saveexec_b64 s[24:25], vcc
	s_cbranch_execz .LBB535_35
; %bb.34:
	v_lshlrev_b32_e32 v17, 1, v0
	global_load_ushort v17, v17, s[22:23] offset:2048
.LBB535_35:
	s_or_b64 exec, exec, s[24:25]
	v_or_b32_e32 v18, 0x440, v0
	v_cmp_gt_u32_e32 vcc, s28, v18
                                        ; implicit-def: $vgpr18
	s_and_saveexec_b64 s[24:25], vcc
	s_cbranch_execz .LBB535_37
; %bb.36:
	v_lshlrev_b32_e32 v18, 1, v0
	global_load_ushort v18, v18, s[22:23] offset:2176
.LBB535_37:
	s_or_b64 exec, exec, s[24:25]
	v_or_b32_e32 v19, 0x480, v0
	v_cmp_gt_u32_e32 vcc, s28, v19
                                        ; implicit-def: $vgpr19
	s_and_saveexec_b64 s[24:25], vcc
	s_cbranch_execz .LBB535_39
; %bb.38:
	v_lshlrev_b32_e32 v19, 1, v0
	global_load_ushort v19, v19, s[22:23] offset:2304
.LBB535_39:
	s_or_b64 exec, exec, s[24:25]
	v_or_b32_e32 v20, 0x4c0, v0
	v_cmp_gt_u32_e32 vcc, s28, v20
                                        ; implicit-def: $vgpr20
	s_and_saveexec_b64 s[24:25], vcc
	s_cbranch_execz .LBB535_41
; %bb.40:
	v_lshlrev_b32_e32 v20, 1, v0
	global_load_ushort v20, v20, s[22:23] offset:2432
.LBB535_41:
	s_or_b64 exec, exec, s[24:25]
	v_or_b32_e32 v21, 0x500, v0
	v_cmp_gt_u32_e32 vcc, s28, v21
                                        ; implicit-def: $vgpr21
	s_and_saveexec_b64 s[24:25], vcc
	s_cbranch_execz .LBB535_43
; %bb.42:
	v_lshlrev_b32_e32 v21, 1, v0
	global_load_ushort v21, v21, s[22:23] offset:2560
.LBB535_43:
	s_or_b64 exec, exec, s[24:25]
	v_or_b32_e32 v22, 0x540, v0
	v_cmp_gt_u32_e32 vcc, s28, v22
                                        ; implicit-def: $vgpr22
	s_and_saveexec_b64 s[24:25], vcc
	s_cbranch_execz .LBB535_45
; %bb.44:
	v_lshlrev_b32_e32 v22, 1, v0
	global_load_ushort v22, v22, s[22:23] offset:2688
.LBB535_45:
	s_or_b64 exec, exec, s[24:25]
	v_or_b32_e32 v23, 0x580, v0
	v_cmp_gt_u32_e32 vcc, s28, v23
                                        ; implicit-def: $vgpr23
	s_and_saveexec_b64 s[24:25], vcc
	s_cbranch_execz .LBB535_47
; %bb.46:
	v_lshlrev_b32_e32 v23, 1, v0
	global_load_ushort v23, v23, s[22:23] offset:2816
.LBB535_47:
	s_or_b64 exec, exec, s[24:25]
	v_or_b32_e32 v24, 0x5c0, v0
	v_cmp_gt_u32_e32 vcc, s28, v24
                                        ; implicit-def: $vgpr24
	s_and_saveexec_b64 s[24:25], vcc
	s_cbranch_execz .LBB535_49
; %bb.48:
	v_lshlrev_b32_e32 v24, 1, v0
	global_load_ushort v24, v24, s[22:23] offset:2944
.LBB535_49:
	s_or_b64 exec, exec, s[24:25]
	v_or_b32_e32 v25, 0x600, v0
	v_cmp_gt_u32_e32 vcc, s28, v25
                                        ; implicit-def: $vgpr25
	s_and_saveexec_b64 s[24:25], vcc
	s_cbranch_execz .LBB535_51
; %bb.50:
	v_lshlrev_b32_e32 v25, 1, v0
	global_load_ushort v25, v25, s[22:23] offset:3072
.LBB535_51:
	s_or_b64 exec, exec, s[24:25]
	v_or_b32_e32 v26, 0x640, v0
	v_cmp_gt_u32_e32 vcc, s28, v26
                                        ; implicit-def: $vgpr26
	s_and_saveexec_b64 s[24:25], vcc
	s_cbranch_execz .LBB535_53
; %bb.52:
	v_lshlrev_b32_e32 v26, 1, v0
	global_load_ushort v26, v26, s[22:23] offset:3200
.LBB535_53:
	s_or_b64 exec, exec, s[24:25]
	v_or_b32_e32 v27, 0x680, v0
	v_cmp_gt_u32_e32 vcc, s28, v27
                                        ; implicit-def: $vgpr27
	s_and_saveexec_b64 s[24:25], vcc
	s_cbranch_execz .LBB535_55
; %bb.54:
	v_lshlrev_b32_e32 v27, 1, v0
	global_load_ushort v27, v27, s[22:23] offset:3328
.LBB535_55:
	s_or_b64 exec, exec, s[24:25]
	v_or_b32_e32 v28, 0x6c0, v0
	v_cmp_gt_u32_e32 vcc, s28, v28
                                        ; implicit-def: $vgpr28
	s_and_saveexec_b64 s[24:25], vcc
	s_cbranch_execz .LBB535_57
; %bb.56:
	v_lshlrev_b32_e32 v28, 1, v0
	global_load_ushort v28, v28, s[22:23] offset:3456
.LBB535_57:
	s_or_b64 exec, exec, s[24:25]
	v_or_b32_e32 v29, 0x700, v0
	v_cmp_gt_u32_e32 vcc, s28, v29
                                        ; implicit-def: $vgpr29
	s_and_saveexec_b64 s[24:25], vcc
	s_cbranch_execz .LBB535_59
; %bb.58:
	v_lshlrev_b32_e32 v29, 1, v0
	global_load_ushort v29, v29, s[22:23] offset:3584
.LBB535_59:
	s_or_b64 exec, exec, s[24:25]
	v_or_b32_e32 v30, 0x740, v0
	v_cmp_gt_u32_e32 vcc, s28, v30
                                        ; implicit-def: $vgpr30
	s_and_saveexec_b64 s[24:25], vcc
	s_cbranch_execz .LBB535_61
; %bb.60:
	v_lshlrev_b32_e32 v30, 1, v0
	global_load_ushort v30, v30, s[22:23] offset:3712
.LBB535_61:
	s_or_b64 exec, exec, s[24:25]
	v_or_b32_e32 v31, 0x780, v0
	v_cmp_gt_u32_e32 vcc, s28, v31
                                        ; implicit-def: $vgpr31
	s_and_saveexec_b64 s[24:25], vcc
	s_cbranch_execz .LBB535_63
; %bb.62:
	v_lshlrev_b32_e32 v31, 1, v0
	global_load_ushort v31, v31, s[22:23] offset:3840
.LBB535_63:
	s_or_b64 exec, exec, s[24:25]
	v_lshlrev_b32_e32 v32, 1, v0
	s_mov_b64 s[22:23], 0
	s_waitcnt vmcnt(0)
	ds_write_b16 v32, v1
	ds_write_b16 v32, v2 offset:128
	ds_write_b16 v32, v3 offset:256
	;; [unrolled: 1-line block ×30, first 2 shown]
	s_waitcnt lgkmcnt(0)
	; wave barrier
.LBB535_64:
	s_and_b64 vcc, exec, s[22:23]
	v_lshlrev_b32_e32 v18, 1, v0
	s_cbranch_vccz .LBB535_66
; %bb.65:
	s_mov_b32 s5, 0
	s_lshl_b64 s[22:23], s[4:5], 1
	s_add_u32 s22, s26, s22
	s_addc_u32 s23, s27, s23
	global_load_ushort v1, v18, s[22:23]
	global_load_ushort v2, v18, s[22:23] offset:128
	global_load_ushort v3, v18, s[22:23] offset:256
	;; [unrolled: 1-line block ×30, first 2 shown]
	s_waitcnt vmcnt(30)
	ds_write_b16 v18, v1
	s_waitcnt vmcnt(29)
	ds_write_b16 v18, v2 offset:128
	s_waitcnt vmcnt(28)
	ds_write_b16 v18, v3 offset:256
	;; [unrolled: 2-line block ×30, first 2 shown]
	s_waitcnt lgkmcnt(0)
	; wave barrier
.LBB535_66:
	v_mul_u32_u24_e32 v1, 31, v0
	v_lshlrev_b32_e32 v1, 1, v1
	s_waitcnt lgkmcnt(0)
	ds_read_b128 v[10:13], v1
	ds_read_b128 v[6:9], v1 offset:16
	ds_read_b128 v[2:5], v1 offset:32
	ds_read_b96 v[14:16], v1 offset:48
	ds_read_u16 v1, v1 offset:60
	s_cmp_eq_u64 s[18:19], 0
	s_waitcnt lgkmcnt(0)
	; wave barrier
	s_waitcnt lgkmcnt(0)
	s_cbranch_scc1 .LBB535_71
; %bb.67:
	s_lshl_b64 s[14:15], s[14:15], 1
	s_add_u32 s5, s12, s14
	s_addc_u32 s12, s13, s15
	s_lshl_b64 s[2:3], s[2:3], 1
	s_add_u32 s2, s5, s2
	s_addc_u32 s3, s12, s3
	v_mov_b32_e32 v17, 0
	global_load_ushort v34, v17, s[2:3] offset:-2
	s_cmp_eq_u64 s[18:19], s[20:21]
	s_cbranch_scc1 .LBB535_72
; %bb.68:
	v_cmp_ne_u32_e32 vcc, 0, v0
	s_waitcnt vmcnt(0)
	v_mov_b32_e32 v17, v34
	ds_write_b16 v18, v1
	s_waitcnt lgkmcnt(0)
	; wave barrier
	s_waitcnt lgkmcnt(0)
	s_and_saveexec_b64 s[2:3], vcc
	s_cbranch_execz .LBB535_70
; %bb.69:
	v_add_u32_e32 v17, -2, v18
	ds_read_u16 v17, v17
.LBB535_70:
	s_or_b64 exec, exec, s[2:3]
	s_waitcnt lgkmcnt(0)
	v_add_u16_e32 v17, v17, v10
	s_mov_b64 s[2:3], 0
	s_branch .LBB535_73
.LBB535_71:
                                        ; implicit-def: $vgpr19
                                        ; implicit-def: $vgpr20_vgpr21
                                        ; implicit-def: $vgpr22_vgpr23
                                        ; implicit-def: $vgpr24_vgpr25
                                        ; implicit-def: $vgpr26_vgpr27
                                        ; implicit-def: $vgpr28_vgpr29
                                        ; implicit-def: $vgpr30_vgpr31
                                        ; implicit-def: $vgpr32_vgpr33
                                        ; implicit-def: $vgpr17
	s_branch .LBB535_78
.LBB535_72:
	s_mov_b64 s[2:3], -1
                                        ; implicit-def: $vgpr17
.LBB535_73:
	s_and_b64 vcc, exec, s[2:3]
	v_mov_b32_e32 v19, v16
	v_mov_b64_e32 v[20:21], v[14:15]
	v_mov_b64_e32 v[22:23], v[4:5]
	;; [unrolled: 1-line block ×7, first 2 shown]
	s_cbranch_vccz .LBB535_77
; %bb.74:
	v_mul_u32_u24_e32 v17, 31, v0
	v_cmp_ne_u32_e32 vcc, 0, v0
	ds_write_b16 v18, v1
	s_waitcnt lgkmcnt(0)
	; wave barrier
	s_waitcnt lgkmcnt(0)
	s_and_saveexec_b64 s[2:3], vcc
	s_cbranch_execz .LBB535_76
; %bb.75:
	v_add_u32_e32 v19, -2, v18
	s_waitcnt vmcnt(0)
	ds_read_u16 v34, v19
.LBB535_76:
	s_or_b64 exec, exec, s[2:3]
	s_mul_i32 s2, s18, 0xfffff840
	s_add_i32 s2, s2, s10
	v_add_u32_e32 v19, 29, v17
	v_add_u32_e32 v20, 30, v17
	v_cmp_gt_u32_e32 vcc, s2, v19
	v_lshrrev_b32_e32 v21, 16, v16
	s_mov_b32 s3, 0x5040100
	v_cndmask_b32_e32 v19, 0, v16, vcc
	v_cmp_gt_u32_e32 vcc, s2, v20
	v_add_u32_e32 v22, 25, v17
	v_lshrrev_b32_e32 v24, 16, v15
	v_cndmask_b32_e32 v20, 0, v21, vcc
	v_perm_b32 v19, v20, v19, s3
	v_add_u32_e32 v20, 27, v17
	v_add_u32_e32 v21, 28, v17
	v_cmp_gt_u32_e32 vcc, s2, v20
	v_add_u32_e32 v23, 26, v17
	v_lshrrev_b32_e32 v26, 16, v5
	v_cndmask_b32_e32 v20, 0, v15, vcc
	v_cmp_gt_u32_e32 vcc, s2, v21
	v_add_u32_e32 v25, 22, v17
	v_lshrrev_b32_e32 v28, 16, v3
	v_cndmask_b32_e32 v21, 0, v24, vcc
	v_cmp_gt_u32_e32 vcc, s2, v22
	v_perm_b32 v21, v21, v20, s3
	v_lshrrev_b32_e32 v22, 16, v14
	v_cndmask_b32_e32 v20, 0, v14, vcc
	v_cmp_gt_u32_e32 vcc, s2, v23
	v_add_u32_e32 v23, 24, v17
	v_add_u32_e32 v24, 21, v17
	v_cndmask_b32_e32 v22, 0, v22, vcc
	v_perm_b32 v20, v22, v20, s3
	v_add_u32_e32 v22, 23, v17
	v_cmp_gt_u32_e32 vcc, s2, v22
	v_add_u32_e32 v27, 18, v17
	v_lshrrev_b32_e32 v30, 16, v9
	v_cndmask_b32_e32 v22, 0, v5, vcc
	v_cmp_gt_u32_e32 vcc, s2, v23
	v_add_u32_e32 v29, 14, v17
	v_lshrrev_b32_e32 v32, 16, v7
	v_cndmask_b32_e32 v23, 0, v26, vcc
	v_cmp_gt_u32_e32 vcc, s2, v24
	v_perm_b32 v23, v23, v22, s3
	v_lshrrev_b32_e32 v24, 16, v4
	v_cndmask_b32_e32 v22, 0, v4, vcc
	v_cmp_gt_u32_e32 vcc, s2, v25
	v_add_u32_e32 v25, 20, v17
	v_add_u32_e32 v26, 17, v17
	v_cndmask_b32_e32 v24, 0, v24, vcc
	v_perm_b32 v22, v24, v22, s3
	;; [unrolled: 18-line block ×3, first 2 shown]
	v_add_u32_e32 v26, 15, v17
	v_cmp_gt_u32_e32 vcc, s2, v26
	v_add_u32_e32 v36, 2, v17
	s_nop 0
	v_cndmask_b32_e32 v26, 0, v9, vcc
	v_cmp_gt_u32_e32 vcc, s2, v27
	s_nop 1
	v_cndmask_b32_e32 v27, 0, v30, vcc
	v_cmp_gt_u32_e32 vcc, s2, v28
	v_perm_b32 v27, v27, v26, s3
	v_lshrrev_b32_e32 v28, 16, v8
	v_cndmask_b32_e32 v26, 0, v8, vcc
	v_cmp_gt_u32_e32 vcc, s2, v29
	v_add_u32_e32 v29, 12, v17
	v_add_u32_e32 v30, 9, v17
	v_cndmask_b32_e32 v28, 0, v28, vcc
	v_perm_b32 v26, v28, v26, s3
	v_add_u32_e32 v28, 11, v17
	v_cmp_gt_u32_e32 vcc, s2, v28
	s_nop 1
	v_cndmask_b32_e32 v28, 0, v7, vcc
	v_cmp_gt_u32_e32 vcc, s2, v29
	s_nop 1
	v_cndmask_b32_e32 v29, 0, v32, vcc
	v_cmp_gt_u32_e32 vcc, s2, v30
	v_perm_b32 v29, v29, v28, s3
	v_lshrrev_b32_e32 v30, 16, v6
	v_cndmask_b32_e32 v28, 0, v6, vcc
	v_cmp_gt_u32_e32 vcc, s2, v31
	v_add_u32_e32 v31, 8, v17
	v_add_u32_e32 v32, 5, v17
	v_cndmask_b32_e32 v30, 0, v30, vcc
	v_perm_b32 v28, v30, v28, s3
	v_add_u32_e32 v30, 7, v17
	v_cmp_gt_u32_e32 vcc, s2, v30
	;; [unrolled: 16-line block ×3, first 2 shown]
	s_nop 1
	v_cndmask_b32_e32 v32, 0, v11, vcc
	v_cmp_gt_u32_e32 vcc, s2, v33
	s_nop 1
	v_cndmask_b32_e32 v33, 0, v37, vcc
	v_cmp_gt_u32_e32 vcc, s2, v35
	v_perm_b32 v33, v33, v32, s3
	v_lshrrev_b32_e32 v35, 16, v10
	v_cndmask_b32_e32 v32, 0, v10, vcc
	v_cmp_gt_u32_e32 vcc, s2, v36
	s_nop 1
	v_cndmask_b32_e32 v35, 0, v35, vcc
	v_cmp_gt_u32_e32 vcc, s2, v17
	v_perm_b32 v32, v35, v32, s3
	s_waitcnt vmcnt(0) lgkmcnt(0)
	v_cndmask_b32_e32 v17, 0, v34, vcc
	v_add_u16_e32 v17, v17, v10
.LBB535_77:
	s_cbranch_execnz .LBB535_87
.LBB535_78:
	s_cmp_eq_u64 s[16:17], 1
	v_cmp_ne_u32_e32 vcc, 0, v0
	s_cbranch_scc1 .LBB535_82
; %bb.79:
	v_mov_b32_e32 v17, v10
	ds_write_b16 v18, v1
	s_waitcnt lgkmcnt(0)
	; wave barrier
	s_waitcnt lgkmcnt(0)
	s_and_saveexec_b64 s[2:3], vcc
	s_cbranch_execz .LBB535_81
; %bb.80:
	v_add_u32_e32 v17, -2, v18
	ds_read_u16 v17, v17
	s_waitcnt lgkmcnt(0)
	v_add_u16_e32 v17, v17, v10
.LBB535_81:
	s_or_b64 exec, exec, s[2:3]
	s_mov_b64 s[2:3], 0
	s_branch .LBB535_83
.LBB535_82:
	s_mov_b64 s[2:3], -1
                                        ; implicit-def: $vgpr17
.LBB535_83:
	s_andn2_b64 vcc, exec, s[2:3]
	v_mov_b32_e32 v19, v16
	v_mov_b64_e32 v[20:21], v[14:15]
	v_mov_b64_e32 v[22:23], v[4:5]
	;; [unrolled: 1-line block ×7, first 2 shown]
	s_cbranch_vccnz .LBB535_87
; %bb.84:
	v_mad_u32_u24 v19, v0, 31, 29
	v_mad_u32_u24 v20, v0, 31, 30
	v_cmp_gt_u32_e32 vcc, s10, v19
	v_lshrrev_b32_e32 v21, 16, v16
	v_mad_u32_u24 v22, v0, 31, 25
	v_cndmask_b32_e32 v19, 0, v16, vcc
	v_cmp_gt_u32_e32 vcc, s10, v20
	v_mad_u32_u24 v20, v0, 31, 27
	v_lshrrev_b32_e32 v24, 16, v15
	s_waitcnt vmcnt(0)
	v_cndmask_b32_e32 v34, 0, v21, vcc
	v_mad_u32_u24 v21, v0, 31, 28
	v_cmp_gt_u32_e32 vcc, s10, v20
	s_mov_b32 s5, 0x5040100
	v_mad_u32_u24 v23, v0, 31, 26
	v_cndmask_b32_e32 v20, 0, v15, vcc
	v_cmp_gt_u32_e32 vcc, s10, v21
	v_lshrrev_b32_e32 v26, 16, v5
	v_mad_u32_u24 v25, v0, 31, 22
	v_cndmask_b32_e32 v21, 0, v24, vcc
	v_cmp_gt_u32_e32 vcc, s10, v22
	v_perm_b32 v21, v21, v20, s5
	v_lshrrev_b32_e32 v22, 16, v14
	v_cndmask_b32_e32 v20, 0, v14, vcc
	v_cmp_gt_u32_e32 vcc, s10, v23
	v_mad_u32_u24 v23, v0, 31, 24
	v_mad_u32_u24 v24, v0, 31, 21
	v_cndmask_b32_e32 v22, 0, v22, vcc
	v_perm_b32 v20, v22, v20, s5
	v_mad_u32_u24 v22, v0, 31, 23
	v_cmp_gt_u32_e32 vcc, s10, v22
	v_lshrrev_b32_e32 v28, 16, v3
	v_mad_u32_u24 v27, v0, 31, 18
	v_cndmask_b32_e32 v22, 0, v5, vcc
	v_cmp_gt_u32_e32 vcc, s10, v23
	v_lshrrev_b32_e32 v30, 16, v9
	v_mad_u32_u24 v29, v0, 31, 14
	v_cndmask_b32_e32 v23, 0, v26, vcc
	v_cmp_gt_u32_e32 vcc, s10, v24
	v_perm_b32 v23, v23, v22, s5
	v_lshrrev_b32_e32 v24, 16, v4
	v_cndmask_b32_e32 v22, 0, v4, vcc
	v_cmp_gt_u32_e32 vcc, s10, v25
	v_mad_u32_u24 v25, v0, 31, 20
	v_mad_u32_u24 v26, v0, 31, 17
	v_cndmask_b32_e32 v24, 0, v24, vcc
	v_perm_b32 v22, v24, v22, s5
	v_mad_u32_u24 v24, v0, 31, 19
	v_cmp_gt_u32_e32 vcc, s10, v24
	v_lshrrev_b32_e32 v32, 16, v7
	;; [unrolled: 18-line block ×3, first 2 shown]
	v_mad_u32_u24 v36, v0, 31, 2
	v_cndmask_b32_e32 v26, 0, v9, vcc
	v_cmp_gt_u32_e32 vcc, s10, v27
	v_mul_u32_u24_e32 v17, 31, v0
	v_cmp_gt_u32_e64 s[2:3], s10, v17
	v_cndmask_b32_e32 v27, 0, v30, vcc
	v_cmp_gt_u32_e32 vcc, s10, v28
	v_perm_b32 v27, v27, v26, s5
	v_lshrrev_b32_e32 v28, 16, v8
	v_cndmask_b32_e32 v26, 0, v8, vcc
	v_cmp_gt_u32_e32 vcc, s10, v29
	v_mad_u32_u24 v29, v0, 31, 12
	v_mad_u32_u24 v30, v0, 31, 9
	v_cndmask_b32_e32 v28, 0, v28, vcc
	v_perm_b32 v26, v28, v26, s5
	v_mad_u32_u24 v28, v0, 31, 11
	v_cmp_gt_u32_e32 vcc, s10, v28
	v_mov_b32_e32 v17, v10
	ds_write_b16 v18, v1
	v_cndmask_b32_e32 v28, 0, v7, vcc
	v_cmp_gt_u32_e32 vcc, s10, v29
	s_waitcnt lgkmcnt(0)
	; wave barrier
	s_waitcnt lgkmcnt(0)
	v_cndmask_b32_e32 v29, 0, v32, vcc
	v_cmp_gt_u32_e32 vcc, s10, v30
	v_perm_b32 v29, v29, v28, s5
	v_lshrrev_b32_e32 v30, 16, v6
	v_cndmask_b32_e32 v28, 0, v6, vcc
	v_cmp_gt_u32_e32 vcc, s10, v31
	v_mad_u32_u24 v31, v0, 31, 8
	v_mad_u32_u24 v32, v0, 31, 5
	v_cndmask_b32_e32 v30, 0, v30, vcc
	v_perm_b32 v28, v30, v28, s5
	v_mad_u32_u24 v30, v0, 31, 7
	v_cmp_gt_u32_e32 vcc, s10, v30
	s_nop 1
	v_cndmask_b32_e32 v30, 0, v13, vcc
	v_cmp_gt_u32_e32 vcc, s10, v31
	s_nop 1
	v_cndmask_b32_e32 v31, 0, v35, vcc
	v_cmp_gt_u32_e32 vcc, s10, v32
	v_perm_b32 v31, v31, v30, s5
	v_lshrrev_b32_e32 v32, 16, v12
	v_cndmask_b32_e32 v30, 0, v12, vcc
	v_cmp_gt_u32_e32 vcc, s10, v33
	v_mad_u32_u24 v33, v0, 31, 4
	v_mad_u32_u24 v35, v0, 31, 1
	v_cndmask_b32_e32 v32, 0, v32, vcc
	v_perm_b32 v30, v32, v30, s5
	v_mad_u32_u24 v32, v0, 31, 3
	v_cmp_gt_u32_e32 vcc, s10, v32
	s_nop 1
	v_cndmask_b32_e32 v32, 0, v11, vcc
	v_cmp_gt_u32_e32 vcc, s10, v33
	s_nop 1
	v_cndmask_b32_e32 v33, 0, v37, vcc
	v_cmp_gt_u32_e32 vcc, s10, v35
	v_perm_b32 v33, v33, v32, s5
	v_lshrrev_b32_e32 v35, 16, v10
	v_cndmask_b32_e32 v32, 0, v10, vcc
	v_cmp_gt_u32_e32 vcc, s10, v36
	s_nop 1
	v_cndmask_b32_e32 v35, 0, v35, vcc
	v_cmp_ne_u32_e32 vcc, 0, v0
	v_perm_b32 v32, v35, v32, s5
	s_and_b64 s[12:13], vcc, s[2:3]
	s_and_saveexec_b64 s[2:3], s[12:13]
	s_cbranch_execz .LBB535_86
; %bb.85:
	v_add_u32_e32 v17, -2, v18
	ds_read_u16 v17, v17
	s_waitcnt lgkmcnt(0)
	v_add_u16_e32 v17, v17, v10
.LBB535_86:
	s_or_b64 exec, exec, s[2:3]
	v_perm_b32 v19, v34, v19, s5
.LBB535_87:
	s_add_u32 s6, s8, s6
	v_alignbit_b32 v10, v11, v10, 16
	v_alignbit_b32 v11, v12, v11, 16
	;; [unrolled: 1-line block ×15, first 2 shown]
	s_addc_u32 s7, s9, s7
	v_pk_add_u16 v11, v33, v11
	v_pk_add_u16 v10, v32, v10
	;; [unrolled: 1-line block ×15, first 2 shown]
	s_and_b64 vcc, exec, s[0:1]
	v_mul_u32_u24_e32 v1, 62, v0
	s_waitcnt lgkmcnt(0)
	; wave barrier
	s_cbranch_vccz .LBB535_149
; %bb.88:
	v_mul_i32_i24_e32 v52, 0xffffffc4, v0
	v_mad_u32_u24 v19, v0, 62, v52
	ds_write_b16 v1, v17
	ds_write_b128 v1, v[10:13] offset:2
	ds_write_b128 v1, v[6:9] offset:18
	;; [unrolled: 1-line block ×3, first 2 shown]
	ds_write_b96 v1, v[14:16] offset:50
	s_waitcnt lgkmcnt(0)
	; wave barrier
	s_waitcnt lgkmcnt(0)
	ds_read_u16 v51, v19 offset:128
	ds_read_u16 v50, v19 offset:256
	;; [unrolled: 1-line block ×17, first 2 shown]
	s_waitcnt vmcnt(0)
	ds_read_u16 v34, v19 offset:2304
	ds_read_u16 v33, v19 offset:2432
	;; [unrolled: 1-line block ×13, first 2 shown]
	s_mov_b32 s5, 0
	s_add_i32 s11, s11, s10
	s_lshl_b64 s[0:1], s[4:5], 1
	s_add_u32 s0, s6, s0
	s_addc_u32 s1, s7, s1
	v_mov_b32_e32 v19, 0
	v_lshl_add_u64 v[20:21], s[0:1], 0, v[18:19]
	v_cmp_gt_u32_e32 vcc, s11, v0
	s_and_saveexec_b64 s[0:1], vcc
	s_cbranch_execz .LBB535_90
; %bb.89:
	v_add_u32_e32 v19, v1, v52
	ds_read_u16 v19, v19
	s_waitcnt lgkmcnt(0)
	global_store_short v[20:21], v19, off
.LBB535_90:
	s_or_b64 exec, exec, s[0:1]
	v_or_b32_e32 v19, 64, v0
	v_cmp_gt_u32_e32 vcc, s11, v19
	s_and_saveexec_b64 s[0:1], vcc
	s_cbranch_execz .LBB535_92
; %bb.91:
	s_waitcnt lgkmcnt(14)
	global_store_short v[20:21], v51, off offset:128
.LBB535_92:
	s_or_b64 exec, exec, s[0:1]
	v_or_b32_e32 v19, 0x80, v0
	v_cmp_gt_u32_e32 vcc, s11, v19
	s_and_saveexec_b64 s[0:1], vcc
	s_cbranch_execz .LBB535_94
; %bb.93:
	s_waitcnt lgkmcnt(14)
	global_store_short v[20:21], v50, off offset:256
.LBB535_94:
	s_or_b64 exec, exec, s[0:1]
	v_or_b32_e32 v19, 0xc0, v0
	v_cmp_gt_u32_e32 vcc, s11, v19
	s_and_saveexec_b64 s[0:1], vcc
	s_cbranch_execz .LBB535_96
; %bb.95:
	s_waitcnt lgkmcnt(14)
	global_store_short v[20:21], v49, off offset:384
.LBB535_96:
	s_or_b64 exec, exec, s[0:1]
	v_or_b32_e32 v19, 0x100, v0
	v_cmp_gt_u32_e32 vcc, s11, v19
	s_and_saveexec_b64 s[0:1], vcc
	s_cbranch_execz .LBB535_98
; %bb.97:
	s_waitcnt lgkmcnt(14)
	global_store_short v[20:21], v48, off offset:512
.LBB535_98:
	s_or_b64 exec, exec, s[0:1]
	v_or_b32_e32 v19, 0x140, v0
	v_cmp_gt_u32_e32 vcc, s11, v19
	s_and_saveexec_b64 s[0:1], vcc
	s_cbranch_execz .LBB535_100
; %bb.99:
	s_waitcnt lgkmcnt(14)
	global_store_short v[20:21], v47, off offset:640
.LBB535_100:
	s_or_b64 exec, exec, s[0:1]
	v_or_b32_e32 v19, 0x180, v0
	v_cmp_gt_u32_e32 vcc, s11, v19
	s_and_saveexec_b64 s[0:1], vcc
	s_cbranch_execz .LBB535_102
; %bb.101:
	s_waitcnt lgkmcnt(14)
	global_store_short v[20:21], v46, off offset:768
.LBB535_102:
	s_or_b64 exec, exec, s[0:1]
	v_or_b32_e32 v19, 0x1c0, v0
	v_cmp_gt_u32_e32 vcc, s11, v19
	s_and_saveexec_b64 s[0:1], vcc
	s_cbranch_execz .LBB535_104
; %bb.103:
	s_waitcnt lgkmcnt(14)
	global_store_short v[20:21], v45, off offset:896
.LBB535_104:
	s_or_b64 exec, exec, s[0:1]
	v_or_b32_e32 v19, 0x200, v0
	v_cmp_gt_u32_e32 vcc, s11, v19
	s_and_saveexec_b64 s[0:1], vcc
	s_cbranch_execz .LBB535_106
; %bb.105:
	s_waitcnt lgkmcnt(14)
	global_store_short v[20:21], v44, off offset:1024
.LBB535_106:
	s_or_b64 exec, exec, s[0:1]
	v_or_b32_e32 v19, 0x240, v0
	v_cmp_gt_u32_e32 vcc, s11, v19
	s_and_saveexec_b64 s[0:1], vcc
	s_cbranch_execz .LBB535_108
; %bb.107:
	s_waitcnt lgkmcnt(14)
	global_store_short v[20:21], v43, off offset:1152
.LBB535_108:
	s_or_b64 exec, exec, s[0:1]
	v_or_b32_e32 v19, 0x280, v0
	v_cmp_gt_u32_e32 vcc, s11, v19
	s_and_saveexec_b64 s[0:1], vcc
	s_cbranch_execz .LBB535_110
; %bb.109:
	s_waitcnt lgkmcnt(14)
	global_store_short v[20:21], v42, off offset:1280
.LBB535_110:
	s_or_b64 exec, exec, s[0:1]
	v_or_b32_e32 v19, 0x2c0, v0
	v_cmp_gt_u32_e32 vcc, s11, v19
	s_and_saveexec_b64 s[0:1], vcc
	s_cbranch_execz .LBB535_112
; %bb.111:
	s_waitcnt lgkmcnt(14)
	global_store_short v[20:21], v41, off offset:1408
.LBB535_112:
	s_or_b64 exec, exec, s[0:1]
	v_or_b32_e32 v19, 0x300, v0
	v_cmp_gt_u32_e32 vcc, s11, v19
	s_and_saveexec_b64 s[0:1], vcc
	s_cbranch_execz .LBB535_114
; %bb.113:
	s_waitcnt lgkmcnt(14)
	global_store_short v[20:21], v40, off offset:1536
.LBB535_114:
	s_or_b64 exec, exec, s[0:1]
	v_or_b32_e32 v19, 0x340, v0
	v_cmp_gt_u32_e32 vcc, s11, v19
	s_and_saveexec_b64 s[0:1], vcc
	s_cbranch_execz .LBB535_116
; %bb.115:
	s_waitcnt lgkmcnt(14)
	global_store_short v[20:21], v39, off offset:1664
.LBB535_116:
	s_or_b64 exec, exec, s[0:1]
	v_or_b32_e32 v19, 0x380, v0
	v_cmp_gt_u32_e32 vcc, s11, v19
	s_and_saveexec_b64 s[0:1], vcc
	s_cbranch_execz .LBB535_118
; %bb.117:
	s_waitcnt lgkmcnt(14)
	global_store_short v[20:21], v38, off offset:1792
.LBB535_118:
	s_or_b64 exec, exec, s[0:1]
	v_or_b32_e32 v19, 0x3c0, v0
	v_cmp_gt_u32_e32 vcc, s11, v19
	s_and_saveexec_b64 s[0:1], vcc
	s_cbranch_execz .LBB535_120
; %bb.119:
	s_waitcnt lgkmcnt(14)
	global_store_short v[20:21], v37, off offset:1920
.LBB535_120:
	s_or_b64 exec, exec, s[0:1]
	v_or_b32_e32 v19, 0x400, v0
	v_cmp_gt_u32_e32 vcc, s11, v19
	s_and_saveexec_b64 s[0:1], vcc
	s_cbranch_execz .LBB535_122
; %bb.121:
	s_waitcnt lgkmcnt(14)
	global_store_short v[20:21], v36, off offset:2048
.LBB535_122:
	s_or_b64 exec, exec, s[0:1]
	v_or_b32_e32 v19, 0x440, v0
	v_cmp_gt_u32_e32 vcc, s11, v19
	s_and_saveexec_b64 s[0:1], vcc
	s_cbranch_execz .LBB535_124
; %bb.123:
	s_waitcnt lgkmcnt(13)
	global_store_short v[20:21], v35, off offset:2176
.LBB535_124:
	s_or_b64 exec, exec, s[0:1]
	v_or_b32_e32 v19, 0x480, v0
	v_cmp_gt_u32_e32 vcc, s11, v19
	s_and_saveexec_b64 s[0:1], vcc
	s_cbranch_execz .LBB535_126
; %bb.125:
	s_waitcnt lgkmcnt(12)
	global_store_short v[20:21], v34, off offset:2304
.LBB535_126:
	s_or_b64 exec, exec, s[0:1]
	v_or_b32_e32 v19, 0x4c0, v0
	v_cmp_gt_u32_e32 vcc, s11, v19
	s_and_saveexec_b64 s[0:1], vcc
	s_cbranch_execz .LBB535_128
; %bb.127:
	s_waitcnt lgkmcnt(11)
	global_store_short v[20:21], v33, off offset:2432
.LBB535_128:
	s_or_b64 exec, exec, s[0:1]
	v_or_b32_e32 v19, 0x500, v0
	v_cmp_gt_u32_e32 vcc, s11, v19
	s_and_saveexec_b64 s[0:1], vcc
	s_cbranch_execz .LBB535_130
; %bb.129:
	s_waitcnt lgkmcnt(10)
	global_store_short v[20:21], v32, off offset:2560
.LBB535_130:
	s_or_b64 exec, exec, s[0:1]
	v_or_b32_e32 v19, 0x540, v0
	v_cmp_gt_u32_e32 vcc, s11, v19
	s_and_saveexec_b64 s[0:1], vcc
	s_cbranch_execz .LBB535_132
; %bb.131:
	s_waitcnt lgkmcnt(9)
	global_store_short v[20:21], v31, off offset:2688
.LBB535_132:
	s_or_b64 exec, exec, s[0:1]
	v_or_b32_e32 v19, 0x580, v0
	v_cmp_gt_u32_e32 vcc, s11, v19
	s_and_saveexec_b64 s[0:1], vcc
	s_cbranch_execz .LBB535_134
; %bb.133:
	s_waitcnt lgkmcnt(8)
	global_store_short v[20:21], v30, off offset:2816
.LBB535_134:
	s_or_b64 exec, exec, s[0:1]
	v_or_b32_e32 v19, 0x5c0, v0
	v_cmp_gt_u32_e32 vcc, s11, v19
	s_and_saveexec_b64 s[0:1], vcc
	s_cbranch_execz .LBB535_136
; %bb.135:
	s_waitcnt lgkmcnt(7)
	global_store_short v[20:21], v29, off offset:2944
.LBB535_136:
	s_or_b64 exec, exec, s[0:1]
	v_or_b32_e32 v19, 0x600, v0
	v_cmp_gt_u32_e32 vcc, s11, v19
	s_and_saveexec_b64 s[0:1], vcc
	s_cbranch_execz .LBB535_138
; %bb.137:
	s_waitcnt lgkmcnt(6)
	global_store_short v[20:21], v28, off offset:3072
.LBB535_138:
	s_or_b64 exec, exec, s[0:1]
	v_or_b32_e32 v19, 0x640, v0
	v_cmp_gt_u32_e32 vcc, s11, v19
	s_and_saveexec_b64 s[0:1], vcc
	s_cbranch_execz .LBB535_140
; %bb.139:
	s_waitcnt lgkmcnt(5)
	global_store_short v[20:21], v27, off offset:3200
.LBB535_140:
	s_or_b64 exec, exec, s[0:1]
	v_or_b32_e32 v19, 0x680, v0
	v_cmp_gt_u32_e32 vcc, s11, v19
	s_and_saveexec_b64 s[0:1], vcc
	s_cbranch_execz .LBB535_142
; %bb.141:
	s_waitcnt lgkmcnt(4)
	global_store_short v[20:21], v26, off offset:3328
.LBB535_142:
	s_or_b64 exec, exec, s[0:1]
	v_or_b32_e32 v19, 0x6c0, v0
	v_cmp_gt_u32_e32 vcc, s11, v19
	s_and_saveexec_b64 s[0:1], vcc
	s_cbranch_execz .LBB535_144
; %bb.143:
	s_waitcnt lgkmcnt(3)
	global_store_short v[20:21], v25, off offset:3456
.LBB535_144:
	s_or_b64 exec, exec, s[0:1]
	v_or_b32_e32 v19, 0x700, v0
	v_cmp_gt_u32_e32 vcc, s11, v19
	s_and_saveexec_b64 s[0:1], vcc
	s_cbranch_execz .LBB535_146
; %bb.145:
	s_waitcnt lgkmcnt(2)
	global_store_short v[20:21], v24, off offset:3584
.LBB535_146:
	s_or_b64 exec, exec, s[0:1]
	v_or_b32_e32 v19, 0x740, v0
	v_cmp_gt_u32_e32 vcc, s11, v19
	s_and_saveexec_b64 s[0:1], vcc
	s_cbranch_execz .LBB535_148
; %bb.147:
	s_waitcnt lgkmcnt(1)
	global_store_short v[20:21], v23, off offset:3712
.LBB535_148:
	s_or_b64 exec, exec, s[0:1]
	v_or_b32_e32 v19, 0x780, v0
	v_cmp_gt_u32_e64 s[0:1], s11, v19
	s_branch .LBB535_151
.LBB535_149:
	s_mov_b64 s[0:1], 0
                                        ; implicit-def: $vgpr22
                                        ; implicit-def: $vgpr20_vgpr21
	s_cbranch_execz .LBB535_151
; %bb.150:
	ds_write_b16 v1, v17
	ds_write_b128 v1, v[10:13] offset:2
	ds_write_b128 v1, v[6:9] offset:18
	;; [unrolled: 1-line block ×3, first 2 shown]
	ds_write_b96 v1, v[14:16] offset:50
	v_mul_i32_i24_e32 v1, 0xffffffc4, v0
	s_mov_b32 s5, 0
	v_mad_u32_u24 v0, v0, 62, v1
	s_lshl_b64 s[2:3], s[4:5], 1
	s_waitcnt lgkmcnt(0)
	; wave barrier
	s_waitcnt lgkmcnt(0)
	ds_read_u16 v1, v0
	ds_read_u16 v2, v0 offset:128
	ds_read_u16 v3, v0 offset:256
	;; [unrolled: 1-line block ×27, first 2 shown]
	s_waitcnt vmcnt(0)
	ds_read_u16 v34, v0 offset:3584
	ds_read_u16 v35, v0 offset:3712
	;; [unrolled: 1-line block ×3, first 2 shown]
	s_add_u32 s2, s6, s2
	s_addc_u32 s3, s7, s3
	v_mov_b32_e32 v19, 0
	v_lshl_add_u64 v[20:21], s[2:3], 0, v[18:19]
	s_or_b64 s[0:1], s[0:1], exec
	s_waitcnt lgkmcnt(14)
	global_store_short v18, v1, s[2:3]
	global_store_short v18, v2, s[2:3] offset:128
	global_store_short v18, v3, s[2:3] offset:256
	;; [unrolled: 1-line block ×16, first 2 shown]
	s_waitcnt lgkmcnt(13)
	global_store_short v18, v23, s[2:3] offset:2176
	s_waitcnt lgkmcnt(12)
	global_store_short v18, v24, s[2:3] offset:2304
	;; [unrolled: 2-line block ×13, first 2 shown]
.LBB535_151:
	s_and_saveexec_b64 s[2:3], s[0:1]
	s_cbranch_execnz .LBB535_153
; %bb.152:
	s_endpgm
.LBB535_153:
	s_waitcnt lgkmcnt(0)
	global_store_short v[20:21], v22, off offset:3840
	s_endpgm
	.section	.rodata,"a",@progbits
	.p2align	6, 0x0
	.amdhsa_kernel _ZN7rocprim17ROCPRIM_400000_NS6detail17trampoline_kernelINS0_14default_configENS1_35adjacent_difference_config_selectorILb1EsEEZNS1_24adjacent_difference_implIS3_Lb1ELb0EPKsPsN6thrust23THRUST_200600_302600_NS4plusIsEEEE10hipError_tPvRmT2_T3_mT4_P12ihipStream_tbEUlT_E_NS1_11comp_targetILNS1_3genE5ELNS1_11target_archE942ELNS1_3gpuE9ELNS1_3repE0EEENS1_30default_config_static_selectorELNS0_4arch9wavefront6targetE1EEEvT1_
		.amdhsa_group_segment_fixed_size 3968
		.amdhsa_private_segment_fixed_size 0
		.amdhsa_kernarg_size 56
		.amdhsa_user_sgpr_count 2
		.amdhsa_user_sgpr_dispatch_ptr 0
		.amdhsa_user_sgpr_queue_ptr 0
		.amdhsa_user_sgpr_kernarg_segment_ptr 1
		.amdhsa_user_sgpr_dispatch_id 0
		.amdhsa_user_sgpr_kernarg_preload_length 0
		.amdhsa_user_sgpr_kernarg_preload_offset 0
		.amdhsa_user_sgpr_private_segment_size 0
		.amdhsa_uses_dynamic_stack 0
		.amdhsa_enable_private_segment 0
		.amdhsa_system_sgpr_workgroup_id_x 1
		.amdhsa_system_sgpr_workgroup_id_y 0
		.amdhsa_system_sgpr_workgroup_id_z 0
		.amdhsa_system_sgpr_workgroup_info 0
		.amdhsa_system_vgpr_workitem_id 0
		.amdhsa_next_free_vgpr 53
		.amdhsa_next_free_sgpr 29
		.amdhsa_accum_offset 56
		.amdhsa_reserve_vcc 1
		.amdhsa_float_round_mode_32 0
		.amdhsa_float_round_mode_16_64 0
		.amdhsa_float_denorm_mode_32 3
		.amdhsa_float_denorm_mode_16_64 3
		.amdhsa_dx10_clamp 1
		.amdhsa_ieee_mode 1
		.amdhsa_fp16_overflow 0
		.amdhsa_tg_split 0
		.amdhsa_exception_fp_ieee_invalid_op 0
		.amdhsa_exception_fp_denorm_src 0
		.amdhsa_exception_fp_ieee_div_zero 0
		.amdhsa_exception_fp_ieee_overflow 0
		.amdhsa_exception_fp_ieee_underflow 0
		.amdhsa_exception_fp_ieee_inexact 0
		.amdhsa_exception_int_div_zero 0
	.end_amdhsa_kernel
	.section	.text._ZN7rocprim17ROCPRIM_400000_NS6detail17trampoline_kernelINS0_14default_configENS1_35adjacent_difference_config_selectorILb1EsEEZNS1_24adjacent_difference_implIS3_Lb1ELb0EPKsPsN6thrust23THRUST_200600_302600_NS4plusIsEEEE10hipError_tPvRmT2_T3_mT4_P12ihipStream_tbEUlT_E_NS1_11comp_targetILNS1_3genE5ELNS1_11target_archE942ELNS1_3gpuE9ELNS1_3repE0EEENS1_30default_config_static_selectorELNS0_4arch9wavefront6targetE1EEEvT1_,"axG",@progbits,_ZN7rocprim17ROCPRIM_400000_NS6detail17trampoline_kernelINS0_14default_configENS1_35adjacent_difference_config_selectorILb1EsEEZNS1_24adjacent_difference_implIS3_Lb1ELb0EPKsPsN6thrust23THRUST_200600_302600_NS4plusIsEEEE10hipError_tPvRmT2_T3_mT4_P12ihipStream_tbEUlT_E_NS1_11comp_targetILNS1_3genE5ELNS1_11target_archE942ELNS1_3gpuE9ELNS1_3repE0EEENS1_30default_config_static_selectorELNS0_4arch9wavefront6targetE1EEEvT1_,comdat
.Lfunc_end535:
	.size	_ZN7rocprim17ROCPRIM_400000_NS6detail17trampoline_kernelINS0_14default_configENS1_35adjacent_difference_config_selectorILb1EsEEZNS1_24adjacent_difference_implIS3_Lb1ELb0EPKsPsN6thrust23THRUST_200600_302600_NS4plusIsEEEE10hipError_tPvRmT2_T3_mT4_P12ihipStream_tbEUlT_E_NS1_11comp_targetILNS1_3genE5ELNS1_11target_archE942ELNS1_3gpuE9ELNS1_3repE0EEENS1_30default_config_static_selectorELNS0_4arch9wavefront6targetE1EEEvT1_, .Lfunc_end535-_ZN7rocprim17ROCPRIM_400000_NS6detail17trampoline_kernelINS0_14default_configENS1_35adjacent_difference_config_selectorILb1EsEEZNS1_24adjacent_difference_implIS3_Lb1ELb0EPKsPsN6thrust23THRUST_200600_302600_NS4plusIsEEEE10hipError_tPvRmT2_T3_mT4_P12ihipStream_tbEUlT_E_NS1_11comp_targetILNS1_3genE5ELNS1_11target_archE942ELNS1_3gpuE9ELNS1_3repE0EEENS1_30default_config_static_selectorELNS0_4arch9wavefront6targetE1EEEvT1_
                                        ; -- End function
	.section	.AMDGPU.csdata,"",@progbits
; Kernel info:
; codeLenInByte = 6700
; NumSgprs: 35
; NumVgprs: 53
; NumAgprs: 0
; TotalNumVgprs: 53
; ScratchSize: 0
; MemoryBound: 0
; FloatMode: 240
; IeeeMode: 1
; LDSByteSize: 3968 bytes/workgroup (compile time only)
; SGPRBlocks: 4
; VGPRBlocks: 6
; NumSGPRsForWavesPerEU: 35
; NumVGPRsForWavesPerEU: 53
; AccumOffset: 56
; Occupancy: 4
; WaveLimiterHint : 1
; COMPUTE_PGM_RSRC2:SCRATCH_EN: 0
; COMPUTE_PGM_RSRC2:USER_SGPR: 2
; COMPUTE_PGM_RSRC2:TRAP_HANDLER: 0
; COMPUTE_PGM_RSRC2:TGID_X_EN: 1
; COMPUTE_PGM_RSRC2:TGID_Y_EN: 0
; COMPUTE_PGM_RSRC2:TGID_Z_EN: 0
; COMPUTE_PGM_RSRC2:TIDIG_COMP_CNT: 0
; COMPUTE_PGM_RSRC3_GFX90A:ACCUM_OFFSET: 13
; COMPUTE_PGM_RSRC3_GFX90A:TG_SPLIT: 0
	.section	.text._ZN7rocprim17ROCPRIM_400000_NS6detail17trampoline_kernelINS0_14default_configENS1_35adjacent_difference_config_selectorILb1EsEEZNS1_24adjacent_difference_implIS3_Lb1ELb0EPKsPsN6thrust23THRUST_200600_302600_NS4plusIsEEEE10hipError_tPvRmT2_T3_mT4_P12ihipStream_tbEUlT_E_NS1_11comp_targetILNS1_3genE4ELNS1_11target_archE910ELNS1_3gpuE8ELNS1_3repE0EEENS1_30default_config_static_selectorELNS0_4arch9wavefront6targetE1EEEvT1_,"axG",@progbits,_ZN7rocprim17ROCPRIM_400000_NS6detail17trampoline_kernelINS0_14default_configENS1_35adjacent_difference_config_selectorILb1EsEEZNS1_24adjacent_difference_implIS3_Lb1ELb0EPKsPsN6thrust23THRUST_200600_302600_NS4plusIsEEEE10hipError_tPvRmT2_T3_mT4_P12ihipStream_tbEUlT_E_NS1_11comp_targetILNS1_3genE4ELNS1_11target_archE910ELNS1_3gpuE8ELNS1_3repE0EEENS1_30default_config_static_selectorELNS0_4arch9wavefront6targetE1EEEvT1_,comdat
	.protected	_ZN7rocprim17ROCPRIM_400000_NS6detail17trampoline_kernelINS0_14default_configENS1_35adjacent_difference_config_selectorILb1EsEEZNS1_24adjacent_difference_implIS3_Lb1ELb0EPKsPsN6thrust23THRUST_200600_302600_NS4plusIsEEEE10hipError_tPvRmT2_T3_mT4_P12ihipStream_tbEUlT_E_NS1_11comp_targetILNS1_3genE4ELNS1_11target_archE910ELNS1_3gpuE8ELNS1_3repE0EEENS1_30default_config_static_selectorELNS0_4arch9wavefront6targetE1EEEvT1_ ; -- Begin function _ZN7rocprim17ROCPRIM_400000_NS6detail17trampoline_kernelINS0_14default_configENS1_35adjacent_difference_config_selectorILb1EsEEZNS1_24adjacent_difference_implIS3_Lb1ELb0EPKsPsN6thrust23THRUST_200600_302600_NS4plusIsEEEE10hipError_tPvRmT2_T3_mT4_P12ihipStream_tbEUlT_E_NS1_11comp_targetILNS1_3genE4ELNS1_11target_archE910ELNS1_3gpuE8ELNS1_3repE0EEENS1_30default_config_static_selectorELNS0_4arch9wavefront6targetE1EEEvT1_
	.globl	_ZN7rocprim17ROCPRIM_400000_NS6detail17trampoline_kernelINS0_14default_configENS1_35adjacent_difference_config_selectorILb1EsEEZNS1_24adjacent_difference_implIS3_Lb1ELb0EPKsPsN6thrust23THRUST_200600_302600_NS4plusIsEEEE10hipError_tPvRmT2_T3_mT4_P12ihipStream_tbEUlT_E_NS1_11comp_targetILNS1_3genE4ELNS1_11target_archE910ELNS1_3gpuE8ELNS1_3repE0EEENS1_30default_config_static_selectorELNS0_4arch9wavefront6targetE1EEEvT1_
	.p2align	8
	.type	_ZN7rocprim17ROCPRIM_400000_NS6detail17trampoline_kernelINS0_14default_configENS1_35adjacent_difference_config_selectorILb1EsEEZNS1_24adjacent_difference_implIS3_Lb1ELb0EPKsPsN6thrust23THRUST_200600_302600_NS4plusIsEEEE10hipError_tPvRmT2_T3_mT4_P12ihipStream_tbEUlT_E_NS1_11comp_targetILNS1_3genE4ELNS1_11target_archE910ELNS1_3gpuE8ELNS1_3repE0EEENS1_30default_config_static_selectorELNS0_4arch9wavefront6targetE1EEEvT1_,@function
_ZN7rocprim17ROCPRIM_400000_NS6detail17trampoline_kernelINS0_14default_configENS1_35adjacent_difference_config_selectorILb1EsEEZNS1_24adjacent_difference_implIS3_Lb1ELb0EPKsPsN6thrust23THRUST_200600_302600_NS4plusIsEEEE10hipError_tPvRmT2_T3_mT4_P12ihipStream_tbEUlT_E_NS1_11comp_targetILNS1_3genE4ELNS1_11target_archE910ELNS1_3gpuE8ELNS1_3repE0EEENS1_30default_config_static_selectorELNS0_4arch9wavefront6targetE1EEEvT1_: ; @_ZN7rocprim17ROCPRIM_400000_NS6detail17trampoline_kernelINS0_14default_configENS1_35adjacent_difference_config_selectorILb1EsEEZNS1_24adjacent_difference_implIS3_Lb1ELb0EPKsPsN6thrust23THRUST_200600_302600_NS4plusIsEEEE10hipError_tPvRmT2_T3_mT4_P12ihipStream_tbEUlT_E_NS1_11comp_targetILNS1_3genE4ELNS1_11target_archE910ELNS1_3gpuE8ELNS1_3repE0EEENS1_30default_config_static_selectorELNS0_4arch9wavefront6targetE1EEEvT1_
; %bb.0:
	.section	.rodata,"a",@progbits
	.p2align	6, 0x0
	.amdhsa_kernel _ZN7rocprim17ROCPRIM_400000_NS6detail17trampoline_kernelINS0_14default_configENS1_35adjacent_difference_config_selectorILb1EsEEZNS1_24adjacent_difference_implIS3_Lb1ELb0EPKsPsN6thrust23THRUST_200600_302600_NS4plusIsEEEE10hipError_tPvRmT2_T3_mT4_P12ihipStream_tbEUlT_E_NS1_11comp_targetILNS1_3genE4ELNS1_11target_archE910ELNS1_3gpuE8ELNS1_3repE0EEENS1_30default_config_static_selectorELNS0_4arch9wavefront6targetE1EEEvT1_
		.amdhsa_group_segment_fixed_size 0
		.amdhsa_private_segment_fixed_size 0
		.amdhsa_kernarg_size 56
		.amdhsa_user_sgpr_count 2
		.amdhsa_user_sgpr_dispatch_ptr 0
		.amdhsa_user_sgpr_queue_ptr 0
		.amdhsa_user_sgpr_kernarg_segment_ptr 1
		.amdhsa_user_sgpr_dispatch_id 0
		.amdhsa_user_sgpr_kernarg_preload_length 0
		.amdhsa_user_sgpr_kernarg_preload_offset 0
		.amdhsa_user_sgpr_private_segment_size 0
		.amdhsa_uses_dynamic_stack 0
		.amdhsa_enable_private_segment 0
		.amdhsa_system_sgpr_workgroup_id_x 1
		.amdhsa_system_sgpr_workgroup_id_y 0
		.amdhsa_system_sgpr_workgroup_id_z 0
		.amdhsa_system_sgpr_workgroup_info 0
		.amdhsa_system_vgpr_workitem_id 0
		.amdhsa_next_free_vgpr 1
		.amdhsa_next_free_sgpr 0
		.amdhsa_accum_offset 4
		.amdhsa_reserve_vcc 0
		.amdhsa_float_round_mode_32 0
		.amdhsa_float_round_mode_16_64 0
		.amdhsa_float_denorm_mode_32 3
		.amdhsa_float_denorm_mode_16_64 3
		.amdhsa_dx10_clamp 1
		.amdhsa_ieee_mode 1
		.amdhsa_fp16_overflow 0
		.amdhsa_tg_split 0
		.amdhsa_exception_fp_ieee_invalid_op 0
		.amdhsa_exception_fp_denorm_src 0
		.amdhsa_exception_fp_ieee_div_zero 0
		.amdhsa_exception_fp_ieee_overflow 0
		.amdhsa_exception_fp_ieee_underflow 0
		.amdhsa_exception_fp_ieee_inexact 0
		.amdhsa_exception_int_div_zero 0
	.end_amdhsa_kernel
	.section	.text._ZN7rocprim17ROCPRIM_400000_NS6detail17trampoline_kernelINS0_14default_configENS1_35adjacent_difference_config_selectorILb1EsEEZNS1_24adjacent_difference_implIS3_Lb1ELb0EPKsPsN6thrust23THRUST_200600_302600_NS4plusIsEEEE10hipError_tPvRmT2_T3_mT4_P12ihipStream_tbEUlT_E_NS1_11comp_targetILNS1_3genE4ELNS1_11target_archE910ELNS1_3gpuE8ELNS1_3repE0EEENS1_30default_config_static_selectorELNS0_4arch9wavefront6targetE1EEEvT1_,"axG",@progbits,_ZN7rocprim17ROCPRIM_400000_NS6detail17trampoline_kernelINS0_14default_configENS1_35adjacent_difference_config_selectorILb1EsEEZNS1_24adjacent_difference_implIS3_Lb1ELb0EPKsPsN6thrust23THRUST_200600_302600_NS4plusIsEEEE10hipError_tPvRmT2_T3_mT4_P12ihipStream_tbEUlT_E_NS1_11comp_targetILNS1_3genE4ELNS1_11target_archE910ELNS1_3gpuE8ELNS1_3repE0EEENS1_30default_config_static_selectorELNS0_4arch9wavefront6targetE1EEEvT1_,comdat
.Lfunc_end536:
	.size	_ZN7rocprim17ROCPRIM_400000_NS6detail17trampoline_kernelINS0_14default_configENS1_35adjacent_difference_config_selectorILb1EsEEZNS1_24adjacent_difference_implIS3_Lb1ELb0EPKsPsN6thrust23THRUST_200600_302600_NS4plusIsEEEE10hipError_tPvRmT2_T3_mT4_P12ihipStream_tbEUlT_E_NS1_11comp_targetILNS1_3genE4ELNS1_11target_archE910ELNS1_3gpuE8ELNS1_3repE0EEENS1_30default_config_static_selectorELNS0_4arch9wavefront6targetE1EEEvT1_, .Lfunc_end536-_ZN7rocprim17ROCPRIM_400000_NS6detail17trampoline_kernelINS0_14default_configENS1_35adjacent_difference_config_selectorILb1EsEEZNS1_24adjacent_difference_implIS3_Lb1ELb0EPKsPsN6thrust23THRUST_200600_302600_NS4plusIsEEEE10hipError_tPvRmT2_T3_mT4_P12ihipStream_tbEUlT_E_NS1_11comp_targetILNS1_3genE4ELNS1_11target_archE910ELNS1_3gpuE8ELNS1_3repE0EEENS1_30default_config_static_selectorELNS0_4arch9wavefront6targetE1EEEvT1_
                                        ; -- End function
	.section	.AMDGPU.csdata,"",@progbits
; Kernel info:
; codeLenInByte = 0
; NumSgprs: 6
; NumVgprs: 0
; NumAgprs: 0
; TotalNumVgprs: 0
; ScratchSize: 0
; MemoryBound: 0
; FloatMode: 240
; IeeeMode: 1
; LDSByteSize: 0 bytes/workgroup (compile time only)
; SGPRBlocks: 0
; VGPRBlocks: 0
; NumSGPRsForWavesPerEU: 6
; NumVGPRsForWavesPerEU: 1
; AccumOffset: 4
; Occupancy: 8
; WaveLimiterHint : 0
; COMPUTE_PGM_RSRC2:SCRATCH_EN: 0
; COMPUTE_PGM_RSRC2:USER_SGPR: 2
; COMPUTE_PGM_RSRC2:TRAP_HANDLER: 0
; COMPUTE_PGM_RSRC2:TGID_X_EN: 1
; COMPUTE_PGM_RSRC2:TGID_Y_EN: 0
; COMPUTE_PGM_RSRC2:TGID_Z_EN: 0
; COMPUTE_PGM_RSRC2:TIDIG_COMP_CNT: 0
; COMPUTE_PGM_RSRC3_GFX90A:ACCUM_OFFSET: 0
; COMPUTE_PGM_RSRC3_GFX90A:TG_SPLIT: 0
	.section	.text._ZN7rocprim17ROCPRIM_400000_NS6detail17trampoline_kernelINS0_14default_configENS1_35adjacent_difference_config_selectorILb1EsEEZNS1_24adjacent_difference_implIS3_Lb1ELb0EPKsPsN6thrust23THRUST_200600_302600_NS4plusIsEEEE10hipError_tPvRmT2_T3_mT4_P12ihipStream_tbEUlT_E_NS1_11comp_targetILNS1_3genE3ELNS1_11target_archE908ELNS1_3gpuE7ELNS1_3repE0EEENS1_30default_config_static_selectorELNS0_4arch9wavefront6targetE1EEEvT1_,"axG",@progbits,_ZN7rocprim17ROCPRIM_400000_NS6detail17trampoline_kernelINS0_14default_configENS1_35adjacent_difference_config_selectorILb1EsEEZNS1_24adjacent_difference_implIS3_Lb1ELb0EPKsPsN6thrust23THRUST_200600_302600_NS4plusIsEEEE10hipError_tPvRmT2_T3_mT4_P12ihipStream_tbEUlT_E_NS1_11comp_targetILNS1_3genE3ELNS1_11target_archE908ELNS1_3gpuE7ELNS1_3repE0EEENS1_30default_config_static_selectorELNS0_4arch9wavefront6targetE1EEEvT1_,comdat
	.protected	_ZN7rocprim17ROCPRIM_400000_NS6detail17trampoline_kernelINS0_14default_configENS1_35adjacent_difference_config_selectorILb1EsEEZNS1_24adjacent_difference_implIS3_Lb1ELb0EPKsPsN6thrust23THRUST_200600_302600_NS4plusIsEEEE10hipError_tPvRmT2_T3_mT4_P12ihipStream_tbEUlT_E_NS1_11comp_targetILNS1_3genE3ELNS1_11target_archE908ELNS1_3gpuE7ELNS1_3repE0EEENS1_30default_config_static_selectorELNS0_4arch9wavefront6targetE1EEEvT1_ ; -- Begin function _ZN7rocprim17ROCPRIM_400000_NS6detail17trampoline_kernelINS0_14default_configENS1_35adjacent_difference_config_selectorILb1EsEEZNS1_24adjacent_difference_implIS3_Lb1ELb0EPKsPsN6thrust23THRUST_200600_302600_NS4plusIsEEEE10hipError_tPvRmT2_T3_mT4_P12ihipStream_tbEUlT_E_NS1_11comp_targetILNS1_3genE3ELNS1_11target_archE908ELNS1_3gpuE7ELNS1_3repE0EEENS1_30default_config_static_selectorELNS0_4arch9wavefront6targetE1EEEvT1_
	.globl	_ZN7rocprim17ROCPRIM_400000_NS6detail17trampoline_kernelINS0_14default_configENS1_35adjacent_difference_config_selectorILb1EsEEZNS1_24adjacent_difference_implIS3_Lb1ELb0EPKsPsN6thrust23THRUST_200600_302600_NS4plusIsEEEE10hipError_tPvRmT2_T3_mT4_P12ihipStream_tbEUlT_E_NS1_11comp_targetILNS1_3genE3ELNS1_11target_archE908ELNS1_3gpuE7ELNS1_3repE0EEENS1_30default_config_static_selectorELNS0_4arch9wavefront6targetE1EEEvT1_
	.p2align	8
	.type	_ZN7rocprim17ROCPRIM_400000_NS6detail17trampoline_kernelINS0_14default_configENS1_35adjacent_difference_config_selectorILb1EsEEZNS1_24adjacent_difference_implIS3_Lb1ELb0EPKsPsN6thrust23THRUST_200600_302600_NS4plusIsEEEE10hipError_tPvRmT2_T3_mT4_P12ihipStream_tbEUlT_E_NS1_11comp_targetILNS1_3genE3ELNS1_11target_archE908ELNS1_3gpuE7ELNS1_3repE0EEENS1_30default_config_static_selectorELNS0_4arch9wavefront6targetE1EEEvT1_,@function
_ZN7rocprim17ROCPRIM_400000_NS6detail17trampoline_kernelINS0_14default_configENS1_35adjacent_difference_config_selectorILb1EsEEZNS1_24adjacent_difference_implIS3_Lb1ELb0EPKsPsN6thrust23THRUST_200600_302600_NS4plusIsEEEE10hipError_tPvRmT2_T3_mT4_P12ihipStream_tbEUlT_E_NS1_11comp_targetILNS1_3genE3ELNS1_11target_archE908ELNS1_3gpuE7ELNS1_3repE0EEENS1_30default_config_static_selectorELNS0_4arch9wavefront6targetE1EEEvT1_: ; @_ZN7rocprim17ROCPRIM_400000_NS6detail17trampoline_kernelINS0_14default_configENS1_35adjacent_difference_config_selectorILb1EsEEZNS1_24adjacent_difference_implIS3_Lb1ELb0EPKsPsN6thrust23THRUST_200600_302600_NS4plusIsEEEE10hipError_tPvRmT2_T3_mT4_P12ihipStream_tbEUlT_E_NS1_11comp_targetILNS1_3genE3ELNS1_11target_archE908ELNS1_3gpuE7ELNS1_3repE0EEENS1_30default_config_static_selectorELNS0_4arch9wavefront6targetE1EEEvT1_
; %bb.0:
	.section	.rodata,"a",@progbits
	.p2align	6, 0x0
	.amdhsa_kernel _ZN7rocprim17ROCPRIM_400000_NS6detail17trampoline_kernelINS0_14default_configENS1_35adjacent_difference_config_selectorILb1EsEEZNS1_24adjacent_difference_implIS3_Lb1ELb0EPKsPsN6thrust23THRUST_200600_302600_NS4plusIsEEEE10hipError_tPvRmT2_T3_mT4_P12ihipStream_tbEUlT_E_NS1_11comp_targetILNS1_3genE3ELNS1_11target_archE908ELNS1_3gpuE7ELNS1_3repE0EEENS1_30default_config_static_selectorELNS0_4arch9wavefront6targetE1EEEvT1_
		.amdhsa_group_segment_fixed_size 0
		.amdhsa_private_segment_fixed_size 0
		.amdhsa_kernarg_size 56
		.amdhsa_user_sgpr_count 2
		.amdhsa_user_sgpr_dispatch_ptr 0
		.amdhsa_user_sgpr_queue_ptr 0
		.amdhsa_user_sgpr_kernarg_segment_ptr 1
		.amdhsa_user_sgpr_dispatch_id 0
		.amdhsa_user_sgpr_kernarg_preload_length 0
		.amdhsa_user_sgpr_kernarg_preload_offset 0
		.amdhsa_user_sgpr_private_segment_size 0
		.amdhsa_uses_dynamic_stack 0
		.amdhsa_enable_private_segment 0
		.amdhsa_system_sgpr_workgroup_id_x 1
		.amdhsa_system_sgpr_workgroup_id_y 0
		.amdhsa_system_sgpr_workgroup_id_z 0
		.amdhsa_system_sgpr_workgroup_info 0
		.amdhsa_system_vgpr_workitem_id 0
		.amdhsa_next_free_vgpr 1
		.amdhsa_next_free_sgpr 0
		.amdhsa_accum_offset 4
		.amdhsa_reserve_vcc 0
		.amdhsa_float_round_mode_32 0
		.amdhsa_float_round_mode_16_64 0
		.amdhsa_float_denorm_mode_32 3
		.amdhsa_float_denorm_mode_16_64 3
		.amdhsa_dx10_clamp 1
		.amdhsa_ieee_mode 1
		.amdhsa_fp16_overflow 0
		.amdhsa_tg_split 0
		.amdhsa_exception_fp_ieee_invalid_op 0
		.amdhsa_exception_fp_denorm_src 0
		.amdhsa_exception_fp_ieee_div_zero 0
		.amdhsa_exception_fp_ieee_overflow 0
		.amdhsa_exception_fp_ieee_underflow 0
		.amdhsa_exception_fp_ieee_inexact 0
		.amdhsa_exception_int_div_zero 0
	.end_amdhsa_kernel
	.section	.text._ZN7rocprim17ROCPRIM_400000_NS6detail17trampoline_kernelINS0_14default_configENS1_35adjacent_difference_config_selectorILb1EsEEZNS1_24adjacent_difference_implIS3_Lb1ELb0EPKsPsN6thrust23THRUST_200600_302600_NS4plusIsEEEE10hipError_tPvRmT2_T3_mT4_P12ihipStream_tbEUlT_E_NS1_11comp_targetILNS1_3genE3ELNS1_11target_archE908ELNS1_3gpuE7ELNS1_3repE0EEENS1_30default_config_static_selectorELNS0_4arch9wavefront6targetE1EEEvT1_,"axG",@progbits,_ZN7rocprim17ROCPRIM_400000_NS6detail17trampoline_kernelINS0_14default_configENS1_35adjacent_difference_config_selectorILb1EsEEZNS1_24adjacent_difference_implIS3_Lb1ELb0EPKsPsN6thrust23THRUST_200600_302600_NS4plusIsEEEE10hipError_tPvRmT2_T3_mT4_P12ihipStream_tbEUlT_E_NS1_11comp_targetILNS1_3genE3ELNS1_11target_archE908ELNS1_3gpuE7ELNS1_3repE0EEENS1_30default_config_static_selectorELNS0_4arch9wavefront6targetE1EEEvT1_,comdat
.Lfunc_end537:
	.size	_ZN7rocprim17ROCPRIM_400000_NS6detail17trampoline_kernelINS0_14default_configENS1_35adjacent_difference_config_selectorILb1EsEEZNS1_24adjacent_difference_implIS3_Lb1ELb0EPKsPsN6thrust23THRUST_200600_302600_NS4plusIsEEEE10hipError_tPvRmT2_T3_mT4_P12ihipStream_tbEUlT_E_NS1_11comp_targetILNS1_3genE3ELNS1_11target_archE908ELNS1_3gpuE7ELNS1_3repE0EEENS1_30default_config_static_selectorELNS0_4arch9wavefront6targetE1EEEvT1_, .Lfunc_end537-_ZN7rocprim17ROCPRIM_400000_NS6detail17trampoline_kernelINS0_14default_configENS1_35adjacent_difference_config_selectorILb1EsEEZNS1_24adjacent_difference_implIS3_Lb1ELb0EPKsPsN6thrust23THRUST_200600_302600_NS4plusIsEEEE10hipError_tPvRmT2_T3_mT4_P12ihipStream_tbEUlT_E_NS1_11comp_targetILNS1_3genE3ELNS1_11target_archE908ELNS1_3gpuE7ELNS1_3repE0EEENS1_30default_config_static_selectorELNS0_4arch9wavefront6targetE1EEEvT1_
                                        ; -- End function
	.section	.AMDGPU.csdata,"",@progbits
; Kernel info:
; codeLenInByte = 0
; NumSgprs: 6
; NumVgprs: 0
; NumAgprs: 0
; TotalNumVgprs: 0
; ScratchSize: 0
; MemoryBound: 0
; FloatMode: 240
; IeeeMode: 1
; LDSByteSize: 0 bytes/workgroup (compile time only)
; SGPRBlocks: 0
; VGPRBlocks: 0
; NumSGPRsForWavesPerEU: 6
; NumVGPRsForWavesPerEU: 1
; AccumOffset: 4
; Occupancy: 8
; WaveLimiterHint : 0
; COMPUTE_PGM_RSRC2:SCRATCH_EN: 0
; COMPUTE_PGM_RSRC2:USER_SGPR: 2
; COMPUTE_PGM_RSRC2:TRAP_HANDLER: 0
; COMPUTE_PGM_RSRC2:TGID_X_EN: 1
; COMPUTE_PGM_RSRC2:TGID_Y_EN: 0
; COMPUTE_PGM_RSRC2:TGID_Z_EN: 0
; COMPUTE_PGM_RSRC2:TIDIG_COMP_CNT: 0
; COMPUTE_PGM_RSRC3_GFX90A:ACCUM_OFFSET: 0
; COMPUTE_PGM_RSRC3_GFX90A:TG_SPLIT: 0
	.section	.text._ZN7rocprim17ROCPRIM_400000_NS6detail17trampoline_kernelINS0_14default_configENS1_35adjacent_difference_config_selectorILb1EsEEZNS1_24adjacent_difference_implIS3_Lb1ELb0EPKsPsN6thrust23THRUST_200600_302600_NS4plusIsEEEE10hipError_tPvRmT2_T3_mT4_P12ihipStream_tbEUlT_E_NS1_11comp_targetILNS1_3genE2ELNS1_11target_archE906ELNS1_3gpuE6ELNS1_3repE0EEENS1_30default_config_static_selectorELNS0_4arch9wavefront6targetE1EEEvT1_,"axG",@progbits,_ZN7rocprim17ROCPRIM_400000_NS6detail17trampoline_kernelINS0_14default_configENS1_35adjacent_difference_config_selectorILb1EsEEZNS1_24adjacent_difference_implIS3_Lb1ELb0EPKsPsN6thrust23THRUST_200600_302600_NS4plusIsEEEE10hipError_tPvRmT2_T3_mT4_P12ihipStream_tbEUlT_E_NS1_11comp_targetILNS1_3genE2ELNS1_11target_archE906ELNS1_3gpuE6ELNS1_3repE0EEENS1_30default_config_static_selectorELNS0_4arch9wavefront6targetE1EEEvT1_,comdat
	.protected	_ZN7rocprim17ROCPRIM_400000_NS6detail17trampoline_kernelINS0_14default_configENS1_35adjacent_difference_config_selectorILb1EsEEZNS1_24adjacent_difference_implIS3_Lb1ELb0EPKsPsN6thrust23THRUST_200600_302600_NS4plusIsEEEE10hipError_tPvRmT2_T3_mT4_P12ihipStream_tbEUlT_E_NS1_11comp_targetILNS1_3genE2ELNS1_11target_archE906ELNS1_3gpuE6ELNS1_3repE0EEENS1_30default_config_static_selectorELNS0_4arch9wavefront6targetE1EEEvT1_ ; -- Begin function _ZN7rocprim17ROCPRIM_400000_NS6detail17trampoline_kernelINS0_14default_configENS1_35adjacent_difference_config_selectorILb1EsEEZNS1_24adjacent_difference_implIS3_Lb1ELb0EPKsPsN6thrust23THRUST_200600_302600_NS4plusIsEEEE10hipError_tPvRmT2_T3_mT4_P12ihipStream_tbEUlT_E_NS1_11comp_targetILNS1_3genE2ELNS1_11target_archE906ELNS1_3gpuE6ELNS1_3repE0EEENS1_30default_config_static_selectorELNS0_4arch9wavefront6targetE1EEEvT1_
	.globl	_ZN7rocprim17ROCPRIM_400000_NS6detail17trampoline_kernelINS0_14default_configENS1_35adjacent_difference_config_selectorILb1EsEEZNS1_24adjacent_difference_implIS3_Lb1ELb0EPKsPsN6thrust23THRUST_200600_302600_NS4plusIsEEEE10hipError_tPvRmT2_T3_mT4_P12ihipStream_tbEUlT_E_NS1_11comp_targetILNS1_3genE2ELNS1_11target_archE906ELNS1_3gpuE6ELNS1_3repE0EEENS1_30default_config_static_selectorELNS0_4arch9wavefront6targetE1EEEvT1_
	.p2align	8
	.type	_ZN7rocprim17ROCPRIM_400000_NS6detail17trampoline_kernelINS0_14default_configENS1_35adjacent_difference_config_selectorILb1EsEEZNS1_24adjacent_difference_implIS3_Lb1ELb0EPKsPsN6thrust23THRUST_200600_302600_NS4plusIsEEEE10hipError_tPvRmT2_T3_mT4_P12ihipStream_tbEUlT_E_NS1_11comp_targetILNS1_3genE2ELNS1_11target_archE906ELNS1_3gpuE6ELNS1_3repE0EEENS1_30default_config_static_selectorELNS0_4arch9wavefront6targetE1EEEvT1_,@function
_ZN7rocprim17ROCPRIM_400000_NS6detail17trampoline_kernelINS0_14default_configENS1_35adjacent_difference_config_selectorILb1EsEEZNS1_24adjacent_difference_implIS3_Lb1ELb0EPKsPsN6thrust23THRUST_200600_302600_NS4plusIsEEEE10hipError_tPvRmT2_T3_mT4_P12ihipStream_tbEUlT_E_NS1_11comp_targetILNS1_3genE2ELNS1_11target_archE906ELNS1_3gpuE6ELNS1_3repE0EEENS1_30default_config_static_selectorELNS0_4arch9wavefront6targetE1EEEvT1_: ; @_ZN7rocprim17ROCPRIM_400000_NS6detail17trampoline_kernelINS0_14default_configENS1_35adjacent_difference_config_selectorILb1EsEEZNS1_24adjacent_difference_implIS3_Lb1ELb0EPKsPsN6thrust23THRUST_200600_302600_NS4plusIsEEEE10hipError_tPvRmT2_T3_mT4_P12ihipStream_tbEUlT_E_NS1_11comp_targetILNS1_3genE2ELNS1_11target_archE906ELNS1_3gpuE6ELNS1_3repE0EEENS1_30default_config_static_selectorELNS0_4arch9wavefront6targetE1EEEvT1_
; %bb.0:
	.section	.rodata,"a",@progbits
	.p2align	6, 0x0
	.amdhsa_kernel _ZN7rocprim17ROCPRIM_400000_NS6detail17trampoline_kernelINS0_14default_configENS1_35adjacent_difference_config_selectorILb1EsEEZNS1_24adjacent_difference_implIS3_Lb1ELb0EPKsPsN6thrust23THRUST_200600_302600_NS4plusIsEEEE10hipError_tPvRmT2_T3_mT4_P12ihipStream_tbEUlT_E_NS1_11comp_targetILNS1_3genE2ELNS1_11target_archE906ELNS1_3gpuE6ELNS1_3repE0EEENS1_30default_config_static_selectorELNS0_4arch9wavefront6targetE1EEEvT1_
		.amdhsa_group_segment_fixed_size 0
		.amdhsa_private_segment_fixed_size 0
		.amdhsa_kernarg_size 56
		.amdhsa_user_sgpr_count 2
		.amdhsa_user_sgpr_dispatch_ptr 0
		.amdhsa_user_sgpr_queue_ptr 0
		.amdhsa_user_sgpr_kernarg_segment_ptr 1
		.amdhsa_user_sgpr_dispatch_id 0
		.amdhsa_user_sgpr_kernarg_preload_length 0
		.amdhsa_user_sgpr_kernarg_preload_offset 0
		.amdhsa_user_sgpr_private_segment_size 0
		.amdhsa_uses_dynamic_stack 0
		.amdhsa_enable_private_segment 0
		.amdhsa_system_sgpr_workgroup_id_x 1
		.amdhsa_system_sgpr_workgroup_id_y 0
		.amdhsa_system_sgpr_workgroup_id_z 0
		.amdhsa_system_sgpr_workgroup_info 0
		.amdhsa_system_vgpr_workitem_id 0
		.amdhsa_next_free_vgpr 1
		.amdhsa_next_free_sgpr 0
		.amdhsa_accum_offset 4
		.amdhsa_reserve_vcc 0
		.amdhsa_float_round_mode_32 0
		.amdhsa_float_round_mode_16_64 0
		.amdhsa_float_denorm_mode_32 3
		.amdhsa_float_denorm_mode_16_64 3
		.amdhsa_dx10_clamp 1
		.amdhsa_ieee_mode 1
		.amdhsa_fp16_overflow 0
		.amdhsa_tg_split 0
		.amdhsa_exception_fp_ieee_invalid_op 0
		.amdhsa_exception_fp_denorm_src 0
		.amdhsa_exception_fp_ieee_div_zero 0
		.amdhsa_exception_fp_ieee_overflow 0
		.amdhsa_exception_fp_ieee_underflow 0
		.amdhsa_exception_fp_ieee_inexact 0
		.amdhsa_exception_int_div_zero 0
	.end_amdhsa_kernel
	.section	.text._ZN7rocprim17ROCPRIM_400000_NS6detail17trampoline_kernelINS0_14default_configENS1_35adjacent_difference_config_selectorILb1EsEEZNS1_24adjacent_difference_implIS3_Lb1ELb0EPKsPsN6thrust23THRUST_200600_302600_NS4plusIsEEEE10hipError_tPvRmT2_T3_mT4_P12ihipStream_tbEUlT_E_NS1_11comp_targetILNS1_3genE2ELNS1_11target_archE906ELNS1_3gpuE6ELNS1_3repE0EEENS1_30default_config_static_selectorELNS0_4arch9wavefront6targetE1EEEvT1_,"axG",@progbits,_ZN7rocprim17ROCPRIM_400000_NS6detail17trampoline_kernelINS0_14default_configENS1_35adjacent_difference_config_selectorILb1EsEEZNS1_24adjacent_difference_implIS3_Lb1ELb0EPKsPsN6thrust23THRUST_200600_302600_NS4plusIsEEEE10hipError_tPvRmT2_T3_mT4_P12ihipStream_tbEUlT_E_NS1_11comp_targetILNS1_3genE2ELNS1_11target_archE906ELNS1_3gpuE6ELNS1_3repE0EEENS1_30default_config_static_selectorELNS0_4arch9wavefront6targetE1EEEvT1_,comdat
.Lfunc_end538:
	.size	_ZN7rocprim17ROCPRIM_400000_NS6detail17trampoline_kernelINS0_14default_configENS1_35adjacent_difference_config_selectorILb1EsEEZNS1_24adjacent_difference_implIS3_Lb1ELb0EPKsPsN6thrust23THRUST_200600_302600_NS4plusIsEEEE10hipError_tPvRmT2_T3_mT4_P12ihipStream_tbEUlT_E_NS1_11comp_targetILNS1_3genE2ELNS1_11target_archE906ELNS1_3gpuE6ELNS1_3repE0EEENS1_30default_config_static_selectorELNS0_4arch9wavefront6targetE1EEEvT1_, .Lfunc_end538-_ZN7rocprim17ROCPRIM_400000_NS6detail17trampoline_kernelINS0_14default_configENS1_35adjacent_difference_config_selectorILb1EsEEZNS1_24adjacent_difference_implIS3_Lb1ELb0EPKsPsN6thrust23THRUST_200600_302600_NS4plusIsEEEE10hipError_tPvRmT2_T3_mT4_P12ihipStream_tbEUlT_E_NS1_11comp_targetILNS1_3genE2ELNS1_11target_archE906ELNS1_3gpuE6ELNS1_3repE0EEENS1_30default_config_static_selectorELNS0_4arch9wavefront6targetE1EEEvT1_
                                        ; -- End function
	.section	.AMDGPU.csdata,"",@progbits
; Kernel info:
; codeLenInByte = 0
; NumSgprs: 6
; NumVgprs: 0
; NumAgprs: 0
; TotalNumVgprs: 0
; ScratchSize: 0
; MemoryBound: 0
; FloatMode: 240
; IeeeMode: 1
; LDSByteSize: 0 bytes/workgroup (compile time only)
; SGPRBlocks: 0
; VGPRBlocks: 0
; NumSGPRsForWavesPerEU: 6
; NumVGPRsForWavesPerEU: 1
; AccumOffset: 4
; Occupancy: 8
; WaveLimiterHint : 0
; COMPUTE_PGM_RSRC2:SCRATCH_EN: 0
; COMPUTE_PGM_RSRC2:USER_SGPR: 2
; COMPUTE_PGM_RSRC2:TRAP_HANDLER: 0
; COMPUTE_PGM_RSRC2:TGID_X_EN: 1
; COMPUTE_PGM_RSRC2:TGID_Y_EN: 0
; COMPUTE_PGM_RSRC2:TGID_Z_EN: 0
; COMPUTE_PGM_RSRC2:TIDIG_COMP_CNT: 0
; COMPUTE_PGM_RSRC3_GFX90A:ACCUM_OFFSET: 0
; COMPUTE_PGM_RSRC3_GFX90A:TG_SPLIT: 0
	.section	.text._ZN7rocprim17ROCPRIM_400000_NS6detail17trampoline_kernelINS0_14default_configENS1_35adjacent_difference_config_selectorILb1EsEEZNS1_24adjacent_difference_implIS3_Lb1ELb0EPKsPsN6thrust23THRUST_200600_302600_NS4plusIsEEEE10hipError_tPvRmT2_T3_mT4_P12ihipStream_tbEUlT_E_NS1_11comp_targetILNS1_3genE9ELNS1_11target_archE1100ELNS1_3gpuE3ELNS1_3repE0EEENS1_30default_config_static_selectorELNS0_4arch9wavefront6targetE1EEEvT1_,"axG",@progbits,_ZN7rocprim17ROCPRIM_400000_NS6detail17trampoline_kernelINS0_14default_configENS1_35adjacent_difference_config_selectorILb1EsEEZNS1_24adjacent_difference_implIS3_Lb1ELb0EPKsPsN6thrust23THRUST_200600_302600_NS4plusIsEEEE10hipError_tPvRmT2_T3_mT4_P12ihipStream_tbEUlT_E_NS1_11comp_targetILNS1_3genE9ELNS1_11target_archE1100ELNS1_3gpuE3ELNS1_3repE0EEENS1_30default_config_static_selectorELNS0_4arch9wavefront6targetE1EEEvT1_,comdat
	.protected	_ZN7rocprim17ROCPRIM_400000_NS6detail17trampoline_kernelINS0_14default_configENS1_35adjacent_difference_config_selectorILb1EsEEZNS1_24adjacent_difference_implIS3_Lb1ELb0EPKsPsN6thrust23THRUST_200600_302600_NS4plusIsEEEE10hipError_tPvRmT2_T3_mT4_P12ihipStream_tbEUlT_E_NS1_11comp_targetILNS1_3genE9ELNS1_11target_archE1100ELNS1_3gpuE3ELNS1_3repE0EEENS1_30default_config_static_selectorELNS0_4arch9wavefront6targetE1EEEvT1_ ; -- Begin function _ZN7rocprim17ROCPRIM_400000_NS6detail17trampoline_kernelINS0_14default_configENS1_35adjacent_difference_config_selectorILb1EsEEZNS1_24adjacent_difference_implIS3_Lb1ELb0EPKsPsN6thrust23THRUST_200600_302600_NS4plusIsEEEE10hipError_tPvRmT2_T3_mT4_P12ihipStream_tbEUlT_E_NS1_11comp_targetILNS1_3genE9ELNS1_11target_archE1100ELNS1_3gpuE3ELNS1_3repE0EEENS1_30default_config_static_selectorELNS0_4arch9wavefront6targetE1EEEvT1_
	.globl	_ZN7rocprim17ROCPRIM_400000_NS6detail17trampoline_kernelINS0_14default_configENS1_35adjacent_difference_config_selectorILb1EsEEZNS1_24adjacent_difference_implIS3_Lb1ELb0EPKsPsN6thrust23THRUST_200600_302600_NS4plusIsEEEE10hipError_tPvRmT2_T3_mT4_P12ihipStream_tbEUlT_E_NS1_11comp_targetILNS1_3genE9ELNS1_11target_archE1100ELNS1_3gpuE3ELNS1_3repE0EEENS1_30default_config_static_selectorELNS0_4arch9wavefront6targetE1EEEvT1_
	.p2align	8
	.type	_ZN7rocprim17ROCPRIM_400000_NS6detail17trampoline_kernelINS0_14default_configENS1_35adjacent_difference_config_selectorILb1EsEEZNS1_24adjacent_difference_implIS3_Lb1ELb0EPKsPsN6thrust23THRUST_200600_302600_NS4plusIsEEEE10hipError_tPvRmT2_T3_mT4_P12ihipStream_tbEUlT_E_NS1_11comp_targetILNS1_3genE9ELNS1_11target_archE1100ELNS1_3gpuE3ELNS1_3repE0EEENS1_30default_config_static_selectorELNS0_4arch9wavefront6targetE1EEEvT1_,@function
_ZN7rocprim17ROCPRIM_400000_NS6detail17trampoline_kernelINS0_14default_configENS1_35adjacent_difference_config_selectorILb1EsEEZNS1_24adjacent_difference_implIS3_Lb1ELb0EPKsPsN6thrust23THRUST_200600_302600_NS4plusIsEEEE10hipError_tPvRmT2_T3_mT4_P12ihipStream_tbEUlT_E_NS1_11comp_targetILNS1_3genE9ELNS1_11target_archE1100ELNS1_3gpuE3ELNS1_3repE0EEENS1_30default_config_static_selectorELNS0_4arch9wavefront6targetE1EEEvT1_: ; @_ZN7rocprim17ROCPRIM_400000_NS6detail17trampoline_kernelINS0_14default_configENS1_35adjacent_difference_config_selectorILb1EsEEZNS1_24adjacent_difference_implIS3_Lb1ELb0EPKsPsN6thrust23THRUST_200600_302600_NS4plusIsEEEE10hipError_tPvRmT2_T3_mT4_P12ihipStream_tbEUlT_E_NS1_11comp_targetILNS1_3genE9ELNS1_11target_archE1100ELNS1_3gpuE3ELNS1_3repE0EEENS1_30default_config_static_selectorELNS0_4arch9wavefront6targetE1EEEvT1_
; %bb.0:
	.section	.rodata,"a",@progbits
	.p2align	6, 0x0
	.amdhsa_kernel _ZN7rocprim17ROCPRIM_400000_NS6detail17trampoline_kernelINS0_14default_configENS1_35adjacent_difference_config_selectorILb1EsEEZNS1_24adjacent_difference_implIS3_Lb1ELb0EPKsPsN6thrust23THRUST_200600_302600_NS4plusIsEEEE10hipError_tPvRmT2_T3_mT4_P12ihipStream_tbEUlT_E_NS1_11comp_targetILNS1_3genE9ELNS1_11target_archE1100ELNS1_3gpuE3ELNS1_3repE0EEENS1_30default_config_static_selectorELNS0_4arch9wavefront6targetE1EEEvT1_
		.amdhsa_group_segment_fixed_size 0
		.amdhsa_private_segment_fixed_size 0
		.amdhsa_kernarg_size 56
		.amdhsa_user_sgpr_count 2
		.amdhsa_user_sgpr_dispatch_ptr 0
		.amdhsa_user_sgpr_queue_ptr 0
		.amdhsa_user_sgpr_kernarg_segment_ptr 1
		.amdhsa_user_sgpr_dispatch_id 0
		.amdhsa_user_sgpr_kernarg_preload_length 0
		.amdhsa_user_sgpr_kernarg_preload_offset 0
		.amdhsa_user_sgpr_private_segment_size 0
		.amdhsa_uses_dynamic_stack 0
		.amdhsa_enable_private_segment 0
		.amdhsa_system_sgpr_workgroup_id_x 1
		.amdhsa_system_sgpr_workgroup_id_y 0
		.amdhsa_system_sgpr_workgroup_id_z 0
		.amdhsa_system_sgpr_workgroup_info 0
		.amdhsa_system_vgpr_workitem_id 0
		.amdhsa_next_free_vgpr 1
		.amdhsa_next_free_sgpr 0
		.amdhsa_accum_offset 4
		.amdhsa_reserve_vcc 0
		.amdhsa_float_round_mode_32 0
		.amdhsa_float_round_mode_16_64 0
		.amdhsa_float_denorm_mode_32 3
		.amdhsa_float_denorm_mode_16_64 3
		.amdhsa_dx10_clamp 1
		.amdhsa_ieee_mode 1
		.amdhsa_fp16_overflow 0
		.amdhsa_tg_split 0
		.amdhsa_exception_fp_ieee_invalid_op 0
		.amdhsa_exception_fp_denorm_src 0
		.amdhsa_exception_fp_ieee_div_zero 0
		.amdhsa_exception_fp_ieee_overflow 0
		.amdhsa_exception_fp_ieee_underflow 0
		.amdhsa_exception_fp_ieee_inexact 0
		.amdhsa_exception_int_div_zero 0
	.end_amdhsa_kernel
	.section	.text._ZN7rocprim17ROCPRIM_400000_NS6detail17trampoline_kernelINS0_14default_configENS1_35adjacent_difference_config_selectorILb1EsEEZNS1_24adjacent_difference_implIS3_Lb1ELb0EPKsPsN6thrust23THRUST_200600_302600_NS4plusIsEEEE10hipError_tPvRmT2_T3_mT4_P12ihipStream_tbEUlT_E_NS1_11comp_targetILNS1_3genE9ELNS1_11target_archE1100ELNS1_3gpuE3ELNS1_3repE0EEENS1_30default_config_static_selectorELNS0_4arch9wavefront6targetE1EEEvT1_,"axG",@progbits,_ZN7rocprim17ROCPRIM_400000_NS6detail17trampoline_kernelINS0_14default_configENS1_35adjacent_difference_config_selectorILb1EsEEZNS1_24adjacent_difference_implIS3_Lb1ELb0EPKsPsN6thrust23THRUST_200600_302600_NS4plusIsEEEE10hipError_tPvRmT2_T3_mT4_P12ihipStream_tbEUlT_E_NS1_11comp_targetILNS1_3genE9ELNS1_11target_archE1100ELNS1_3gpuE3ELNS1_3repE0EEENS1_30default_config_static_selectorELNS0_4arch9wavefront6targetE1EEEvT1_,comdat
.Lfunc_end539:
	.size	_ZN7rocprim17ROCPRIM_400000_NS6detail17trampoline_kernelINS0_14default_configENS1_35adjacent_difference_config_selectorILb1EsEEZNS1_24adjacent_difference_implIS3_Lb1ELb0EPKsPsN6thrust23THRUST_200600_302600_NS4plusIsEEEE10hipError_tPvRmT2_T3_mT4_P12ihipStream_tbEUlT_E_NS1_11comp_targetILNS1_3genE9ELNS1_11target_archE1100ELNS1_3gpuE3ELNS1_3repE0EEENS1_30default_config_static_selectorELNS0_4arch9wavefront6targetE1EEEvT1_, .Lfunc_end539-_ZN7rocprim17ROCPRIM_400000_NS6detail17trampoline_kernelINS0_14default_configENS1_35adjacent_difference_config_selectorILb1EsEEZNS1_24adjacent_difference_implIS3_Lb1ELb0EPKsPsN6thrust23THRUST_200600_302600_NS4plusIsEEEE10hipError_tPvRmT2_T3_mT4_P12ihipStream_tbEUlT_E_NS1_11comp_targetILNS1_3genE9ELNS1_11target_archE1100ELNS1_3gpuE3ELNS1_3repE0EEENS1_30default_config_static_selectorELNS0_4arch9wavefront6targetE1EEEvT1_
                                        ; -- End function
	.section	.AMDGPU.csdata,"",@progbits
; Kernel info:
; codeLenInByte = 0
; NumSgprs: 6
; NumVgprs: 0
; NumAgprs: 0
; TotalNumVgprs: 0
; ScratchSize: 0
; MemoryBound: 0
; FloatMode: 240
; IeeeMode: 1
; LDSByteSize: 0 bytes/workgroup (compile time only)
; SGPRBlocks: 0
; VGPRBlocks: 0
; NumSGPRsForWavesPerEU: 6
; NumVGPRsForWavesPerEU: 1
; AccumOffset: 4
; Occupancy: 8
; WaveLimiterHint : 0
; COMPUTE_PGM_RSRC2:SCRATCH_EN: 0
; COMPUTE_PGM_RSRC2:USER_SGPR: 2
; COMPUTE_PGM_RSRC2:TRAP_HANDLER: 0
; COMPUTE_PGM_RSRC2:TGID_X_EN: 1
; COMPUTE_PGM_RSRC2:TGID_Y_EN: 0
; COMPUTE_PGM_RSRC2:TGID_Z_EN: 0
; COMPUTE_PGM_RSRC2:TIDIG_COMP_CNT: 0
; COMPUTE_PGM_RSRC3_GFX90A:ACCUM_OFFSET: 0
; COMPUTE_PGM_RSRC3_GFX90A:TG_SPLIT: 0
	.section	.text._ZN7rocprim17ROCPRIM_400000_NS6detail17trampoline_kernelINS0_14default_configENS1_35adjacent_difference_config_selectorILb1EsEEZNS1_24adjacent_difference_implIS3_Lb1ELb0EPKsPsN6thrust23THRUST_200600_302600_NS4plusIsEEEE10hipError_tPvRmT2_T3_mT4_P12ihipStream_tbEUlT_E_NS1_11comp_targetILNS1_3genE8ELNS1_11target_archE1030ELNS1_3gpuE2ELNS1_3repE0EEENS1_30default_config_static_selectorELNS0_4arch9wavefront6targetE1EEEvT1_,"axG",@progbits,_ZN7rocprim17ROCPRIM_400000_NS6detail17trampoline_kernelINS0_14default_configENS1_35adjacent_difference_config_selectorILb1EsEEZNS1_24adjacent_difference_implIS3_Lb1ELb0EPKsPsN6thrust23THRUST_200600_302600_NS4plusIsEEEE10hipError_tPvRmT2_T3_mT4_P12ihipStream_tbEUlT_E_NS1_11comp_targetILNS1_3genE8ELNS1_11target_archE1030ELNS1_3gpuE2ELNS1_3repE0EEENS1_30default_config_static_selectorELNS0_4arch9wavefront6targetE1EEEvT1_,comdat
	.protected	_ZN7rocprim17ROCPRIM_400000_NS6detail17trampoline_kernelINS0_14default_configENS1_35adjacent_difference_config_selectorILb1EsEEZNS1_24adjacent_difference_implIS3_Lb1ELb0EPKsPsN6thrust23THRUST_200600_302600_NS4plusIsEEEE10hipError_tPvRmT2_T3_mT4_P12ihipStream_tbEUlT_E_NS1_11comp_targetILNS1_3genE8ELNS1_11target_archE1030ELNS1_3gpuE2ELNS1_3repE0EEENS1_30default_config_static_selectorELNS0_4arch9wavefront6targetE1EEEvT1_ ; -- Begin function _ZN7rocprim17ROCPRIM_400000_NS6detail17trampoline_kernelINS0_14default_configENS1_35adjacent_difference_config_selectorILb1EsEEZNS1_24adjacent_difference_implIS3_Lb1ELb0EPKsPsN6thrust23THRUST_200600_302600_NS4plusIsEEEE10hipError_tPvRmT2_T3_mT4_P12ihipStream_tbEUlT_E_NS1_11comp_targetILNS1_3genE8ELNS1_11target_archE1030ELNS1_3gpuE2ELNS1_3repE0EEENS1_30default_config_static_selectorELNS0_4arch9wavefront6targetE1EEEvT1_
	.globl	_ZN7rocprim17ROCPRIM_400000_NS6detail17trampoline_kernelINS0_14default_configENS1_35adjacent_difference_config_selectorILb1EsEEZNS1_24adjacent_difference_implIS3_Lb1ELb0EPKsPsN6thrust23THRUST_200600_302600_NS4plusIsEEEE10hipError_tPvRmT2_T3_mT4_P12ihipStream_tbEUlT_E_NS1_11comp_targetILNS1_3genE8ELNS1_11target_archE1030ELNS1_3gpuE2ELNS1_3repE0EEENS1_30default_config_static_selectorELNS0_4arch9wavefront6targetE1EEEvT1_
	.p2align	8
	.type	_ZN7rocprim17ROCPRIM_400000_NS6detail17trampoline_kernelINS0_14default_configENS1_35adjacent_difference_config_selectorILb1EsEEZNS1_24adjacent_difference_implIS3_Lb1ELb0EPKsPsN6thrust23THRUST_200600_302600_NS4plusIsEEEE10hipError_tPvRmT2_T3_mT4_P12ihipStream_tbEUlT_E_NS1_11comp_targetILNS1_3genE8ELNS1_11target_archE1030ELNS1_3gpuE2ELNS1_3repE0EEENS1_30default_config_static_selectorELNS0_4arch9wavefront6targetE1EEEvT1_,@function
_ZN7rocprim17ROCPRIM_400000_NS6detail17trampoline_kernelINS0_14default_configENS1_35adjacent_difference_config_selectorILb1EsEEZNS1_24adjacent_difference_implIS3_Lb1ELb0EPKsPsN6thrust23THRUST_200600_302600_NS4plusIsEEEE10hipError_tPvRmT2_T3_mT4_P12ihipStream_tbEUlT_E_NS1_11comp_targetILNS1_3genE8ELNS1_11target_archE1030ELNS1_3gpuE2ELNS1_3repE0EEENS1_30default_config_static_selectorELNS0_4arch9wavefront6targetE1EEEvT1_: ; @_ZN7rocprim17ROCPRIM_400000_NS6detail17trampoline_kernelINS0_14default_configENS1_35adjacent_difference_config_selectorILb1EsEEZNS1_24adjacent_difference_implIS3_Lb1ELb0EPKsPsN6thrust23THRUST_200600_302600_NS4plusIsEEEE10hipError_tPvRmT2_T3_mT4_P12ihipStream_tbEUlT_E_NS1_11comp_targetILNS1_3genE8ELNS1_11target_archE1030ELNS1_3gpuE2ELNS1_3repE0EEENS1_30default_config_static_selectorELNS0_4arch9wavefront6targetE1EEEvT1_
; %bb.0:
	.section	.rodata,"a",@progbits
	.p2align	6, 0x0
	.amdhsa_kernel _ZN7rocprim17ROCPRIM_400000_NS6detail17trampoline_kernelINS0_14default_configENS1_35adjacent_difference_config_selectorILb1EsEEZNS1_24adjacent_difference_implIS3_Lb1ELb0EPKsPsN6thrust23THRUST_200600_302600_NS4plusIsEEEE10hipError_tPvRmT2_T3_mT4_P12ihipStream_tbEUlT_E_NS1_11comp_targetILNS1_3genE8ELNS1_11target_archE1030ELNS1_3gpuE2ELNS1_3repE0EEENS1_30default_config_static_selectorELNS0_4arch9wavefront6targetE1EEEvT1_
		.amdhsa_group_segment_fixed_size 0
		.amdhsa_private_segment_fixed_size 0
		.amdhsa_kernarg_size 56
		.amdhsa_user_sgpr_count 2
		.amdhsa_user_sgpr_dispatch_ptr 0
		.amdhsa_user_sgpr_queue_ptr 0
		.amdhsa_user_sgpr_kernarg_segment_ptr 1
		.amdhsa_user_sgpr_dispatch_id 0
		.amdhsa_user_sgpr_kernarg_preload_length 0
		.amdhsa_user_sgpr_kernarg_preload_offset 0
		.amdhsa_user_sgpr_private_segment_size 0
		.amdhsa_uses_dynamic_stack 0
		.amdhsa_enable_private_segment 0
		.amdhsa_system_sgpr_workgroup_id_x 1
		.amdhsa_system_sgpr_workgroup_id_y 0
		.amdhsa_system_sgpr_workgroup_id_z 0
		.amdhsa_system_sgpr_workgroup_info 0
		.amdhsa_system_vgpr_workitem_id 0
		.amdhsa_next_free_vgpr 1
		.amdhsa_next_free_sgpr 0
		.amdhsa_accum_offset 4
		.amdhsa_reserve_vcc 0
		.amdhsa_float_round_mode_32 0
		.amdhsa_float_round_mode_16_64 0
		.amdhsa_float_denorm_mode_32 3
		.amdhsa_float_denorm_mode_16_64 3
		.amdhsa_dx10_clamp 1
		.amdhsa_ieee_mode 1
		.amdhsa_fp16_overflow 0
		.amdhsa_tg_split 0
		.amdhsa_exception_fp_ieee_invalid_op 0
		.amdhsa_exception_fp_denorm_src 0
		.amdhsa_exception_fp_ieee_div_zero 0
		.amdhsa_exception_fp_ieee_overflow 0
		.amdhsa_exception_fp_ieee_underflow 0
		.amdhsa_exception_fp_ieee_inexact 0
		.amdhsa_exception_int_div_zero 0
	.end_amdhsa_kernel
	.section	.text._ZN7rocprim17ROCPRIM_400000_NS6detail17trampoline_kernelINS0_14default_configENS1_35adjacent_difference_config_selectorILb1EsEEZNS1_24adjacent_difference_implIS3_Lb1ELb0EPKsPsN6thrust23THRUST_200600_302600_NS4plusIsEEEE10hipError_tPvRmT2_T3_mT4_P12ihipStream_tbEUlT_E_NS1_11comp_targetILNS1_3genE8ELNS1_11target_archE1030ELNS1_3gpuE2ELNS1_3repE0EEENS1_30default_config_static_selectorELNS0_4arch9wavefront6targetE1EEEvT1_,"axG",@progbits,_ZN7rocprim17ROCPRIM_400000_NS6detail17trampoline_kernelINS0_14default_configENS1_35adjacent_difference_config_selectorILb1EsEEZNS1_24adjacent_difference_implIS3_Lb1ELb0EPKsPsN6thrust23THRUST_200600_302600_NS4plusIsEEEE10hipError_tPvRmT2_T3_mT4_P12ihipStream_tbEUlT_E_NS1_11comp_targetILNS1_3genE8ELNS1_11target_archE1030ELNS1_3gpuE2ELNS1_3repE0EEENS1_30default_config_static_selectorELNS0_4arch9wavefront6targetE1EEEvT1_,comdat
.Lfunc_end540:
	.size	_ZN7rocprim17ROCPRIM_400000_NS6detail17trampoline_kernelINS0_14default_configENS1_35adjacent_difference_config_selectorILb1EsEEZNS1_24adjacent_difference_implIS3_Lb1ELb0EPKsPsN6thrust23THRUST_200600_302600_NS4plusIsEEEE10hipError_tPvRmT2_T3_mT4_P12ihipStream_tbEUlT_E_NS1_11comp_targetILNS1_3genE8ELNS1_11target_archE1030ELNS1_3gpuE2ELNS1_3repE0EEENS1_30default_config_static_selectorELNS0_4arch9wavefront6targetE1EEEvT1_, .Lfunc_end540-_ZN7rocprim17ROCPRIM_400000_NS6detail17trampoline_kernelINS0_14default_configENS1_35adjacent_difference_config_selectorILb1EsEEZNS1_24adjacent_difference_implIS3_Lb1ELb0EPKsPsN6thrust23THRUST_200600_302600_NS4plusIsEEEE10hipError_tPvRmT2_T3_mT4_P12ihipStream_tbEUlT_E_NS1_11comp_targetILNS1_3genE8ELNS1_11target_archE1030ELNS1_3gpuE2ELNS1_3repE0EEENS1_30default_config_static_selectorELNS0_4arch9wavefront6targetE1EEEvT1_
                                        ; -- End function
	.section	.AMDGPU.csdata,"",@progbits
; Kernel info:
; codeLenInByte = 0
; NumSgprs: 6
; NumVgprs: 0
; NumAgprs: 0
; TotalNumVgprs: 0
; ScratchSize: 0
; MemoryBound: 0
; FloatMode: 240
; IeeeMode: 1
; LDSByteSize: 0 bytes/workgroup (compile time only)
; SGPRBlocks: 0
; VGPRBlocks: 0
; NumSGPRsForWavesPerEU: 6
; NumVGPRsForWavesPerEU: 1
; AccumOffset: 4
; Occupancy: 8
; WaveLimiterHint : 0
; COMPUTE_PGM_RSRC2:SCRATCH_EN: 0
; COMPUTE_PGM_RSRC2:USER_SGPR: 2
; COMPUTE_PGM_RSRC2:TRAP_HANDLER: 0
; COMPUTE_PGM_RSRC2:TGID_X_EN: 1
; COMPUTE_PGM_RSRC2:TGID_Y_EN: 0
; COMPUTE_PGM_RSRC2:TGID_Z_EN: 0
; COMPUTE_PGM_RSRC2:TIDIG_COMP_CNT: 0
; COMPUTE_PGM_RSRC3_GFX90A:ACCUM_OFFSET: 0
; COMPUTE_PGM_RSRC3_GFX90A:TG_SPLIT: 0
	.section	.text._ZN7rocprim17ROCPRIM_400000_NS6detail17trampoline_kernelINS0_14default_configENS1_35adjacent_difference_config_selectorILb0EtEEZNS1_24adjacent_difference_implIS3_Lb0ELb0EPKtPtN6thrust23THRUST_200600_302600_NS4plusItEEEE10hipError_tPvRmT2_T3_mT4_P12ihipStream_tbEUlT_E_NS1_11comp_targetILNS1_3genE0ELNS1_11target_archE4294967295ELNS1_3gpuE0ELNS1_3repE0EEENS1_30default_config_static_selectorELNS0_4arch9wavefront6targetE1EEEvT1_,"axG",@progbits,_ZN7rocprim17ROCPRIM_400000_NS6detail17trampoline_kernelINS0_14default_configENS1_35adjacent_difference_config_selectorILb0EtEEZNS1_24adjacent_difference_implIS3_Lb0ELb0EPKtPtN6thrust23THRUST_200600_302600_NS4plusItEEEE10hipError_tPvRmT2_T3_mT4_P12ihipStream_tbEUlT_E_NS1_11comp_targetILNS1_3genE0ELNS1_11target_archE4294967295ELNS1_3gpuE0ELNS1_3repE0EEENS1_30default_config_static_selectorELNS0_4arch9wavefront6targetE1EEEvT1_,comdat
	.protected	_ZN7rocprim17ROCPRIM_400000_NS6detail17trampoline_kernelINS0_14default_configENS1_35adjacent_difference_config_selectorILb0EtEEZNS1_24adjacent_difference_implIS3_Lb0ELb0EPKtPtN6thrust23THRUST_200600_302600_NS4plusItEEEE10hipError_tPvRmT2_T3_mT4_P12ihipStream_tbEUlT_E_NS1_11comp_targetILNS1_3genE0ELNS1_11target_archE4294967295ELNS1_3gpuE0ELNS1_3repE0EEENS1_30default_config_static_selectorELNS0_4arch9wavefront6targetE1EEEvT1_ ; -- Begin function _ZN7rocprim17ROCPRIM_400000_NS6detail17trampoline_kernelINS0_14default_configENS1_35adjacent_difference_config_selectorILb0EtEEZNS1_24adjacent_difference_implIS3_Lb0ELb0EPKtPtN6thrust23THRUST_200600_302600_NS4plusItEEEE10hipError_tPvRmT2_T3_mT4_P12ihipStream_tbEUlT_E_NS1_11comp_targetILNS1_3genE0ELNS1_11target_archE4294967295ELNS1_3gpuE0ELNS1_3repE0EEENS1_30default_config_static_selectorELNS0_4arch9wavefront6targetE1EEEvT1_
	.globl	_ZN7rocprim17ROCPRIM_400000_NS6detail17trampoline_kernelINS0_14default_configENS1_35adjacent_difference_config_selectorILb0EtEEZNS1_24adjacent_difference_implIS3_Lb0ELb0EPKtPtN6thrust23THRUST_200600_302600_NS4plusItEEEE10hipError_tPvRmT2_T3_mT4_P12ihipStream_tbEUlT_E_NS1_11comp_targetILNS1_3genE0ELNS1_11target_archE4294967295ELNS1_3gpuE0ELNS1_3repE0EEENS1_30default_config_static_selectorELNS0_4arch9wavefront6targetE1EEEvT1_
	.p2align	8
	.type	_ZN7rocprim17ROCPRIM_400000_NS6detail17trampoline_kernelINS0_14default_configENS1_35adjacent_difference_config_selectorILb0EtEEZNS1_24adjacent_difference_implIS3_Lb0ELb0EPKtPtN6thrust23THRUST_200600_302600_NS4plusItEEEE10hipError_tPvRmT2_T3_mT4_P12ihipStream_tbEUlT_E_NS1_11comp_targetILNS1_3genE0ELNS1_11target_archE4294967295ELNS1_3gpuE0ELNS1_3repE0EEENS1_30default_config_static_selectorELNS0_4arch9wavefront6targetE1EEEvT1_,@function
_ZN7rocprim17ROCPRIM_400000_NS6detail17trampoline_kernelINS0_14default_configENS1_35adjacent_difference_config_selectorILb0EtEEZNS1_24adjacent_difference_implIS3_Lb0ELb0EPKtPtN6thrust23THRUST_200600_302600_NS4plusItEEEE10hipError_tPvRmT2_T3_mT4_P12ihipStream_tbEUlT_E_NS1_11comp_targetILNS1_3genE0ELNS1_11target_archE4294967295ELNS1_3gpuE0ELNS1_3repE0EEENS1_30default_config_static_selectorELNS0_4arch9wavefront6targetE1EEEvT1_: ; @_ZN7rocprim17ROCPRIM_400000_NS6detail17trampoline_kernelINS0_14default_configENS1_35adjacent_difference_config_selectorILb0EtEEZNS1_24adjacent_difference_implIS3_Lb0ELb0EPKtPtN6thrust23THRUST_200600_302600_NS4plusItEEEE10hipError_tPvRmT2_T3_mT4_P12ihipStream_tbEUlT_E_NS1_11comp_targetILNS1_3genE0ELNS1_11target_archE4294967295ELNS1_3gpuE0ELNS1_3repE0EEENS1_30default_config_static_selectorELNS0_4arch9wavefront6targetE1EEEvT1_
; %bb.0:
	.section	.rodata,"a",@progbits
	.p2align	6, 0x0
	.amdhsa_kernel _ZN7rocprim17ROCPRIM_400000_NS6detail17trampoline_kernelINS0_14default_configENS1_35adjacent_difference_config_selectorILb0EtEEZNS1_24adjacent_difference_implIS3_Lb0ELb0EPKtPtN6thrust23THRUST_200600_302600_NS4plusItEEEE10hipError_tPvRmT2_T3_mT4_P12ihipStream_tbEUlT_E_NS1_11comp_targetILNS1_3genE0ELNS1_11target_archE4294967295ELNS1_3gpuE0ELNS1_3repE0EEENS1_30default_config_static_selectorELNS0_4arch9wavefront6targetE1EEEvT1_
		.amdhsa_group_segment_fixed_size 0
		.amdhsa_private_segment_fixed_size 0
		.amdhsa_kernarg_size 56
		.amdhsa_user_sgpr_count 2
		.amdhsa_user_sgpr_dispatch_ptr 0
		.amdhsa_user_sgpr_queue_ptr 0
		.amdhsa_user_sgpr_kernarg_segment_ptr 1
		.amdhsa_user_sgpr_dispatch_id 0
		.amdhsa_user_sgpr_kernarg_preload_length 0
		.amdhsa_user_sgpr_kernarg_preload_offset 0
		.amdhsa_user_sgpr_private_segment_size 0
		.amdhsa_uses_dynamic_stack 0
		.amdhsa_enable_private_segment 0
		.amdhsa_system_sgpr_workgroup_id_x 1
		.amdhsa_system_sgpr_workgroup_id_y 0
		.amdhsa_system_sgpr_workgroup_id_z 0
		.amdhsa_system_sgpr_workgroup_info 0
		.amdhsa_system_vgpr_workitem_id 0
		.amdhsa_next_free_vgpr 1
		.amdhsa_next_free_sgpr 0
		.amdhsa_accum_offset 4
		.amdhsa_reserve_vcc 0
		.amdhsa_float_round_mode_32 0
		.amdhsa_float_round_mode_16_64 0
		.amdhsa_float_denorm_mode_32 3
		.amdhsa_float_denorm_mode_16_64 3
		.amdhsa_dx10_clamp 1
		.amdhsa_ieee_mode 1
		.amdhsa_fp16_overflow 0
		.amdhsa_tg_split 0
		.amdhsa_exception_fp_ieee_invalid_op 0
		.amdhsa_exception_fp_denorm_src 0
		.amdhsa_exception_fp_ieee_div_zero 0
		.amdhsa_exception_fp_ieee_overflow 0
		.amdhsa_exception_fp_ieee_underflow 0
		.amdhsa_exception_fp_ieee_inexact 0
		.amdhsa_exception_int_div_zero 0
	.end_amdhsa_kernel
	.section	.text._ZN7rocprim17ROCPRIM_400000_NS6detail17trampoline_kernelINS0_14default_configENS1_35adjacent_difference_config_selectorILb0EtEEZNS1_24adjacent_difference_implIS3_Lb0ELb0EPKtPtN6thrust23THRUST_200600_302600_NS4plusItEEEE10hipError_tPvRmT2_T3_mT4_P12ihipStream_tbEUlT_E_NS1_11comp_targetILNS1_3genE0ELNS1_11target_archE4294967295ELNS1_3gpuE0ELNS1_3repE0EEENS1_30default_config_static_selectorELNS0_4arch9wavefront6targetE1EEEvT1_,"axG",@progbits,_ZN7rocprim17ROCPRIM_400000_NS6detail17trampoline_kernelINS0_14default_configENS1_35adjacent_difference_config_selectorILb0EtEEZNS1_24adjacent_difference_implIS3_Lb0ELb0EPKtPtN6thrust23THRUST_200600_302600_NS4plusItEEEE10hipError_tPvRmT2_T3_mT4_P12ihipStream_tbEUlT_E_NS1_11comp_targetILNS1_3genE0ELNS1_11target_archE4294967295ELNS1_3gpuE0ELNS1_3repE0EEENS1_30default_config_static_selectorELNS0_4arch9wavefront6targetE1EEEvT1_,comdat
.Lfunc_end541:
	.size	_ZN7rocprim17ROCPRIM_400000_NS6detail17trampoline_kernelINS0_14default_configENS1_35adjacent_difference_config_selectorILb0EtEEZNS1_24adjacent_difference_implIS3_Lb0ELb0EPKtPtN6thrust23THRUST_200600_302600_NS4plusItEEEE10hipError_tPvRmT2_T3_mT4_P12ihipStream_tbEUlT_E_NS1_11comp_targetILNS1_3genE0ELNS1_11target_archE4294967295ELNS1_3gpuE0ELNS1_3repE0EEENS1_30default_config_static_selectorELNS0_4arch9wavefront6targetE1EEEvT1_, .Lfunc_end541-_ZN7rocprim17ROCPRIM_400000_NS6detail17trampoline_kernelINS0_14default_configENS1_35adjacent_difference_config_selectorILb0EtEEZNS1_24adjacent_difference_implIS3_Lb0ELb0EPKtPtN6thrust23THRUST_200600_302600_NS4plusItEEEE10hipError_tPvRmT2_T3_mT4_P12ihipStream_tbEUlT_E_NS1_11comp_targetILNS1_3genE0ELNS1_11target_archE4294967295ELNS1_3gpuE0ELNS1_3repE0EEENS1_30default_config_static_selectorELNS0_4arch9wavefront6targetE1EEEvT1_
                                        ; -- End function
	.section	.AMDGPU.csdata,"",@progbits
; Kernel info:
; codeLenInByte = 0
; NumSgprs: 6
; NumVgprs: 0
; NumAgprs: 0
; TotalNumVgprs: 0
; ScratchSize: 0
; MemoryBound: 0
; FloatMode: 240
; IeeeMode: 1
; LDSByteSize: 0 bytes/workgroup (compile time only)
; SGPRBlocks: 0
; VGPRBlocks: 0
; NumSGPRsForWavesPerEU: 6
; NumVGPRsForWavesPerEU: 1
; AccumOffset: 4
; Occupancy: 8
; WaveLimiterHint : 0
; COMPUTE_PGM_RSRC2:SCRATCH_EN: 0
; COMPUTE_PGM_RSRC2:USER_SGPR: 2
; COMPUTE_PGM_RSRC2:TRAP_HANDLER: 0
; COMPUTE_PGM_RSRC2:TGID_X_EN: 1
; COMPUTE_PGM_RSRC2:TGID_Y_EN: 0
; COMPUTE_PGM_RSRC2:TGID_Z_EN: 0
; COMPUTE_PGM_RSRC2:TIDIG_COMP_CNT: 0
; COMPUTE_PGM_RSRC3_GFX90A:ACCUM_OFFSET: 0
; COMPUTE_PGM_RSRC3_GFX90A:TG_SPLIT: 0
	.section	.text._ZN7rocprim17ROCPRIM_400000_NS6detail17trampoline_kernelINS0_14default_configENS1_35adjacent_difference_config_selectorILb0EtEEZNS1_24adjacent_difference_implIS3_Lb0ELb0EPKtPtN6thrust23THRUST_200600_302600_NS4plusItEEEE10hipError_tPvRmT2_T3_mT4_P12ihipStream_tbEUlT_E_NS1_11comp_targetILNS1_3genE10ELNS1_11target_archE1201ELNS1_3gpuE5ELNS1_3repE0EEENS1_30default_config_static_selectorELNS0_4arch9wavefront6targetE1EEEvT1_,"axG",@progbits,_ZN7rocprim17ROCPRIM_400000_NS6detail17trampoline_kernelINS0_14default_configENS1_35adjacent_difference_config_selectorILb0EtEEZNS1_24adjacent_difference_implIS3_Lb0ELb0EPKtPtN6thrust23THRUST_200600_302600_NS4plusItEEEE10hipError_tPvRmT2_T3_mT4_P12ihipStream_tbEUlT_E_NS1_11comp_targetILNS1_3genE10ELNS1_11target_archE1201ELNS1_3gpuE5ELNS1_3repE0EEENS1_30default_config_static_selectorELNS0_4arch9wavefront6targetE1EEEvT1_,comdat
	.protected	_ZN7rocprim17ROCPRIM_400000_NS6detail17trampoline_kernelINS0_14default_configENS1_35adjacent_difference_config_selectorILb0EtEEZNS1_24adjacent_difference_implIS3_Lb0ELb0EPKtPtN6thrust23THRUST_200600_302600_NS4plusItEEEE10hipError_tPvRmT2_T3_mT4_P12ihipStream_tbEUlT_E_NS1_11comp_targetILNS1_3genE10ELNS1_11target_archE1201ELNS1_3gpuE5ELNS1_3repE0EEENS1_30default_config_static_selectorELNS0_4arch9wavefront6targetE1EEEvT1_ ; -- Begin function _ZN7rocprim17ROCPRIM_400000_NS6detail17trampoline_kernelINS0_14default_configENS1_35adjacent_difference_config_selectorILb0EtEEZNS1_24adjacent_difference_implIS3_Lb0ELb0EPKtPtN6thrust23THRUST_200600_302600_NS4plusItEEEE10hipError_tPvRmT2_T3_mT4_P12ihipStream_tbEUlT_E_NS1_11comp_targetILNS1_3genE10ELNS1_11target_archE1201ELNS1_3gpuE5ELNS1_3repE0EEENS1_30default_config_static_selectorELNS0_4arch9wavefront6targetE1EEEvT1_
	.globl	_ZN7rocprim17ROCPRIM_400000_NS6detail17trampoline_kernelINS0_14default_configENS1_35adjacent_difference_config_selectorILb0EtEEZNS1_24adjacent_difference_implIS3_Lb0ELb0EPKtPtN6thrust23THRUST_200600_302600_NS4plusItEEEE10hipError_tPvRmT2_T3_mT4_P12ihipStream_tbEUlT_E_NS1_11comp_targetILNS1_3genE10ELNS1_11target_archE1201ELNS1_3gpuE5ELNS1_3repE0EEENS1_30default_config_static_selectorELNS0_4arch9wavefront6targetE1EEEvT1_
	.p2align	8
	.type	_ZN7rocprim17ROCPRIM_400000_NS6detail17trampoline_kernelINS0_14default_configENS1_35adjacent_difference_config_selectorILb0EtEEZNS1_24adjacent_difference_implIS3_Lb0ELb0EPKtPtN6thrust23THRUST_200600_302600_NS4plusItEEEE10hipError_tPvRmT2_T3_mT4_P12ihipStream_tbEUlT_E_NS1_11comp_targetILNS1_3genE10ELNS1_11target_archE1201ELNS1_3gpuE5ELNS1_3repE0EEENS1_30default_config_static_selectorELNS0_4arch9wavefront6targetE1EEEvT1_,@function
_ZN7rocprim17ROCPRIM_400000_NS6detail17trampoline_kernelINS0_14default_configENS1_35adjacent_difference_config_selectorILb0EtEEZNS1_24adjacent_difference_implIS3_Lb0ELb0EPKtPtN6thrust23THRUST_200600_302600_NS4plusItEEEE10hipError_tPvRmT2_T3_mT4_P12ihipStream_tbEUlT_E_NS1_11comp_targetILNS1_3genE10ELNS1_11target_archE1201ELNS1_3gpuE5ELNS1_3repE0EEENS1_30default_config_static_selectorELNS0_4arch9wavefront6targetE1EEEvT1_: ; @_ZN7rocprim17ROCPRIM_400000_NS6detail17trampoline_kernelINS0_14default_configENS1_35adjacent_difference_config_selectorILb0EtEEZNS1_24adjacent_difference_implIS3_Lb0ELb0EPKtPtN6thrust23THRUST_200600_302600_NS4plusItEEEE10hipError_tPvRmT2_T3_mT4_P12ihipStream_tbEUlT_E_NS1_11comp_targetILNS1_3genE10ELNS1_11target_archE1201ELNS1_3gpuE5ELNS1_3repE0EEENS1_30default_config_static_selectorELNS0_4arch9wavefront6targetE1EEEvT1_
; %bb.0:
	.section	.rodata,"a",@progbits
	.p2align	6, 0x0
	.amdhsa_kernel _ZN7rocprim17ROCPRIM_400000_NS6detail17trampoline_kernelINS0_14default_configENS1_35adjacent_difference_config_selectorILb0EtEEZNS1_24adjacent_difference_implIS3_Lb0ELb0EPKtPtN6thrust23THRUST_200600_302600_NS4plusItEEEE10hipError_tPvRmT2_T3_mT4_P12ihipStream_tbEUlT_E_NS1_11comp_targetILNS1_3genE10ELNS1_11target_archE1201ELNS1_3gpuE5ELNS1_3repE0EEENS1_30default_config_static_selectorELNS0_4arch9wavefront6targetE1EEEvT1_
		.amdhsa_group_segment_fixed_size 0
		.amdhsa_private_segment_fixed_size 0
		.amdhsa_kernarg_size 56
		.amdhsa_user_sgpr_count 2
		.amdhsa_user_sgpr_dispatch_ptr 0
		.amdhsa_user_sgpr_queue_ptr 0
		.amdhsa_user_sgpr_kernarg_segment_ptr 1
		.amdhsa_user_sgpr_dispatch_id 0
		.amdhsa_user_sgpr_kernarg_preload_length 0
		.amdhsa_user_sgpr_kernarg_preload_offset 0
		.amdhsa_user_sgpr_private_segment_size 0
		.amdhsa_uses_dynamic_stack 0
		.amdhsa_enable_private_segment 0
		.amdhsa_system_sgpr_workgroup_id_x 1
		.amdhsa_system_sgpr_workgroup_id_y 0
		.amdhsa_system_sgpr_workgroup_id_z 0
		.amdhsa_system_sgpr_workgroup_info 0
		.amdhsa_system_vgpr_workitem_id 0
		.amdhsa_next_free_vgpr 1
		.amdhsa_next_free_sgpr 0
		.amdhsa_accum_offset 4
		.amdhsa_reserve_vcc 0
		.amdhsa_float_round_mode_32 0
		.amdhsa_float_round_mode_16_64 0
		.amdhsa_float_denorm_mode_32 3
		.amdhsa_float_denorm_mode_16_64 3
		.amdhsa_dx10_clamp 1
		.amdhsa_ieee_mode 1
		.amdhsa_fp16_overflow 0
		.amdhsa_tg_split 0
		.amdhsa_exception_fp_ieee_invalid_op 0
		.amdhsa_exception_fp_denorm_src 0
		.amdhsa_exception_fp_ieee_div_zero 0
		.amdhsa_exception_fp_ieee_overflow 0
		.amdhsa_exception_fp_ieee_underflow 0
		.amdhsa_exception_fp_ieee_inexact 0
		.amdhsa_exception_int_div_zero 0
	.end_amdhsa_kernel
	.section	.text._ZN7rocprim17ROCPRIM_400000_NS6detail17trampoline_kernelINS0_14default_configENS1_35adjacent_difference_config_selectorILb0EtEEZNS1_24adjacent_difference_implIS3_Lb0ELb0EPKtPtN6thrust23THRUST_200600_302600_NS4plusItEEEE10hipError_tPvRmT2_T3_mT4_P12ihipStream_tbEUlT_E_NS1_11comp_targetILNS1_3genE10ELNS1_11target_archE1201ELNS1_3gpuE5ELNS1_3repE0EEENS1_30default_config_static_selectorELNS0_4arch9wavefront6targetE1EEEvT1_,"axG",@progbits,_ZN7rocprim17ROCPRIM_400000_NS6detail17trampoline_kernelINS0_14default_configENS1_35adjacent_difference_config_selectorILb0EtEEZNS1_24adjacent_difference_implIS3_Lb0ELb0EPKtPtN6thrust23THRUST_200600_302600_NS4plusItEEEE10hipError_tPvRmT2_T3_mT4_P12ihipStream_tbEUlT_E_NS1_11comp_targetILNS1_3genE10ELNS1_11target_archE1201ELNS1_3gpuE5ELNS1_3repE0EEENS1_30default_config_static_selectorELNS0_4arch9wavefront6targetE1EEEvT1_,comdat
.Lfunc_end542:
	.size	_ZN7rocprim17ROCPRIM_400000_NS6detail17trampoline_kernelINS0_14default_configENS1_35adjacent_difference_config_selectorILb0EtEEZNS1_24adjacent_difference_implIS3_Lb0ELb0EPKtPtN6thrust23THRUST_200600_302600_NS4plusItEEEE10hipError_tPvRmT2_T3_mT4_P12ihipStream_tbEUlT_E_NS1_11comp_targetILNS1_3genE10ELNS1_11target_archE1201ELNS1_3gpuE5ELNS1_3repE0EEENS1_30default_config_static_selectorELNS0_4arch9wavefront6targetE1EEEvT1_, .Lfunc_end542-_ZN7rocprim17ROCPRIM_400000_NS6detail17trampoline_kernelINS0_14default_configENS1_35adjacent_difference_config_selectorILb0EtEEZNS1_24adjacent_difference_implIS3_Lb0ELb0EPKtPtN6thrust23THRUST_200600_302600_NS4plusItEEEE10hipError_tPvRmT2_T3_mT4_P12ihipStream_tbEUlT_E_NS1_11comp_targetILNS1_3genE10ELNS1_11target_archE1201ELNS1_3gpuE5ELNS1_3repE0EEENS1_30default_config_static_selectorELNS0_4arch9wavefront6targetE1EEEvT1_
                                        ; -- End function
	.section	.AMDGPU.csdata,"",@progbits
; Kernel info:
; codeLenInByte = 0
; NumSgprs: 6
; NumVgprs: 0
; NumAgprs: 0
; TotalNumVgprs: 0
; ScratchSize: 0
; MemoryBound: 0
; FloatMode: 240
; IeeeMode: 1
; LDSByteSize: 0 bytes/workgroup (compile time only)
; SGPRBlocks: 0
; VGPRBlocks: 0
; NumSGPRsForWavesPerEU: 6
; NumVGPRsForWavesPerEU: 1
; AccumOffset: 4
; Occupancy: 8
; WaveLimiterHint : 0
; COMPUTE_PGM_RSRC2:SCRATCH_EN: 0
; COMPUTE_PGM_RSRC2:USER_SGPR: 2
; COMPUTE_PGM_RSRC2:TRAP_HANDLER: 0
; COMPUTE_PGM_RSRC2:TGID_X_EN: 1
; COMPUTE_PGM_RSRC2:TGID_Y_EN: 0
; COMPUTE_PGM_RSRC2:TGID_Z_EN: 0
; COMPUTE_PGM_RSRC2:TIDIG_COMP_CNT: 0
; COMPUTE_PGM_RSRC3_GFX90A:ACCUM_OFFSET: 0
; COMPUTE_PGM_RSRC3_GFX90A:TG_SPLIT: 0
	.section	.text._ZN7rocprim17ROCPRIM_400000_NS6detail17trampoline_kernelINS0_14default_configENS1_35adjacent_difference_config_selectorILb0EtEEZNS1_24adjacent_difference_implIS3_Lb0ELb0EPKtPtN6thrust23THRUST_200600_302600_NS4plusItEEEE10hipError_tPvRmT2_T3_mT4_P12ihipStream_tbEUlT_E_NS1_11comp_targetILNS1_3genE5ELNS1_11target_archE942ELNS1_3gpuE9ELNS1_3repE0EEENS1_30default_config_static_selectorELNS0_4arch9wavefront6targetE1EEEvT1_,"axG",@progbits,_ZN7rocprim17ROCPRIM_400000_NS6detail17trampoline_kernelINS0_14default_configENS1_35adjacent_difference_config_selectorILb0EtEEZNS1_24adjacent_difference_implIS3_Lb0ELb0EPKtPtN6thrust23THRUST_200600_302600_NS4plusItEEEE10hipError_tPvRmT2_T3_mT4_P12ihipStream_tbEUlT_E_NS1_11comp_targetILNS1_3genE5ELNS1_11target_archE942ELNS1_3gpuE9ELNS1_3repE0EEENS1_30default_config_static_selectorELNS0_4arch9wavefront6targetE1EEEvT1_,comdat
	.protected	_ZN7rocprim17ROCPRIM_400000_NS6detail17trampoline_kernelINS0_14default_configENS1_35adjacent_difference_config_selectorILb0EtEEZNS1_24adjacent_difference_implIS3_Lb0ELb0EPKtPtN6thrust23THRUST_200600_302600_NS4plusItEEEE10hipError_tPvRmT2_T3_mT4_P12ihipStream_tbEUlT_E_NS1_11comp_targetILNS1_3genE5ELNS1_11target_archE942ELNS1_3gpuE9ELNS1_3repE0EEENS1_30default_config_static_selectorELNS0_4arch9wavefront6targetE1EEEvT1_ ; -- Begin function _ZN7rocprim17ROCPRIM_400000_NS6detail17trampoline_kernelINS0_14default_configENS1_35adjacent_difference_config_selectorILb0EtEEZNS1_24adjacent_difference_implIS3_Lb0ELb0EPKtPtN6thrust23THRUST_200600_302600_NS4plusItEEEE10hipError_tPvRmT2_T3_mT4_P12ihipStream_tbEUlT_E_NS1_11comp_targetILNS1_3genE5ELNS1_11target_archE942ELNS1_3gpuE9ELNS1_3repE0EEENS1_30default_config_static_selectorELNS0_4arch9wavefront6targetE1EEEvT1_
	.globl	_ZN7rocprim17ROCPRIM_400000_NS6detail17trampoline_kernelINS0_14default_configENS1_35adjacent_difference_config_selectorILb0EtEEZNS1_24adjacent_difference_implIS3_Lb0ELb0EPKtPtN6thrust23THRUST_200600_302600_NS4plusItEEEE10hipError_tPvRmT2_T3_mT4_P12ihipStream_tbEUlT_E_NS1_11comp_targetILNS1_3genE5ELNS1_11target_archE942ELNS1_3gpuE9ELNS1_3repE0EEENS1_30default_config_static_selectorELNS0_4arch9wavefront6targetE1EEEvT1_
	.p2align	8
	.type	_ZN7rocprim17ROCPRIM_400000_NS6detail17trampoline_kernelINS0_14default_configENS1_35adjacent_difference_config_selectorILb0EtEEZNS1_24adjacent_difference_implIS3_Lb0ELb0EPKtPtN6thrust23THRUST_200600_302600_NS4plusItEEEE10hipError_tPvRmT2_T3_mT4_P12ihipStream_tbEUlT_E_NS1_11comp_targetILNS1_3genE5ELNS1_11target_archE942ELNS1_3gpuE9ELNS1_3repE0EEENS1_30default_config_static_selectorELNS0_4arch9wavefront6targetE1EEEvT1_,@function
_ZN7rocprim17ROCPRIM_400000_NS6detail17trampoline_kernelINS0_14default_configENS1_35adjacent_difference_config_selectorILb0EtEEZNS1_24adjacent_difference_implIS3_Lb0ELb0EPKtPtN6thrust23THRUST_200600_302600_NS4plusItEEEE10hipError_tPvRmT2_T3_mT4_P12ihipStream_tbEUlT_E_NS1_11comp_targetILNS1_3genE5ELNS1_11target_archE942ELNS1_3gpuE9ELNS1_3repE0EEENS1_30default_config_static_selectorELNS0_4arch9wavefront6targetE1EEEvT1_: ; @_ZN7rocprim17ROCPRIM_400000_NS6detail17trampoline_kernelINS0_14default_configENS1_35adjacent_difference_config_selectorILb0EtEEZNS1_24adjacent_difference_implIS3_Lb0ELb0EPKtPtN6thrust23THRUST_200600_302600_NS4plusItEEEE10hipError_tPvRmT2_T3_mT4_P12ihipStream_tbEUlT_E_NS1_11comp_targetILNS1_3genE5ELNS1_11target_archE942ELNS1_3gpuE9ELNS1_3repE0EEENS1_30default_config_static_selectorELNS0_4arch9wavefront6targetE1EEEvT1_
; %bb.0:
	s_load_dwordx8 s[4:11], s[0:1], 0x0
	s_mov_b32 s12, 0x3f0f0aa0
	v_bfrev_b32_e32 v1, 11
	s_movk_i32 s3, 0x1100
	s_load_dwordx2 s[0:1], s[0:1], 0x30
	s_waitcnt lgkmcnt(0)
	s_lshl_b64 s[6:7], s[6:7], 1
	s_add_u32 s20, s4, s6
	s_addc_u32 s21, s5, s7
	s_add_u32 s12, 0x367, s12
	s_addc_u32 s13, 0, 0
	v_add_co_u32_e32 v1, vcc, s12, v1
	s_cmp_lg_u64 vcc, 0
	v_readfirstlane_b32 s14, v1
	s_addc_u32 s12, s13, 0xf0f0e
	s_mul_hi_u32 s15, s14, 0xffffef00
	s_mul_i32 s13, s12, 0xffffef00
	s_sub_i32 s15, s15, s14
	s_add_i32 s15, s15, s13
	s_mul_i32 s17, s14, 0xffffef00
	s_mul_hi_u32 s13, s14, s15
	s_mul_i32 s16, s14, s15
	s_mul_hi_u32 s14, s14, s17
	s_add_u32 s14, s14, s16
	s_addc_u32 s13, 0, s13
	s_mul_hi_u32 s18, s12, s17
	s_mul_i32 s17, s12, s17
	s_add_u32 s14, s14, s17
	s_mul_hi_u32 s16, s12, s15
	s_addc_u32 s13, s13, s18
	s_addc_u32 s14, s16, 0
	s_mul_i32 s15, s12, s15
	s_add_u32 s13, s13, s15
	s_addc_u32 s14, 0, s14
	v_add_co_u32_e32 v1, vcc, s13, v1
	s_cmp_lg_u64 vcc, 0
	s_addc_u32 s12, s12, s14
	v_readfirstlane_b32 s15, v1
	s_mul_i32 s14, s10, s12
	s_mul_hi_u32 s16, s10, s15
	s_mul_hi_u32 s13, s10, s12
	s_add_u32 s14, s16, s14
	s_addc_u32 s13, 0, s13
	s_mul_hi_u32 s17, s11, s15
	s_mul_i32 s15, s11, s15
	s_add_u32 s14, s14, s15
	s_mul_hi_u32 s16, s11, s12
	s_addc_u32 s13, s13, s17
	s_addc_u32 s14, s16, 0
	s_mul_i32 s12, s11, s12
	s_add_u32 s12, s13, s12
	s_addc_u32 s13, 0, s14
	s_add_u32 s14, s12, 1
	s_addc_u32 s15, s13, 0
	s_add_u32 s16, s12, 2
	s_mul_i32 s18, s13, 0x1100
	s_mul_hi_u32 s19, s12, 0x1100
	s_addc_u32 s17, s13, 0
	s_add_i32 s19, s19, s18
	s_mul_i32 s18, s12, 0x1100
	v_mov_b32_e32 v1, s18
	v_sub_co_u32_e32 v1, vcc, s10, v1
	s_cmp_lg_u64 vcc, 0
	s_subb_u32 s18, s11, s19
	v_subrev_co_u32_e32 v2, vcc, s3, v1
	s_cmp_lg_u64 vcc, 0
	s_subb_u32 s3, s18, 0
	v_readfirstlane_b32 s19, v2
	s_cmpk_gt_u32 s19, 0x10ff
	s_cselect_b32 s19, -1, 0
	s_cmp_eq_u32 s3, 0
	s_cselect_b32 s3, s19, -1
	s_cmp_lg_u32 s3, 0
	s_cselect_b32 s3, s16, s14
	s_cselect_b32 s14, s17, s15
	v_readfirstlane_b32 s15, v1
	s_cmpk_gt_u32 s15, 0x10ff
	s_cselect_b32 s15, -1, 0
	s_cmp_eq_u32 s18, 0
	s_cselect_b32 s15, s15, -1
	s_cmp_lg_u32 s15, 0
	s_cselect_b32 s14, s14, s13
	s_cselect_b32 s3, s3, s12
	s_mul_i32 s12, s14, 0x1100
	s_mul_hi_u32 s13, s3, 0x1100
	s_add_i32 s13, s13, s12
	s_mul_i32 s12, s3, 0x1100
	s_sub_u32 s12, s10, s12
	s_subb_u32 s13, s11, s13
	s_cmp_lg_u64 s[12:13], 0
	s_cselect_b64 s[12:13], -1, 0
	v_cndmask_b32_e64 v1, 0, 1, s[12:13]
	s_mul_i32 s4, s2, 0x1100
	v_readfirstlane_b32 s11, v1
	s_add_u32 s12, s3, s11
	s_addc_u32 s13, s14, 0
	s_add_u32 s2, s0, s2
	s_addc_u32 s3, s1, 0
	s_add_u32 s14, s12, -1
	s_addc_u32 s15, s13, -1
	v_mov_b64_e32 v[2:3], s[14:15]
	v_cmp_ge_u64_e64 s[0:1], s[2:3], v[2:3]
	s_mov_b32 s5, 0
	s_mov_b64 s[16:17], -1
	s_and_b64 vcc, exec, s[0:1]
	s_mul_i32 s11, s14, 0xffffef00
	s_cbranch_vccz .LBB543_36
; %bb.1:
	s_add_i32 s22, s11, s10
	s_lshl_b64 s[16:17], s[4:5], 1
	s_add_u32 s16, s20, s16
	s_addc_u32 s17, s21, s17
	v_cmp_gt_u32_e32 vcc, s22, v0
                                        ; implicit-def: $vgpr1
	s_and_saveexec_b64 s[18:19], vcc
	s_cbranch_execz .LBB543_3
; %bb.2:
	v_lshlrev_b32_e32 v1, 1, v0
	global_load_ushort v1, v1, s[16:17]
.LBB543_3:
	s_or_b64 exec, exec, s[18:19]
	v_or_b32_e32 v2, 0x100, v0
	v_cmp_gt_u32_e32 vcc, s22, v2
                                        ; implicit-def: $vgpr2
	s_and_saveexec_b64 s[18:19], vcc
	s_cbranch_execz .LBB543_5
; %bb.4:
	v_lshlrev_b32_e32 v2, 1, v0
	global_load_ushort v2, v2, s[16:17] offset:512
.LBB543_5:
	s_or_b64 exec, exec, s[18:19]
	v_or_b32_e32 v3, 0x200, v0
	v_cmp_gt_u32_e32 vcc, s22, v3
                                        ; implicit-def: $vgpr3
	s_and_saveexec_b64 s[18:19], vcc
	s_cbranch_execz .LBB543_7
; %bb.6:
	v_lshlrev_b32_e32 v3, 1, v0
	global_load_ushort v3, v3, s[16:17] offset:1024
.LBB543_7:
	s_or_b64 exec, exec, s[18:19]
	v_or_b32_e32 v4, 0x300, v0
	v_cmp_gt_u32_e32 vcc, s22, v4
                                        ; implicit-def: $vgpr4
	s_and_saveexec_b64 s[18:19], vcc
	s_cbranch_execz .LBB543_9
; %bb.8:
	v_lshlrev_b32_e32 v4, 1, v0
	global_load_ushort v4, v4, s[16:17] offset:1536
.LBB543_9:
	s_or_b64 exec, exec, s[18:19]
	v_or_b32_e32 v5, 0x400, v0
	v_cmp_gt_u32_e32 vcc, s22, v5
                                        ; implicit-def: $vgpr5
	s_and_saveexec_b64 s[18:19], vcc
	s_cbranch_execz .LBB543_11
; %bb.10:
	v_lshlrev_b32_e32 v5, 1, v0
	global_load_ushort v5, v5, s[16:17] offset:2048
.LBB543_11:
	s_or_b64 exec, exec, s[18:19]
	v_or_b32_e32 v6, 0x500, v0
	v_cmp_gt_u32_e32 vcc, s22, v6
                                        ; implicit-def: $vgpr6
	s_and_saveexec_b64 s[18:19], vcc
	s_cbranch_execz .LBB543_13
; %bb.12:
	v_lshlrev_b32_e32 v6, 1, v0
	global_load_ushort v6, v6, s[16:17] offset:2560
.LBB543_13:
	s_or_b64 exec, exec, s[18:19]
	v_or_b32_e32 v7, 0x600, v0
	v_cmp_gt_u32_e32 vcc, s22, v7
                                        ; implicit-def: $vgpr7
	s_and_saveexec_b64 s[18:19], vcc
	s_cbranch_execz .LBB543_15
; %bb.14:
	v_lshlrev_b32_e32 v7, 1, v0
	global_load_ushort v7, v7, s[16:17] offset:3072
.LBB543_15:
	s_or_b64 exec, exec, s[18:19]
	v_or_b32_e32 v8, 0x700, v0
	v_cmp_gt_u32_e32 vcc, s22, v8
                                        ; implicit-def: $vgpr8
	s_and_saveexec_b64 s[18:19], vcc
	s_cbranch_execz .LBB543_17
; %bb.16:
	v_lshlrev_b32_e32 v8, 1, v0
	global_load_ushort v8, v8, s[16:17] offset:3584
.LBB543_17:
	s_or_b64 exec, exec, s[18:19]
	v_or_b32_e32 v10, 0x800, v0
	v_cmp_gt_u32_e32 vcc, s22, v10
                                        ; implicit-def: $vgpr9
	s_and_saveexec_b64 s[18:19], vcc
	s_cbranch_execz .LBB543_19
; %bb.18:
	v_lshlrev_b32_e32 v9, 1, v10
	global_load_ushort v9, v9, s[16:17]
.LBB543_19:
	s_or_b64 exec, exec, s[18:19]
	v_or_b32_e32 v11, 0x900, v0
	v_cmp_gt_u32_e32 vcc, s22, v11
                                        ; implicit-def: $vgpr10
	s_and_saveexec_b64 s[18:19], vcc
	s_cbranch_execz .LBB543_21
; %bb.20:
	v_lshlrev_b32_e32 v10, 1, v11
	global_load_ushort v10, v10, s[16:17]
.LBB543_21:
	s_or_b64 exec, exec, s[18:19]
	v_or_b32_e32 v12, 0xa00, v0
	v_cmp_gt_u32_e32 vcc, s22, v12
                                        ; implicit-def: $vgpr11
	s_and_saveexec_b64 s[18:19], vcc
	s_cbranch_execz .LBB543_23
; %bb.22:
	v_lshlrev_b32_e32 v11, 1, v12
	global_load_ushort v11, v11, s[16:17]
.LBB543_23:
	s_or_b64 exec, exec, s[18:19]
	v_or_b32_e32 v13, 0xb00, v0
	v_cmp_gt_u32_e32 vcc, s22, v13
                                        ; implicit-def: $vgpr12
	s_and_saveexec_b64 s[18:19], vcc
	s_cbranch_execz .LBB543_25
; %bb.24:
	v_lshlrev_b32_e32 v12, 1, v13
	global_load_ushort v12, v12, s[16:17]
.LBB543_25:
	s_or_b64 exec, exec, s[18:19]
	v_or_b32_e32 v14, 0xc00, v0
	v_cmp_gt_u32_e32 vcc, s22, v14
                                        ; implicit-def: $vgpr13
	s_and_saveexec_b64 s[18:19], vcc
	s_cbranch_execz .LBB543_27
; %bb.26:
	v_lshlrev_b32_e32 v13, 1, v14
	global_load_ushort v13, v13, s[16:17]
.LBB543_27:
	s_or_b64 exec, exec, s[18:19]
	v_or_b32_e32 v15, 0xd00, v0
	v_cmp_gt_u32_e32 vcc, s22, v15
                                        ; implicit-def: $vgpr14
	s_and_saveexec_b64 s[18:19], vcc
	s_cbranch_execz .LBB543_29
; %bb.28:
	v_lshlrev_b32_e32 v14, 1, v15
	global_load_ushort v14, v14, s[16:17]
.LBB543_29:
	s_or_b64 exec, exec, s[18:19]
	v_or_b32_e32 v16, 0xe00, v0
	v_cmp_gt_u32_e32 vcc, s22, v16
                                        ; implicit-def: $vgpr15
	s_and_saveexec_b64 s[18:19], vcc
	s_cbranch_execz .LBB543_31
; %bb.30:
	v_lshlrev_b32_e32 v15, 1, v16
	global_load_ushort v15, v15, s[16:17]
.LBB543_31:
	s_or_b64 exec, exec, s[18:19]
	v_or_b32_e32 v17, 0xf00, v0
	v_cmp_gt_u32_e32 vcc, s22, v17
                                        ; implicit-def: $vgpr16
	s_and_saveexec_b64 s[18:19], vcc
	s_cbranch_execz .LBB543_33
; %bb.32:
	v_lshlrev_b32_e32 v16, 1, v17
	global_load_ushort v16, v16, s[16:17]
.LBB543_33:
	s_or_b64 exec, exec, s[18:19]
	v_or_b32_e32 v18, 0x1000, v0
	v_cmp_gt_u32_e32 vcc, s22, v18
                                        ; implicit-def: $vgpr17
	s_and_saveexec_b64 s[18:19], vcc
	s_cbranch_execz .LBB543_35
; %bb.34:
	v_lshlrev_b32_e32 v17, 1, v18
	global_load_ushort v17, v17, s[16:17]
.LBB543_35:
	s_or_b64 exec, exec, s[18:19]
	v_lshlrev_b32_e32 v18, 1, v0
	s_mov_b64 s[16:17], 0
	s_waitcnt vmcnt(0)
	ds_write_b16 v18, v1
	ds_write_b16 v18, v2 offset:512
	ds_write_b16 v18, v3 offset:1024
	;; [unrolled: 1-line block ×16, first 2 shown]
	s_waitcnt lgkmcnt(0)
	s_barrier
.LBB543_36:
	s_and_b64 vcc, exec, s[16:17]
	v_lshlrev_b32_e32 v10, 1, v0
	s_cbranch_vccz .LBB543_38
; %bb.37:
	s_lshl_b64 s[16:17], s[4:5], 1
	s_add_u32 s16, s20, s16
	s_addc_u32 s17, s21, s17
	v_mov_b32_e32 v11, 0
	v_lshl_add_u64 v[2:3], s[16:17], 0, v[10:11]
	s_movk_i32 s5, 0x1000
	v_add_co_u32_e32 v4, vcc, s5, v2
	s_movk_i32 s5, 0x2000
	s_nop 0
	v_addc_co_u32_e32 v5, vcc, 0, v3, vcc
	v_add_co_u32_e32 v2, vcc, s5, v2
	global_load_ushort v1, v10, s[16:17]
	s_nop 0
	v_addc_co_u32_e32 v3, vcc, 0, v3, vcc
	global_load_ushort v6, v10, s[16:17] offset:512
	global_load_ushort v7, v10, s[16:17] offset:1024
	;; [unrolled: 1-line block ×7, first 2 shown]
	global_load_ushort v14, v[2:3], off offset:-4096
	global_load_ushort v15, v[4:5], off offset:512
	global_load_ushort v16, v[4:5], off offset:1024
	;; [unrolled: 1-line block ×7, first 2 shown]
                                        ; kill: killed $sgpr16 killed $sgpr17
                                        ; kill: killed $vgpr4 killed $vgpr5
	s_nop 0
	global_load_ushort v2, v[2:3], off
	s_waitcnt vmcnt(16)
	ds_write_b16 v10, v1
	s_waitcnt vmcnt(15)
	ds_write_b16 v10, v6 offset:512
	s_waitcnt vmcnt(14)
	ds_write_b16 v10, v7 offset:1024
	s_waitcnt vmcnt(13)
	ds_write_b16 v10, v8 offset:1536
	s_waitcnt vmcnt(12)
	ds_write_b16 v10, v9 offset:2048
	s_waitcnt vmcnt(11)
	ds_write_b16 v10, v11 offset:2560
	s_waitcnt vmcnt(10)
	ds_write_b16 v10, v12 offset:3072
	s_waitcnt vmcnt(9)
	ds_write_b16 v10, v13 offset:3584
	s_waitcnt vmcnt(8)
	ds_write_b16 v10, v14 offset:4096
	s_waitcnt vmcnt(7)
	ds_write_b16 v10, v15 offset:4608
	s_waitcnt vmcnt(6)
	ds_write_b16 v10, v16 offset:5120
	s_waitcnt vmcnt(5)
	ds_write_b16 v10, v17 offset:5632
	s_waitcnt vmcnt(4)
	ds_write_b16 v10, v18 offset:6144
	s_waitcnt vmcnt(3)
	ds_write_b16 v10, v19 offset:6656
	s_waitcnt vmcnt(2)
	ds_write_b16 v10, v20 offset:7168
	s_waitcnt vmcnt(1)
	ds_write_b16 v10, v21 offset:7680
	s_waitcnt vmcnt(0)
	ds_write_b16 v10, v2 offset:8192
	s_waitcnt lgkmcnt(0)
	s_barrier
.LBB543_38:
	v_mul_u32_u24_e32 v1, 17, v0
	v_lshlrev_b32_e32 v1, 1, v1
	ds_read_b128 v[6:9], v1
	ds_read_b128 v[2:5], v1 offset:16
	ds_read_u16 v11, v1 offset:32
	s_cmp_eq_u64 s[2:3], 0
	s_waitcnt lgkmcnt(0)
	s_barrier
	s_cbranch_scc1 .LBB543_43
; %bb.39:
	s_mov_b32 s5, 0
	s_lshl_b64 s[16:17], s[4:5], 1
	s_add_u32 s16, s20, s16
	s_addc_u32 s17, s21, s17
	v_mov_b32_e32 v1, 0
	global_load_ushort v20, v1, s[16:17] offset:-2
	s_cmp_eq_u64 s[2:3], s[14:15]
	s_cbranch_scc1 .LBB543_44
; %bb.40:
	v_cmp_ne_u32_e32 vcc, 0, v0
	s_waitcnt vmcnt(0)
	v_mov_b32_e32 v1, v20
	ds_write_b16 v10, v11
	s_waitcnt lgkmcnt(0)
	s_barrier
	s_and_saveexec_b64 s[14:15], vcc
	s_cbranch_execz .LBB543_42
; %bb.41:
	v_add_u32_e32 v1, -2, v10
	ds_read_u16 v1, v1
.LBB543_42:
	s_or_b64 exec, exec, s[14:15]
	s_waitcnt lgkmcnt(0)
	v_add_u16_e32 v1, v1, v6
	s_mov_b64 s[14:15], 0
	s_branch .LBB543_45
.LBB543_43:
                                        ; implicit-def: $vgpr12_vgpr13
                                        ; implicit-def: $vgpr14_vgpr15
                                        ; implicit-def: $vgpr16_vgpr17
                                        ; implicit-def: $vgpr18_vgpr19
                                        ; implicit-def: $vgpr1
	s_branch .LBB543_50
.LBB543_44:
	s_mov_b64 s[14:15], -1
                                        ; implicit-def: $vgpr1
.LBB543_45:
	s_and_b64 vcc, exec, s[14:15]
	v_mov_b64_e32 v[12:13], v[4:5]
	v_mov_b64_e32 v[14:15], v[2:3]
	;; [unrolled: 1-line block ×4, first 2 shown]
	s_cbranch_vccz .LBB543_49
; %bb.46:
	v_mul_u32_u24_e32 v1, 17, v0
	v_cmp_ne_u32_e32 vcc, 0, v0
	ds_write_b16 v10, v11
	s_waitcnt lgkmcnt(0)
	s_barrier
	s_and_saveexec_b64 s[14:15], vcc
	s_cbranch_execz .LBB543_48
; %bb.47:
	v_add_u32_e32 v12, -2, v10
	s_waitcnt vmcnt(0)
	ds_read_u16 v20, v12
.LBB543_48:
	s_or_b64 exec, exec, s[14:15]
	s_mulk_i32 s2, 0xef00
	s_add_i32 s2, s2, s10
	v_add_u32_e32 v12, 15, v1
	v_add_u32_e32 v13, 16, v1
	v_cmp_gt_u32_e32 vcc, s2, v12
	v_add_u32_e32 v14, 13, v1
	v_lshrrev_b32_e32 v16, 16, v5
	v_cndmask_b32_e32 v12, 0, v5, vcc
	v_cmp_gt_u32_e32 vcc, s2, v13
	v_add_u32_e32 v15, 14, v1
	s_mov_b32 s3, 0x5040100
	v_cndmask_b32_e32 v13, 0, v16, vcc
	v_cmp_gt_u32_e32 vcc, s2, v14
	v_perm_b32 v13, v13, v12, s3
	v_lshrrev_b32_e32 v14, 16, v4
	v_cndmask_b32_e32 v12, 0, v4, vcc
	v_cmp_gt_u32_e32 vcc, s2, v15
	v_add_u32_e32 v15, 12, v1
	v_add_u32_e32 v16, 9, v1
	v_cndmask_b32_e32 v14, 0, v14, vcc
	v_perm_b32 v12, v14, v12, s3
	v_add_u32_e32 v14, 11, v1
	v_cmp_gt_u32_e32 vcc, s2, v14
	v_lshrrev_b32_e32 v18, 16, v3
	v_add_u32_e32 v17, 10, v1
	v_cndmask_b32_e32 v14, 0, v3, vcc
	v_cmp_gt_u32_e32 vcc, s2, v15
	v_lshrrev_b32_e32 v21, 16, v9
	v_add_u32_e32 v19, 6, v1
	v_cndmask_b32_e32 v15, 0, v18, vcc
	v_cmp_gt_u32_e32 vcc, s2, v16
	v_perm_b32 v15, v15, v14, s3
	v_lshrrev_b32_e32 v16, 16, v2
	v_cndmask_b32_e32 v14, 0, v2, vcc
	v_cmp_gt_u32_e32 vcc, s2, v17
	v_add_u32_e32 v17, 8, v1
	v_add_u32_e32 v18, 5, v1
	v_cndmask_b32_e32 v16, 0, v16, vcc
	v_perm_b32 v14, v16, v14, s3
	v_add_u32_e32 v16, 7, v1
	v_cmp_gt_u32_e32 vcc, s2, v16
	v_lshrrev_b32_e32 v23, 16, v7
	v_add_u32_e32 v22, 2, v1
	v_cndmask_b32_e32 v16, 0, v9, vcc
	v_cmp_gt_u32_e32 vcc, s2, v17
	s_nop 1
	v_cndmask_b32_e32 v17, 0, v21, vcc
	v_cmp_gt_u32_e32 vcc, s2, v18
	v_perm_b32 v17, v17, v16, s3
	v_lshrrev_b32_e32 v18, 16, v8
	v_cndmask_b32_e32 v16, 0, v8, vcc
	v_cmp_gt_u32_e32 vcc, s2, v19
	v_add_u32_e32 v19, 4, v1
	v_add_u32_e32 v21, 1, v1
	v_cndmask_b32_e32 v18, 0, v18, vcc
	v_perm_b32 v16, v18, v16, s3
	v_add_u32_e32 v18, 3, v1
	v_cmp_gt_u32_e32 vcc, s2, v18
	s_nop 1
	v_cndmask_b32_e32 v18, 0, v7, vcc
	v_cmp_gt_u32_e32 vcc, s2, v19
	s_nop 1
	v_cndmask_b32_e32 v19, 0, v23, vcc
	v_cmp_gt_u32_e32 vcc, s2, v21
	v_perm_b32 v19, v19, v18, s3
	v_lshrrev_b32_e32 v21, 16, v6
	v_cndmask_b32_e32 v18, 0, v6, vcc
	v_cmp_gt_u32_e32 vcc, s2, v22
	s_nop 1
	v_cndmask_b32_e32 v21, 0, v21, vcc
	v_cmp_gt_u32_e32 vcc, s2, v1
	v_perm_b32 v18, v21, v18, s3
	s_waitcnt vmcnt(0) lgkmcnt(0)
	v_cndmask_b32_e32 v1, 0, v20, vcc
	v_add_u16_e32 v1, v1, v6
.LBB543_49:
	s_cbranch_execnz .LBB543_59
.LBB543_50:
	s_cmp_eq_u64 s[12:13], 1
	v_cmp_ne_u32_e32 vcc, 0, v0
	s_cbranch_scc1 .LBB543_54
; %bb.51:
	v_mov_b32_e32 v1, v6
	ds_write_b16 v10, v11
	s_waitcnt lgkmcnt(0)
	s_barrier
	s_and_saveexec_b64 s[2:3], vcc
	s_cbranch_execz .LBB543_53
; %bb.52:
	v_add_u32_e32 v1, -2, v10
	ds_read_u16 v1, v1
	s_waitcnt lgkmcnt(0)
	v_add_u16_e32 v1, v1, v6
.LBB543_53:
	s_or_b64 exec, exec, s[2:3]
	s_mov_b64 s[2:3], 0
	s_branch .LBB543_55
.LBB543_54:
	s_mov_b64 s[2:3], -1
                                        ; implicit-def: $vgpr1
.LBB543_55:
	s_andn2_b64 vcc, exec, s[2:3]
	v_mov_b64_e32 v[12:13], v[4:5]
	v_mov_b64_e32 v[14:15], v[2:3]
	;; [unrolled: 1-line block ×4, first 2 shown]
	s_cbranch_vccnz .LBB543_59
; %bb.56:
	v_mad_u32_u24 v12, v0, 17, 15
	v_mad_u32_u24 v13, v0, 17, 16
	v_cmp_gt_u32_e32 vcc, s10, v12
	v_mad_u32_u24 v14, v0, 17, 13
	v_lshrrev_b32_e32 v16, 16, v5
	v_cndmask_b32_e32 v12, 0, v5, vcc
	v_cmp_gt_u32_e32 vcc, s10, v13
	v_mad_u32_u24 v15, v0, 17, 14
	s_mov_b32 s2, 0x5040100
	v_cndmask_b32_e32 v13, 0, v16, vcc
	v_cmp_gt_u32_e32 vcc, s10, v14
	v_perm_b32 v13, v13, v12, s2
	v_lshrrev_b32_e32 v14, 16, v4
	v_cndmask_b32_e32 v12, 0, v4, vcc
	v_cmp_gt_u32_e32 vcc, s10, v15
	v_mad_u32_u24 v15, v0, 17, 12
	v_mad_u32_u24 v16, v0, 17, 9
	v_cndmask_b32_e32 v14, 0, v14, vcc
	v_perm_b32 v12, v14, v12, s2
	v_mad_u32_u24 v14, v0, 17, 11
	v_cmp_gt_u32_e32 vcc, s10, v14
	v_lshrrev_b32_e32 v18, 16, v3
	v_mad_u32_u24 v17, v0, 17, 10
	v_cndmask_b32_e32 v14, 0, v3, vcc
	v_cmp_gt_u32_e32 vcc, s10, v15
	s_waitcnt vmcnt(0)
	v_lshrrev_b32_e32 v20, 16, v9
	v_mad_u32_u24 v19, v0, 17, 6
	v_cndmask_b32_e32 v15, 0, v18, vcc
	v_cmp_gt_u32_e32 vcc, s10, v16
	v_perm_b32 v15, v15, v14, s2
	v_lshrrev_b32_e32 v16, 16, v2
	v_cndmask_b32_e32 v14, 0, v2, vcc
	v_cmp_gt_u32_e32 vcc, s10, v17
	v_mad_u32_u24 v17, v0, 17, 8
	v_mad_u32_u24 v18, v0, 17, 5
	v_cndmask_b32_e32 v16, 0, v16, vcc
	v_perm_b32 v14, v16, v14, s2
	v_mad_u32_u24 v16, v0, 17, 7
	v_cmp_gt_u32_e32 vcc, s10, v16
	v_lshrrev_b32_e32 v22, 16, v7
	v_mad_u32_u24 v21, v0, 17, 2
	v_cndmask_b32_e32 v16, 0, v9, vcc
	v_cmp_gt_u32_e32 vcc, s10, v17
	v_mul_u32_u24_e32 v1, 17, v0
	ds_write_b16 v10, v11
	v_cndmask_b32_e32 v17, 0, v20, vcc
	v_cmp_gt_u32_e32 vcc, s10, v18
	v_perm_b32 v17, v17, v16, s2
	v_lshrrev_b32_e32 v18, 16, v8
	v_cndmask_b32_e32 v16, 0, v8, vcc
	v_cmp_gt_u32_e32 vcc, s10, v19
	v_mad_u32_u24 v19, v0, 17, 4
	v_mad_u32_u24 v20, v0, 17, 1
	v_cndmask_b32_e32 v18, 0, v18, vcc
	v_perm_b32 v16, v18, v16, s2
	v_mad_u32_u24 v18, v0, 17, 3
	v_cmp_gt_u32_e32 vcc, s10, v18
	s_waitcnt lgkmcnt(0)
	s_barrier
	v_cndmask_b32_e32 v18, 0, v7, vcc
	v_cmp_gt_u32_e32 vcc, s10, v19
	s_nop 1
	v_cndmask_b32_e32 v19, 0, v22, vcc
	v_cmp_gt_u32_e32 vcc, s10, v20
	v_perm_b32 v19, v19, v18, s2
	v_lshrrev_b32_e32 v20, 16, v6
	v_cndmask_b32_e32 v18, 0, v6, vcc
	v_cmp_gt_u32_e32 vcc, s10, v21
	s_nop 1
	v_cndmask_b32_e32 v20, 0, v20, vcc
	v_perm_b32 v18, v20, v18, s2
	v_cmp_ne_u32_e32 vcc, 0, v0
	v_cmp_gt_u32_e64 s[2:3], s10, v1
	s_and_b64 s[12:13], vcc, s[2:3]
	v_mov_b32_e32 v1, v6
	s_and_saveexec_b64 s[2:3], s[12:13]
	s_cbranch_execz .LBB543_58
; %bb.57:
	v_add_u32_e32 v1, -2, v10
	ds_read_u16 v1, v1
	s_waitcnt lgkmcnt(0)
	v_add_u16_e32 v1, v1, v6
.LBB543_58:
	s_or_b64 exec, exec, s[2:3]
.LBB543_59:
	s_add_u32 s6, s8, s6
	v_alignbit_b32 v6, v7, v6, 16
	v_alignbit_b32 v7, v8, v7, 16
	;; [unrolled: 1-line block ×8, first 2 shown]
	s_addc_u32 s7, s9, s7
	v_pk_add_u16 v7, v19, v7
	v_pk_add_u16 v6, v18, v6
	;; [unrolled: 1-line block ×8, first 2 shown]
	s_and_b64 vcc, exec, s[0:1]
	v_mul_u32_u24_e32 v14, 34, v0
	v_lshlrev_b32_e32 v15, 5, v0
	s_barrier
	s_cbranch_vccz .LBB543_93
; %bb.60:
	v_sub_u32_e32 v11, v14, v15
	ds_write_b16 v14, v1
	ds_write_b128 v14, v[6:9] offset:2
	ds_write_b128 v14, v[2:5] offset:18
	s_waitcnt lgkmcnt(0)
	s_barrier
	ds_read_u16 v31, v11 offset:512
	ds_read_u16 v30, v11 offset:1024
	;; [unrolled: 1-line block ×11, first 2 shown]
	s_waitcnt vmcnt(0)
	ds_read_u16 v20, v11 offset:6144
	ds_read_u16 v19, v11 offset:6656
	;; [unrolled: 1-line block ×5, first 2 shown]
	s_mov_b32 s5, 0
	s_add_i32 s11, s11, s10
	s_lshl_b64 s[0:1], s[4:5], 1
	s_add_u32 s0, s6, s0
	s_addc_u32 s1, s7, s1
	v_mov_b32_e32 v11, 0
	v_lshl_add_u64 v[12:13], s[0:1], 0, v[10:11]
	v_cmp_gt_u32_e32 vcc, s11, v0
	s_and_saveexec_b64 s[0:1], vcc
	s_cbranch_execz .LBB543_62
; %bb.61:
	v_sub_u32_e32 v11, 0, v15
	v_add_u32_e32 v11, v14, v11
	ds_read_u16 v11, v11
	s_waitcnt lgkmcnt(0)
	global_store_short v[12:13], v11, off
.LBB543_62:
	s_or_b64 exec, exec, s[0:1]
	v_or_b32_e32 v11, 0x100, v0
	v_cmp_gt_u32_e32 vcc, s11, v11
	s_and_saveexec_b64 s[0:1], vcc
	s_cbranch_execz .LBB543_64
; %bb.63:
	s_waitcnt lgkmcnt(14)
	global_store_short v[12:13], v31, off offset:512
.LBB543_64:
	s_or_b64 exec, exec, s[0:1]
	v_or_b32_e32 v11, 0x200, v0
	v_cmp_gt_u32_e32 vcc, s11, v11
	s_and_saveexec_b64 s[0:1], vcc
	s_cbranch_execz .LBB543_66
; %bb.65:
	s_waitcnt lgkmcnt(14)
	global_store_short v[12:13], v30, off offset:1024
.LBB543_66:
	;; [unrolled: 9-line block ×7, first 2 shown]
	s_or_b64 exec, exec, s[0:1]
	v_or_b32_e32 v11, 0x800, v0
	v_cmp_gt_u32_e32 vcc, s11, v11
	s_and_saveexec_b64 s[0:1], vcc
	s_cbranch_execz .LBB543_78
; %bb.77:
	s_waitcnt lgkmcnt(10)
	v_add_co_u32_e32 v26, vcc, 0x1000, v12
	s_nop 1
	v_addc_co_u32_e32 v27, vcc, 0, v13, vcc
	s_waitcnt lgkmcnt(8)
	global_store_short v[26:27], v24, off
.LBB543_78:
	s_or_b64 exec, exec, s[0:1]
	v_or_b32_e32 v11, 0x900, v0
	v_cmp_gt_u32_e32 vcc, s11, v11
	s_and_saveexec_b64 s[0:1], vcc
	s_cbranch_execz .LBB543_80
; %bb.79:
	s_waitcnt lgkmcnt(8)
	v_add_co_u32_e32 v24, vcc, 0x1000, v12
	s_nop 1
	v_addc_co_u32_e32 v25, vcc, 0, v13, vcc
	s_waitcnt lgkmcnt(7)
	global_store_short v[24:25], v23, off offset:512
.LBB543_80:
	s_or_b64 exec, exec, s[0:1]
	v_or_b32_e32 v11, 0xa00, v0
	v_cmp_gt_u32_e32 vcc, s11, v11
	s_and_saveexec_b64 s[0:1], vcc
	s_cbranch_execz .LBB543_82
; %bb.81:
	s_waitcnt lgkmcnt(8)
	v_add_co_u32_e32 v24, vcc, 0x1000, v12
	s_nop 1
	v_addc_co_u32_e32 v25, vcc, 0, v13, vcc
	s_waitcnt lgkmcnt(6)
	global_store_short v[24:25], v22, off offset:1024
.LBB543_82:
	s_or_b64 exec, exec, s[0:1]
	v_or_b32_e32 v11, 0xb00, v0
	v_cmp_gt_u32_e32 vcc, s11, v11
	s_and_saveexec_b64 s[0:1], vcc
	s_cbranch_execz .LBB543_84
; %bb.83:
	s_waitcnt lgkmcnt(6)
	v_add_co_u32_e32 v22, vcc, 0x1000, v12
	s_nop 1
	v_addc_co_u32_e32 v23, vcc, 0, v13, vcc
	s_waitcnt lgkmcnt(5)
	global_store_short v[22:23], v21, off offset:1536
.LBB543_84:
	s_or_b64 exec, exec, s[0:1]
	v_or_b32_e32 v11, 0xc00, v0
	v_cmp_gt_u32_e32 vcc, s11, v11
	s_and_saveexec_b64 s[0:1], vcc
	s_cbranch_execz .LBB543_86
; %bb.85:
	s_waitcnt lgkmcnt(6)
	v_add_co_u32_e32 v22, vcc, 0x1000, v12
	s_nop 1
	v_addc_co_u32_e32 v23, vcc, 0, v13, vcc
	s_waitcnt lgkmcnt(4)
	global_store_short v[22:23], v20, off offset:2048
.LBB543_86:
	s_or_b64 exec, exec, s[0:1]
	v_or_b32_e32 v11, 0xd00, v0
	v_cmp_gt_u32_e32 vcc, s11, v11
	s_and_saveexec_b64 s[0:1], vcc
	s_cbranch_execz .LBB543_88
; %bb.87:
	s_waitcnt lgkmcnt(4)
	v_add_co_u32_e32 v20, vcc, 0x1000, v12
	s_nop 1
	v_addc_co_u32_e32 v21, vcc, 0, v13, vcc
	s_waitcnt lgkmcnt(3)
	global_store_short v[20:21], v19, off offset:2560
.LBB543_88:
	s_or_b64 exec, exec, s[0:1]
	v_or_b32_e32 v11, 0xe00, v0
	v_cmp_gt_u32_e32 vcc, s11, v11
	s_and_saveexec_b64 s[0:1], vcc
	s_cbranch_execz .LBB543_90
; %bb.89:
	s_waitcnt lgkmcnt(4)
	v_add_co_u32_e32 v20, vcc, 0x1000, v12
	s_nop 1
	v_addc_co_u32_e32 v21, vcc, 0, v13, vcc
	s_waitcnt lgkmcnt(2)
	global_store_short v[20:21], v18, off offset:3072
.LBB543_90:
	s_or_b64 exec, exec, s[0:1]
	v_or_b32_e32 v11, 0xf00, v0
	v_cmp_gt_u32_e32 vcc, s11, v11
	s_and_saveexec_b64 s[0:1], vcc
	s_cbranch_execz .LBB543_92
; %bb.91:
	s_waitcnt lgkmcnt(2)
	v_add_co_u32_e32 v18, vcc, 0x1000, v12
	s_nop 1
	v_addc_co_u32_e32 v19, vcc, 0, v13, vcc
	s_waitcnt lgkmcnt(1)
	global_store_short v[18:19], v17, off offset:3584
.LBB543_92:
	s_or_b64 exec, exec, s[0:1]
	v_or_b32_e32 v0, 0x1000, v0
	v_cmp_gt_u32_e64 s[0:1], s11, v0
	s_branch .LBB543_95
.LBB543_93:
	s_mov_b64 s[0:1], 0
                                        ; implicit-def: $vgpr16
                                        ; implicit-def: $vgpr12_vgpr13
	s_cbranch_execz .LBB543_95
; %bb.94:
	s_mov_b32 s5, 0
	s_lshl_b64 s[2:3], s[4:5], 1
	s_add_u32 s2, s6, s2
	v_sub_u32_e32 v0, v14, v15
	s_addc_u32 s3, s7, s3
	ds_write_b16 v14, v1
	ds_write_b128 v14, v[6:9] offset:2
	ds_write_b128 v14, v[2:5] offset:18
	s_waitcnt lgkmcnt(0)
	s_barrier
	ds_read_u16 v1, v0
	ds_read_u16 v2, v0 offset:512
	ds_read_u16 v3, v0 offset:1024
	;; [unrolled: 1-line block ×13, first 2 shown]
	s_waitcnt vmcnt(0)
	ds_read_u16 v20, v0 offset:7168
	ds_read_u16 v21, v0 offset:7680
	;; [unrolled: 1-line block ×3, first 2 shown]
	v_mov_b32_e32 v11, 0
	v_lshl_add_u64 v[12:13], s[2:3], 0, v[10:11]
	v_add_co_u32_e32 v0, vcc, 0x1000, v12
	s_waitcnt lgkmcnt(14)
	global_store_short v10, v1, s[2:3]
	global_store_short v10, v2, s[2:3] offset:512
	global_store_short v10, v3, s[2:3] offset:1024
	s_waitcnt lgkmcnt(13)
	global_store_short v10, v4, s[2:3] offset:1536
	s_waitcnt lgkmcnt(12)
	;; [unrolled: 2-line block ×5, first 2 shown]
	global_store_short v10, v8, s[2:3] offset:3584
	v_addc_co_u32_e32 v1, vcc, 0, v13, vcc
	s_or_b64 s[0:1], s[0:1], exec
	s_waitcnt lgkmcnt(8)
	global_store_short v[0:1], v9, off
	s_waitcnt lgkmcnt(7)
	global_store_short v[0:1], v14, off offset:512
	s_waitcnt lgkmcnt(6)
	global_store_short v[0:1], v15, off offset:1024
	;; [unrolled: 2-line block ×7, first 2 shown]
.LBB543_95:
	s_and_saveexec_b64 s[2:3], s[0:1]
	s_cbranch_execnz .LBB543_97
; %bb.96:
	s_endpgm
.LBB543_97:
	v_add_co_u32_e32 v0, vcc, 0x2000, v12
	s_nop 1
	v_addc_co_u32_e32 v1, vcc, 0, v13, vcc
	s_waitcnt lgkmcnt(0)
	global_store_short v[0:1], v16, off
	s_endpgm
	.section	.rodata,"a",@progbits
	.p2align	6, 0x0
	.amdhsa_kernel _ZN7rocprim17ROCPRIM_400000_NS6detail17trampoline_kernelINS0_14default_configENS1_35adjacent_difference_config_selectorILb0EtEEZNS1_24adjacent_difference_implIS3_Lb0ELb0EPKtPtN6thrust23THRUST_200600_302600_NS4plusItEEEE10hipError_tPvRmT2_T3_mT4_P12ihipStream_tbEUlT_E_NS1_11comp_targetILNS1_3genE5ELNS1_11target_archE942ELNS1_3gpuE9ELNS1_3repE0EEENS1_30default_config_static_selectorELNS0_4arch9wavefront6targetE1EEEvT1_
		.amdhsa_group_segment_fixed_size 8704
		.amdhsa_private_segment_fixed_size 0
		.amdhsa_kernarg_size 56
		.amdhsa_user_sgpr_count 2
		.amdhsa_user_sgpr_dispatch_ptr 0
		.amdhsa_user_sgpr_queue_ptr 0
		.amdhsa_user_sgpr_kernarg_segment_ptr 1
		.amdhsa_user_sgpr_dispatch_id 0
		.amdhsa_user_sgpr_kernarg_preload_length 0
		.amdhsa_user_sgpr_kernarg_preload_offset 0
		.amdhsa_user_sgpr_private_segment_size 0
		.amdhsa_uses_dynamic_stack 0
		.amdhsa_enable_private_segment 0
		.amdhsa_system_sgpr_workgroup_id_x 1
		.amdhsa_system_sgpr_workgroup_id_y 0
		.amdhsa_system_sgpr_workgroup_id_z 0
		.amdhsa_system_sgpr_workgroup_info 0
		.amdhsa_system_vgpr_workitem_id 0
		.amdhsa_next_free_vgpr 32
		.amdhsa_next_free_sgpr 23
		.amdhsa_accum_offset 32
		.amdhsa_reserve_vcc 1
		.amdhsa_float_round_mode_32 0
		.amdhsa_float_round_mode_16_64 0
		.amdhsa_float_denorm_mode_32 3
		.amdhsa_float_denorm_mode_16_64 3
		.amdhsa_dx10_clamp 1
		.amdhsa_ieee_mode 1
		.amdhsa_fp16_overflow 0
		.amdhsa_tg_split 0
		.amdhsa_exception_fp_ieee_invalid_op 0
		.amdhsa_exception_fp_denorm_src 0
		.amdhsa_exception_fp_ieee_div_zero 0
		.amdhsa_exception_fp_ieee_overflow 0
		.amdhsa_exception_fp_ieee_underflow 0
		.amdhsa_exception_fp_ieee_inexact 0
		.amdhsa_exception_int_div_zero 0
	.end_amdhsa_kernel
	.section	.text._ZN7rocprim17ROCPRIM_400000_NS6detail17trampoline_kernelINS0_14default_configENS1_35adjacent_difference_config_selectorILb0EtEEZNS1_24adjacent_difference_implIS3_Lb0ELb0EPKtPtN6thrust23THRUST_200600_302600_NS4plusItEEEE10hipError_tPvRmT2_T3_mT4_P12ihipStream_tbEUlT_E_NS1_11comp_targetILNS1_3genE5ELNS1_11target_archE942ELNS1_3gpuE9ELNS1_3repE0EEENS1_30default_config_static_selectorELNS0_4arch9wavefront6targetE1EEEvT1_,"axG",@progbits,_ZN7rocprim17ROCPRIM_400000_NS6detail17trampoline_kernelINS0_14default_configENS1_35adjacent_difference_config_selectorILb0EtEEZNS1_24adjacent_difference_implIS3_Lb0ELb0EPKtPtN6thrust23THRUST_200600_302600_NS4plusItEEEE10hipError_tPvRmT2_T3_mT4_P12ihipStream_tbEUlT_E_NS1_11comp_targetILNS1_3genE5ELNS1_11target_archE942ELNS1_3gpuE9ELNS1_3repE0EEENS1_30default_config_static_selectorELNS0_4arch9wavefront6targetE1EEEvT1_,comdat
.Lfunc_end543:
	.size	_ZN7rocprim17ROCPRIM_400000_NS6detail17trampoline_kernelINS0_14default_configENS1_35adjacent_difference_config_selectorILb0EtEEZNS1_24adjacent_difference_implIS3_Lb0ELb0EPKtPtN6thrust23THRUST_200600_302600_NS4plusItEEEE10hipError_tPvRmT2_T3_mT4_P12ihipStream_tbEUlT_E_NS1_11comp_targetILNS1_3genE5ELNS1_11target_archE942ELNS1_3gpuE9ELNS1_3repE0EEENS1_30default_config_static_selectorELNS0_4arch9wavefront6targetE1EEEvT1_, .Lfunc_end543-_ZN7rocprim17ROCPRIM_400000_NS6detail17trampoline_kernelINS0_14default_configENS1_35adjacent_difference_config_selectorILb0EtEEZNS1_24adjacent_difference_implIS3_Lb0ELb0EPKtPtN6thrust23THRUST_200600_302600_NS4plusItEEEE10hipError_tPvRmT2_T3_mT4_P12ihipStream_tbEUlT_E_NS1_11comp_targetILNS1_3genE5ELNS1_11target_archE942ELNS1_3gpuE9ELNS1_3repE0EEENS1_30default_config_static_selectorELNS0_4arch9wavefront6targetE1EEEvT1_
                                        ; -- End function
	.section	.AMDGPU.csdata,"",@progbits
; Kernel info:
; codeLenInByte = 4392
; NumSgprs: 29
; NumVgprs: 32
; NumAgprs: 0
; TotalNumVgprs: 32
; ScratchSize: 0
; MemoryBound: 0
; FloatMode: 240
; IeeeMode: 1
; LDSByteSize: 8704 bytes/workgroup (compile time only)
; SGPRBlocks: 3
; VGPRBlocks: 3
; NumSGPRsForWavesPerEU: 29
; NumVGPRsForWavesPerEU: 32
; AccumOffset: 32
; Occupancy: 7
; WaveLimiterHint : 1
; COMPUTE_PGM_RSRC2:SCRATCH_EN: 0
; COMPUTE_PGM_RSRC2:USER_SGPR: 2
; COMPUTE_PGM_RSRC2:TRAP_HANDLER: 0
; COMPUTE_PGM_RSRC2:TGID_X_EN: 1
; COMPUTE_PGM_RSRC2:TGID_Y_EN: 0
; COMPUTE_PGM_RSRC2:TGID_Z_EN: 0
; COMPUTE_PGM_RSRC2:TIDIG_COMP_CNT: 0
; COMPUTE_PGM_RSRC3_GFX90A:ACCUM_OFFSET: 7
; COMPUTE_PGM_RSRC3_GFX90A:TG_SPLIT: 0
	.section	.text._ZN7rocprim17ROCPRIM_400000_NS6detail17trampoline_kernelINS0_14default_configENS1_35adjacent_difference_config_selectorILb0EtEEZNS1_24adjacent_difference_implIS3_Lb0ELb0EPKtPtN6thrust23THRUST_200600_302600_NS4plusItEEEE10hipError_tPvRmT2_T3_mT4_P12ihipStream_tbEUlT_E_NS1_11comp_targetILNS1_3genE4ELNS1_11target_archE910ELNS1_3gpuE8ELNS1_3repE0EEENS1_30default_config_static_selectorELNS0_4arch9wavefront6targetE1EEEvT1_,"axG",@progbits,_ZN7rocprim17ROCPRIM_400000_NS6detail17trampoline_kernelINS0_14default_configENS1_35adjacent_difference_config_selectorILb0EtEEZNS1_24adjacent_difference_implIS3_Lb0ELb0EPKtPtN6thrust23THRUST_200600_302600_NS4plusItEEEE10hipError_tPvRmT2_T3_mT4_P12ihipStream_tbEUlT_E_NS1_11comp_targetILNS1_3genE4ELNS1_11target_archE910ELNS1_3gpuE8ELNS1_3repE0EEENS1_30default_config_static_selectorELNS0_4arch9wavefront6targetE1EEEvT1_,comdat
	.protected	_ZN7rocprim17ROCPRIM_400000_NS6detail17trampoline_kernelINS0_14default_configENS1_35adjacent_difference_config_selectorILb0EtEEZNS1_24adjacent_difference_implIS3_Lb0ELb0EPKtPtN6thrust23THRUST_200600_302600_NS4plusItEEEE10hipError_tPvRmT2_T3_mT4_P12ihipStream_tbEUlT_E_NS1_11comp_targetILNS1_3genE4ELNS1_11target_archE910ELNS1_3gpuE8ELNS1_3repE0EEENS1_30default_config_static_selectorELNS0_4arch9wavefront6targetE1EEEvT1_ ; -- Begin function _ZN7rocprim17ROCPRIM_400000_NS6detail17trampoline_kernelINS0_14default_configENS1_35adjacent_difference_config_selectorILb0EtEEZNS1_24adjacent_difference_implIS3_Lb0ELb0EPKtPtN6thrust23THRUST_200600_302600_NS4plusItEEEE10hipError_tPvRmT2_T3_mT4_P12ihipStream_tbEUlT_E_NS1_11comp_targetILNS1_3genE4ELNS1_11target_archE910ELNS1_3gpuE8ELNS1_3repE0EEENS1_30default_config_static_selectorELNS0_4arch9wavefront6targetE1EEEvT1_
	.globl	_ZN7rocprim17ROCPRIM_400000_NS6detail17trampoline_kernelINS0_14default_configENS1_35adjacent_difference_config_selectorILb0EtEEZNS1_24adjacent_difference_implIS3_Lb0ELb0EPKtPtN6thrust23THRUST_200600_302600_NS4plusItEEEE10hipError_tPvRmT2_T3_mT4_P12ihipStream_tbEUlT_E_NS1_11comp_targetILNS1_3genE4ELNS1_11target_archE910ELNS1_3gpuE8ELNS1_3repE0EEENS1_30default_config_static_selectorELNS0_4arch9wavefront6targetE1EEEvT1_
	.p2align	8
	.type	_ZN7rocprim17ROCPRIM_400000_NS6detail17trampoline_kernelINS0_14default_configENS1_35adjacent_difference_config_selectorILb0EtEEZNS1_24adjacent_difference_implIS3_Lb0ELb0EPKtPtN6thrust23THRUST_200600_302600_NS4plusItEEEE10hipError_tPvRmT2_T3_mT4_P12ihipStream_tbEUlT_E_NS1_11comp_targetILNS1_3genE4ELNS1_11target_archE910ELNS1_3gpuE8ELNS1_3repE0EEENS1_30default_config_static_selectorELNS0_4arch9wavefront6targetE1EEEvT1_,@function
_ZN7rocprim17ROCPRIM_400000_NS6detail17trampoline_kernelINS0_14default_configENS1_35adjacent_difference_config_selectorILb0EtEEZNS1_24adjacent_difference_implIS3_Lb0ELb0EPKtPtN6thrust23THRUST_200600_302600_NS4plusItEEEE10hipError_tPvRmT2_T3_mT4_P12ihipStream_tbEUlT_E_NS1_11comp_targetILNS1_3genE4ELNS1_11target_archE910ELNS1_3gpuE8ELNS1_3repE0EEENS1_30default_config_static_selectorELNS0_4arch9wavefront6targetE1EEEvT1_: ; @_ZN7rocprim17ROCPRIM_400000_NS6detail17trampoline_kernelINS0_14default_configENS1_35adjacent_difference_config_selectorILb0EtEEZNS1_24adjacent_difference_implIS3_Lb0ELb0EPKtPtN6thrust23THRUST_200600_302600_NS4plusItEEEE10hipError_tPvRmT2_T3_mT4_P12ihipStream_tbEUlT_E_NS1_11comp_targetILNS1_3genE4ELNS1_11target_archE910ELNS1_3gpuE8ELNS1_3repE0EEENS1_30default_config_static_selectorELNS0_4arch9wavefront6targetE1EEEvT1_
; %bb.0:
	.section	.rodata,"a",@progbits
	.p2align	6, 0x0
	.amdhsa_kernel _ZN7rocprim17ROCPRIM_400000_NS6detail17trampoline_kernelINS0_14default_configENS1_35adjacent_difference_config_selectorILb0EtEEZNS1_24adjacent_difference_implIS3_Lb0ELb0EPKtPtN6thrust23THRUST_200600_302600_NS4plusItEEEE10hipError_tPvRmT2_T3_mT4_P12ihipStream_tbEUlT_E_NS1_11comp_targetILNS1_3genE4ELNS1_11target_archE910ELNS1_3gpuE8ELNS1_3repE0EEENS1_30default_config_static_selectorELNS0_4arch9wavefront6targetE1EEEvT1_
		.amdhsa_group_segment_fixed_size 0
		.amdhsa_private_segment_fixed_size 0
		.amdhsa_kernarg_size 56
		.amdhsa_user_sgpr_count 2
		.amdhsa_user_sgpr_dispatch_ptr 0
		.amdhsa_user_sgpr_queue_ptr 0
		.amdhsa_user_sgpr_kernarg_segment_ptr 1
		.amdhsa_user_sgpr_dispatch_id 0
		.amdhsa_user_sgpr_kernarg_preload_length 0
		.amdhsa_user_sgpr_kernarg_preload_offset 0
		.amdhsa_user_sgpr_private_segment_size 0
		.amdhsa_uses_dynamic_stack 0
		.amdhsa_enable_private_segment 0
		.amdhsa_system_sgpr_workgroup_id_x 1
		.amdhsa_system_sgpr_workgroup_id_y 0
		.amdhsa_system_sgpr_workgroup_id_z 0
		.amdhsa_system_sgpr_workgroup_info 0
		.amdhsa_system_vgpr_workitem_id 0
		.amdhsa_next_free_vgpr 1
		.amdhsa_next_free_sgpr 0
		.amdhsa_accum_offset 4
		.amdhsa_reserve_vcc 0
		.amdhsa_float_round_mode_32 0
		.amdhsa_float_round_mode_16_64 0
		.amdhsa_float_denorm_mode_32 3
		.amdhsa_float_denorm_mode_16_64 3
		.amdhsa_dx10_clamp 1
		.amdhsa_ieee_mode 1
		.amdhsa_fp16_overflow 0
		.amdhsa_tg_split 0
		.amdhsa_exception_fp_ieee_invalid_op 0
		.amdhsa_exception_fp_denorm_src 0
		.amdhsa_exception_fp_ieee_div_zero 0
		.amdhsa_exception_fp_ieee_overflow 0
		.amdhsa_exception_fp_ieee_underflow 0
		.amdhsa_exception_fp_ieee_inexact 0
		.amdhsa_exception_int_div_zero 0
	.end_amdhsa_kernel
	.section	.text._ZN7rocprim17ROCPRIM_400000_NS6detail17trampoline_kernelINS0_14default_configENS1_35adjacent_difference_config_selectorILb0EtEEZNS1_24adjacent_difference_implIS3_Lb0ELb0EPKtPtN6thrust23THRUST_200600_302600_NS4plusItEEEE10hipError_tPvRmT2_T3_mT4_P12ihipStream_tbEUlT_E_NS1_11comp_targetILNS1_3genE4ELNS1_11target_archE910ELNS1_3gpuE8ELNS1_3repE0EEENS1_30default_config_static_selectorELNS0_4arch9wavefront6targetE1EEEvT1_,"axG",@progbits,_ZN7rocprim17ROCPRIM_400000_NS6detail17trampoline_kernelINS0_14default_configENS1_35adjacent_difference_config_selectorILb0EtEEZNS1_24adjacent_difference_implIS3_Lb0ELb0EPKtPtN6thrust23THRUST_200600_302600_NS4plusItEEEE10hipError_tPvRmT2_T3_mT4_P12ihipStream_tbEUlT_E_NS1_11comp_targetILNS1_3genE4ELNS1_11target_archE910ELNS1_3gpuE8ELNS1_3repE0EEENS1_30default_config_static_selectorELNS0_4arch9wavefront6targetE1EEEvT1_,comdat
.Lfunc_end544:
	.size	_ZN7rocprim17ROCPRIM_400000_NS6detail17trampoline_kernelINS0_14default_configENS1_35adjacent_difference_config_selectorILb0EtEEZNS1_24adjacent_difference_implIS3_Lb0ELb0EPKtPtN6thrust23THRUST_200600_302600_NS4plusItEEEE10hipError_tPvRmT2_T3_mT4_P12ihipStream_tbEUlT_E_NS1_11comp_targetILNS1_3genE4ELNS1_11target_archE910ELNS1_3gpuE8ELNS1_3repE0EEENS1_30default_config_static_selectorELNS0_4arch9wavefront6targetE1EEEvT1_, .Lfunc_end544-_ZN7rocprim17ROCPRIM_400000_NS6detail17trampoline_kernelINS0_14default_configENS1_35adjacent_difference_config_selectorILb0EtEEZNS1_24adjacent_difference_implIS3_Lb0ELb0EPKtPtN6thrust23THRUST_200600_302600_NS4plusItEEEE10hipError_tPvRmT2_T3_mT4_P12ihipStream_tbEUlT_E_NS1_11comp_targetILNS1_3genE4ELNS1_11target_archE910ELNS1_3gpuE8ELNS1_3repE0EEENS1_30default_config_static_selectorELNS0_4arch9wavefront6targetE1EEEvT1_
                                        ; -- End function
	.section	.AMDGPU.csdata,"",@progbits
; Kernel info:
; codeLenInByte = 0
; NumSgprs: 6
; NumVgprs: 0
; NumAgprs: 0
; TotalNumVgprs: 0
; ScratchSize: 0
; MemoryBound: 0
; FloatMode: 240
; IeeeMode: 1
; LDSByteSize: 0 bytes/workgroup (compile time only)
; SGPRBlocks: 0
; VGPRBlocks: 0
; NumSGPRsForWavesPerEU: 6
; NumVGPRsForWavesPerEU: 1
; AccumOffset: 4
; Occupancy: 8
; WaveLimiterHint : 0
; COMPUTE_PGM_RSRC2:SCRATCH_EN: 0
; COMPUTE_PGM_RSRC2:USER_SGPR: 2
; COMPUTE_PGM_RSRC2:TRAP_HANDLER: 0
; COMPUTE_PGM_RSRC2:TGID_X_EN: 1
; COMPUTE_PGM_RSRC2:TGID_Y_EN: 0
; COMPUTE_PGM_RSRC2:TGID_Z_EN: 0
; COMPUTE_PGM_RSRC2:TIDIG_COMP_CNT: 0
; COMPUTE_PGM_RSRC3_GFX90A:ACCUM_OFFSET: 0
; COMPUTE_PGM_RSRC3_GFX90A:TG_SPLIT: 0
	.section	.text._ZN7rocprim17ROCPRIM_400000_NS6detail17trampoline_kernelINS0_14default_configENS1_35adjacent_difference_config_selectorILb0EtEEZNS1_24adjacent_difference_implIS3_Lb0ELb0EPKtPtN6thrust23THRUST_200600_302600_NS4plusItEEEE10hipError_tPvRmT2_T3_mT4_P12ihipStream_tbEUlT_E_NS1_11comp_targetILNS1_3genE3ELNS1_11target_archE908ELNS1_3gpuE7ELNS1_3repE0EEENS1_30default_config_static_selectorELNS0_4arch9wavefront6targetE1EEEvT1_,"axG",@progbits,_ZN7rocprim17ROCPRIM_400000_NS6detail17trampoline_kernelINS0_14default_configENS1_35adjacent_difference_config_selectorILb0EtEEZNS1_24adjacent_difference_implIS3_Lb0ELb0EPKtPtN6thrust23THRUST_200600_302600_NS4plusItEEEE10hipError_tPvRmT2_T3_mT4_P12ihipStream_tbEUlT_E_NS1_11comp_targetILNS1_3genE3ELNS1_11target_archE908ELNS1_3gpuE7ELNS1_3repE0EEENS1_30default_config_static_selectorELNS0_4arch9wavefront6targetE1EEEvT1_,comdat
	.protected	_ZN7rocprim17ROCPRIM_400000_NS6detail17trampoline_kernelINS0_14default_configENS1_35adjacent_difference_config_selectorILb0EtEEZNS1_24adjacent_difference_implIS3_Lb0ELb0EPKtPtN6thrust23THRUST_200600_302600_NS4plusItEEEE10hipError_tPvRmT2_T3_mT4_P12ihipStream_tbEUlT_E_NS1_11comp_targetILNS1_3genE3ELNS1_11target_archE908ELNS1_3gpuE7ELNS1_3repE0EEENS1_30default_config_static_selectorELNS0_4arch9wavefront6targetE1EEEvT1_ ; -- Begin function _ZN7rocprim17ROCPRIM_400000_NS6detail17trampoline_kernelINS0_14default_configENS1_35adjacent_difference_config_selectorILb0EtEEZNS1_24adjacent_difference_implIS3_Lb0ELb0EPKtPtN6thrust23THRUST_200600_302600_NS4plusItEEEE10hipError_tPvRmT2_T3_mT4_P12ihipStream_tbEUlT_E_NS1_11comp_targetILNS1_3genE3ELNS1_11target_archE908ELNS1_3gpuE7ELNS1_3repE0EEENS1_30default_config_static_selectorELNS0_4arch9wavefront6targetE1EEEvT1_
	.globl	_ZN7rocprim17ROCPRIM_400000_NS6detail17trampoline_kernelINS0_14default_configENS1_35adjacent_difference_config_selectorILb0EtEEZNS1_24adjacent_difference_implIS3_Lb0ELb0EPKtPtN6thrust23THRUST_200600_302600_NS4plusItEEEE10hipError_tPvRmT2_T3_mT4_P12ihipStream_tbEUlT_E_NS1_11comp_targetILNS1_3genE3ELNS1_11target_archE908ELNS1_3gpuE7ELNS1_3repE0EEENS1_30default_config_static_selectorELNS0_4arch9wavefront6targetE1EEEvT1_
	.p2align	8
	.type	_ZN7rocprim17ROCPRIM_400000_NS6detail17trampoline_kernelINS0_14default_configENS1_35adjacent_difference_config_selectorILb0EtEEZNS1_24adjacent_difference_implIS3_Lb0ELb0EPKtPtN6thrust23THRUST_200600_302600_NS4plusItEEEE10hipError_tPvRmT2_T3_mT4_P12ihipStream_tbEUlT_E_NS1_11comp_targetILNS1_3genE3ELNS1_11target_archE908ELNS1_3gpuE7ELNS1_3repE0EEENS1_30default_config_static_selectorELNS0_4arch9wavefront6targetE1EEEvT1_,@function
_ZN7rocprim17ROCPRIM_400000_NS6detail17trampoline_kernelINS0_14default_configENS1_35adjacent_difference_config_selectorILb0EtEEZNS1_24adjacent_difference_implIS3_Lb0ELb0EPKtPtN6thrust23THRUST_200600_302600_NS4plusItEEEE10hipError_tPvRmT2_T3_mT4_P12ihipStream_tbEUlT_E_NS1_11comp_targetILNS1_3genE3ELNS1_11target_archE908ELNS1_3gpuE7ELNS1_3repE0EEENS1_30default_config_static_selectorELNS0_4arch9wavefront6targetE1EEEvT1_: ; @_ZN7rocprim17ROCPRIM_400000_NS6detail17trampoline_kernelINS0_14default_configENS1_35adjacent_difference_config_selectorILb0EtEEZNS1_24adjacent_difference_implIS3_Lb0ELb0EPKtPtN6thrust23THRUST_200600_302600_NS4plusItEEEE10hipError_tPvRmT2_T3_mT4_P12ihipStream_tbEUlT_E_NS1_11comp_targetILNS1_3genE3ELNS1_11target_archE908ELNS1_3gpuE7ELNS1_3repE0EEENS1_30default_config_static_selectorELNS0_4arch9wavefront6targetE1EEEvT1_
; %bb.0:
	.section	.rodata,"a",@progbits
	.p2align	6, 0x0
	.amdhsa_kernel _ZN7rocprim17ROCPRIM_400000_NS6detail17trampoline_kernelINS0_14default_configENS1_35adjacent_difference_config_selectorILb0EtEEZNS1_24adjacent_difference_implIS3_Lb0ELb0EPKtPtN6thrust23THRUST_200600_302600_NS4plusItEEEE10hipError_tPvRmT2_T3_mT4_P12ihipStream_tbEUlT_E_NS1_11comp_targetILNS1_3genE3ELNS1_11target_archE908ELNS1_3gpuE7ELNS1_3repE0EEENS1_30default_config_static_selectorELNS0_4arch9wavefront6targetE1EEEvT1_
		.amdhsa_group_segment_fixed_size 0
		.amdhsa_private_segment_fixed_size 0
		.amdhsa_kernarg_size 56
		.amdhsa_user_sgpr_count 2
		.amdhsa_user_sgpr_dispatch_ptr 0
		.amdhsa_user_sgpr_queue_ptr 0
		.amdhsa_user_sgpr_kernarg_segment_ptr 1
		.amdhsa_user_sgpr_dispatch_id 0
		.amdhsa_user_sgpr_kernarg_preload_length 0
		.amdhsa_user_sgpr_kernarg_preload_offset 0
		.amdhsa_user_sgpr_private_segment_size 0
		.amdhsa_uses_dynamic_stack 0
		.amdhsa_enable_private_segment 0
		.amdhsa_system_sgpr_workgroup_id_x 1
		.amdhsa_system_sgpr_workgroup_id_y 0
		.amdhsa_system_sgpr_workgroup_id_z 0
		.amdhsa_system_sgpr_workgroup_info 0
		.amdhsa_system_vgpr_workitem_id 0
		.amdhsa_next_free_vgpr 1
		.amdhsa_next_free_sgpr 0
		.amdhsa_accum_offset 4
		.amdhsa_reserve_vcc 0
		.amdhsa_float_round_mode_32 0
		.amdhsa_float_round_mode_16_64 0
		.amdhsa_float_denorm_mode_32 3
		.amdhsa_float_denorm_mode_16_64 3
		.amdhsa_dx10_clamp 1
		.amdhsa_ieee_mode 1
		.amdhsa_fp16_overflow 0
		.amdhsa_tg_split 0
		.amdhsa_exception_fp_ieee_invalid_op 0
		.amdhsa_exception_fp_denorm_src 0
		.amdhsa_exception_fp_ieee_div_zero 0
		.amdhsa_exception_fp_ieee_overflow 0
		.amdhsa_exception_fp_ieee_underflow 0
		.amdhsa_exception_fp_ieee_inexact 0
		.amdhsa_exception_int_div_zero 0
	.end_amdhsa_kernel
	.section	.text._ZN7rocprim17ROCPRIM_400000_NS6detail17trampoline_kernelINS0_14default_configENS1_35adjacent_difference_config_selectorILb0EtEEZNS1_24adjacent_difference_implIS3_Lb0ELb0EPKtPtN6thrust23THRUST_200600_302600_NS4plusItEEEE10hipError_tPvRmT2_T3_mT4_P12ihipStream_tbEUlT_E_NS1_11comp_targetILNS1_3genE3ELNS1_11target_archE908ELNS1_3gpuE7ELNS1_3repE0EEENS1_30default_config_static_selectorELNS0_4arch9wavefront6targetE1EEEvT1_,"axG",@progbits,_ZN7rocprim17ROCPRIM_400000_NS6detail17trampoline_kernelINS0_14default_configENS1_35adjacent_difference_config_selectorILb0EtEEZNS1_24adjacent_difference_implIS3_Lb0ELb0EPKtPtN6thrust23THRUST_200600_302600_NS4plusItEEEE10hipError_tPvRmT2_T3_mT4_P12ihipStream_tbEUlT_E_NS1_11comp_targetILNS1_3genE3ELNS1_11target_archE908ELNS1_3gpuE7ELNS1_3repE0EEENS1_30default_config_static_selectorELNS0_4arch9wavefront6targetE1EEEvT1_,comdat
.Lfunc_end545:
	.size	_ZN7rocprim17ROCPRIM_400000_NS6detail17trampoline_kernelINS0_14default_configENS1_35adjacent_difference_config_selectorILb0EtEEZNS1_24adjacent_difference_implIS3_Lb0ELb0EPKtPtN6thrust23THRUST_200600_302600_NS4plusItEEEE10hipError_tPvRmT2_T3_mT4_P12ihipStream_tbEUlT_E_NS1_11comp_targetILNS1_3genE3ELNS1_11target_archE908ELNS1_3gpuE7ELNS1_3repE0EEENS1_30default_config_static_selectorELNS0_4arch9wavefront6targetE1EEEvT1_, .Lfunc_end545-_ZN7rocprim17ROCPRIM_400000_NS6detail17trampoline_kernelINS0_14default_configENS1_35adjacent_difference_config_selectorILb0EtEEZNS1_24adjacent_difference_implIS3_Lb0ELb0EPKtPtN6thrust23THRUST_200600_302600_NS4plusItEEEE10hipError_tPvRmT2_T3_mT4_P12ihipStream_tbEUlT_E_NS1_11comp_targetILNS1_3genE3ELNS1_11target_archE908ELNS1_3gpuE7ELNS1_3repE0EEENS1_30default_config_static_selectorELNS0_4arch9wavefront6targetE1EEEvT1_
                                        ; -- End function
	.section	.AMDGPU.csdata,"",@progbits
; Kernel info:
; codeLenInByte = 0
; NumSgprs: 6
; NumVgprs: 0
; NumAgprs: 0
; TotalNumVgprs: 0
; ScratchSize: 0
; MemoryBound: 0
; FloatMode: 240
; IeeeMode: 1
; LDSByteSize: 0 bytes/workgroup (compile time only)
; SGPRBlocks: 0
; VGPRBlocks: 0
; NumSGPRsForWavesPerEU: 6
; NumVGPRsForWavesPerEU: 1
; AccumOffset: 4
; Occupancy: 8
; WaveLimiterHint : 0
; COMPUTE_PGM_RSRC2:SCRATCH_EN: 0
; COMPUTE_PGM_RSRC2:USER_SGPR: 2
; COMPUTE_PGM_RSRC2:TRAP_HANDLER: 0
; COMPUTE_PGM_RSRC2:TGID_X_EN: 1
; COMPUTE_PGM_RSRC2:TGID_Y_EN: 0
; COMPUTE_PGM_RSRC2:TGID_Z_EN: 0
; COMPUTE_PGM_RSRC2:TIDIG_COMP_CNT: 0
; COMPUTE_PGM_RSRC3_GFX90A:ACCUM_OFFSET: 0
; COMPUTE_PGM_RSRC3_GFX90A:TG_SPLIT: 0
	.section	.text._ZN7rocprim17ROCPRIM_400000_NS6detail17trampoline_kernelINS0_14default_configENS1_35adjacent_difference_config_selectorILb0EtEEZNS1_24adjacent_difference_implIS3_Lb0ELb0EPKtPtN6thrust23THRUST_200600_302600_NS4plusItEEEE10hipError_tPvRmT2_T3_mT4_P12ihipStream_tbEUlT_E_NS1_11comp_targetILNS1_3genE2ELNS1_11target_archE906ELNS1_3gpuE6ELNS1_3repE0EEENS1_30default_config_static_selectorELNS0_4arch9wavefront6targetE1EEEvT1_,"axG",@progbits,_ZN7rocprim17ROCPRIM_400000_NS6detail17trampoline_kernelINS0_14default_configENS1_35adjacent_difference_config_selectorILb0EtEEZNS1_24adjacent_difference_implIS3_Lb0ELb0EPKtPtN6thrust23THRUST_200600_302600_NS4plusItEEEE10hipError_tPvRmT2_T3_mT4_P12ihipStream_tbEUlT_E_NS1_11comp_targetILNS1_3genE2ELNS1_11target_archE906ELNS1_3gpuE6ELNS1_3repE0EEENS1_30default_config_static_selectorELNS0_4arch9wavefront6targetE1EEEvT1_,comdat
	.protected	_ZN7rocprim17ROCPRIM_400000_NS6detail17trampoline_kernelINS0_14default_configENS1_35adjacent_difference_config_selectorILb0EtEEZNS1_24adjacent_difference_implIS3_Lb0ELb0EPKtPtN6thrust23THRUST_200600_302600_NS4plusItEEEE10hipError_tPvRmT2_T3_mT4_P12ihipStream_tbEUlT_E_NS1_11comp_targetILNS1_3genE2ELNS1_11target_archE906ELNS1_3gpuE6ELNS1_3repE0EEENS1_30default_config_static_selectorELNS0_4arch9wavefront6targetE1EEEvT1_ ; -- Begin function _ZN7rocprim17ROCPRIM_400000_NS6detail17trampoline_kernelINS0_14default_configENS1_35adjacent_difference_config_selectorILb0EtEEZNS1_24adjacent_difference_implIS3_Lb0ELb0EPKtPtN6thrust23THRUST_200600_302600_NS4plusItEEEE10hipError_tPvRmT2_T3_mT4_P12ihipStream_tbEUlT_E_NS1_11comp_targetILNS1_3genE2ELNS1_11target_archE906ELNS1_3gpuE6ELNS1_3repE0EEENS1_30default_config_static_selectorELNS0_4arch9wavefront6targetE1EEEvT1_
	.globl	_ZN7rocprim17ROCPRIM_400000_NS6detail17trampoline_kernelINS0_14default_configENS1_35adjacent_difference_config_selectorILb0EtEEZNS1_24adjacent_difference_implIS3_Lb0ELb0EPKtPtN6thrust23THRUST_200600_302600_NS4plusItEEEE10hipError_tPvRmT2_T3_mT4_P12ihipStream_tbEUlT_E_NS1_11comp_targetILNS1_3genE2ELNS1_11target_archE906ELNS1_3gpuE6ELNS1_3repE0EEENS1_30default_config_static_selectorELNS0_4arch9wavefront6targetE1EEEvT1_
	.p2align	8
	.type	_ZN7rocprim17ROCPRIM_400000_NS6detail17trampoline_kernelINS0_14default_configENS1_35adjacent_difference_config_selectorILb0EtEEZNS1_24adjacent_difference_implIS3_Lb0ELb0EPKtPtN6thrust23THRUST_200600_302600_NS4plusItEEEE10hipError_tPvRmT2_T3_mT4_P12ihipStream_tbEUlT_E_NS1_11comp_targetILNS1_3genE2ELNS1_11target_archE906ELNS1_3gpuE6ELNS1_3repE0EEENS1_30default_config_static_selectorELNS0_4arch9wavefront6targetE1EEEvT1_,@function
_ZN7rocprim17ROCPRIM_400000_NS6detail17trampoline_kernelINS0_14default_configENS1_35adjacent_difference_config_selectorILb0EtEEZNS1_24adjacent_difference_implIS3_Lb0ELb0EPKtPtN6thrust23THRUST_200600_302600_NS4plusItEEEE10hipError_tPvRmT2_T3_mT4_P12ihipStream_tbEUlT_E_NS1_11comp_targetILNS1_3genE2ELNS1_11target_archE906ELNS1_3gpuE6ELNS1_3repE0EEENS1_30default_config_static_selectorELNS0_4arch9wavefront6targetE1EEEvT1_: ; @_ZN7rocprim17ROCPRIM_400000_NS6detail17trampoline_kernelINS0_14default_configENS1_35adjacent_difference_config_selectorILb0EtEEZNS1_24adjacent_difference_implIS3_Lb0ELb0EPKtPtN6thrust23THRUST_200600_302600_NS4plusItEEEE10hipError_tPvRmT2_T3_mT4_P12ihipStream_tbEUlT_E_NS1_11comp_targetILNS1_3genE2ELNS1_11target_archE906ELNS1_3gpuE6ELNS1_3repE0EEENS1_30default_config_static_selectorELNS0_4arch9wavefront6targetE1EEEvT1_
; %bb.0:
	.section	.rodata,"a",@progbits
	.p2align	6, 0x0
	.amdhsa_kernel _ZN7rocprim17ROCPRIM_400000_NS6detail17trampoline_kernelINS0_14default_configENS1_35adjacent_difference_config_selectorILb0EtEEZNS1_24adjacent_difference_implIS3_Lb0ELb0EPKtPtN6thrust23THRUST_200600_302600_NS4plusItEEEE10hipError_tPvRmT2_T3_mT4_P12ihipStream_tbEUlT_E_NS1_11comp_targetILNS1_3genE2ELNS1_11target_archE906ELNS1_3gpuE6ELNS1_3repE0EEENS1_30default_config_static_selectorELNS0_4arch9wavefront6targetE1EEEvT1_
		.amdhsa_group_segment_fixed_size 0
		.amdhsa_private_segment_fixed_size 0
		.amdhsa_kernarg_size 56
		.amdhsa_user_sgpr_count 2
		.amdhsa_user_sgpr_dispatch_ptr 0
		.amdhsa_user_sgpr_queue_ptr 0
		.amdhsa_user_sgpr_kernarg_segment_ptr 1
		.amdhsa_user_sgpr_dispatch_id 0
		.amdhsa_user_sgpr_kernarg_preload_length 0
		.amdhsa_user_sgpr_kernarg_preload_offset 0
		.amdhsa_user_sgpr_private_segment_size 0
		.amdhsa_uses_dynamic_stack 0
		.amdhsa_enable_private_segment 0
		.amdhsa_system_sgpr_workgroup_id_x 1
		.amdhsa_system_sgpr_workgroup_id_y 0
		.amdhsa_system_sgpr_workgroup_id_z 0
		.amdhsa_system_sgpr_workgroup_info 0
		.amdhsa_system_vgpr_workitem_id 0
		.amdhsa_next_free_vgpr 1
		.amdhsa_next_free_sgpr 0
		.amdhsa_accum_offset 4
		.amdhsa_reserve_vcc 0
		.amdhsa_float_round_mode_32 0
		.amdhsa_float_round_mode_16_64 0
		.amdhsa_float_denorm_mode_32 3
		.amdhsa_float_denorm_mode_16_64 3
		.amdhsa_dx10_clamp 1
		.amdhsa_ieee_mode 1
		.amdhsa_fp16_overflow 0
		.amdhsa_tg_split 0
		.amdhsa_exception_fp_ieee_invalid_op 0
		.amdhsa_exception_fp_denorm_src 0
		.amdhsa_exception_fp_ieee_div_zero 0
		.amdhsa_exception_fp_ieee_overflow 0
		.amdhsa_exception_fp_ieee_underflow 0
		.amdhsa_exception_fp_ieee_inexact 0
		.amdhsa_exception_int_div_zero 0
	.end_amdhsa_kernel
	.section	.text._ZN7rocprim17ROCPRIM_400000_NS6detail17trampoline_kernelINS0_14default_configENS1_35adjacent_difference_config_selectorILb0EtEEZNS1_24adjacent_difference_implIS3_Lb0ELb0EPKtPtN6thrust23THRUST_200600_302600_NS4plusItEEEE10hipError_tPvRmT2_T3_mT4_P12ihipStream_tbEUlT_E_NS1_11comp_targetILNS1_3genE2ELNS1_11target_archE906ELNS1_3gpuE6ELNS1_3repE0EEENS1_30default_config_static_selectorELNS0_4arch9wavefront6targetE1EEEvT1_,"axG",@progbits,_ZN7rocprim17ROCPRIM_400000_NS6detail17trampoline_kernelINS0_14default_configENS1_35adjacent_difference_config_selectorILb0EtEEZNS1_24adjacent_difference_implIS3_Lb0ELb0EPKtPtN6thrust23THRUST_200600_302600_NS4plusItEEEE10hipError_tPvRmT2_T3_mT4_P12ihipStream_tbEUlT_E_NS1_11comp_targetILNS1_3genE2ELNS1_11target_archE906ELNS1_3gpuE6ELNS1_3repE0EEENS1_30default_config_static_selectorELNS0_4arch9wavefront6targetE1EEEvT1_,comdat
.Lfunc_end546:
	.size	_ZN7rocprim17ROCPRIM_400000_NS6detail17trampoline_kernelINS0_14default_configENS1_35adjacent_difference_config_selectorILb0EtEEZNS1_24adjacent_difference_implIS3_Lb0ELb0EPKtPtN6thrust23THRUST_200600_302600_NS4plusItEEEE10hipError_tPvRmT2_T3_mT4_P12ihipStream_tbEUlT_E_NS1_11comp_targetILNS1_3genE2ELNS1_11target_archE906ELNS1_3gpuE6ELNS1_3repE0EEENS1_30default_config_static_selectorELNS0_4arch9wavefront6targetE1EEEvT1_, .Lfunc_end546-_ZN7rocprim17ROCPRIM_400000_NS6detail17trampoline_kernelINS0_14default_configENS1_35adjacent_difference_config_selectorILb0EtEEZNS1_24adjacent_difference_implIS3_Lb0ELb0EPKtPtN6thrust23THRUST_200600_302600_NS4plusItEEEE10hipError_tPvRmT2_T3_mT4_P12ihipStream_tbEUlT_E_NS1_11comp_targetILNS1_3genE2ELNS1_11target_archE906ELNS1_3gpuE6ELNS1_3repE0EEENS1_30default_config_static_selectorELNS0_4arch9wavefront6targetE1EEEvT1_
                                        ; -- End function
	.section	.AMDGPU.csdata,"",@progbits
; Kernel info:
; codeLenInByte = 0
; NumSgprs: 6
; NumVgprs: 0
; NumAgprs: 0
; TotalNumVgprs: 0
; ScratchSize: 0
; MemoryBound: 0
; FloatMode: 240
; IeeeMode: 1
; LDSByteSize: 0 bytes/workgroup (compile time only)
; SGPRBlocks: 0
; VGPRBlocks: 0
; NumSGPRsForWavesPerEU: 6
; NumVGPRsForWavesPerEU: 1
; AccumOffset: 4
; Occupancy: 8
; WaveLimiterHint : 0
; COMPUTE_PGM_RSRC2:SCRATCH_EN: 0
; COMPUTE_PGM_RSRC2:USER_SGPR: 2
; COMPUTE_PGM_RSRC2:TRAP_HANDLER: 0
; COMPUTE_PGM_RSRC2:TGID_X_EN: 1
; COMPUTE_PGM_RSRC2:TGID_Y_EN: 0
; COMPUTE_PGM_RSRC2:TGID_Z_EN: 0
; COMPUTE_PGM_RSRC2:TIDIG_COMP_CNT: 0
; COMPUTE_PGM_RSRC3_GFX90A:ACCUM_OFFSET: 0
; COMPUTE_PGM_RSRC3_GFX90A:TG_SPLIT: 0
	.section	.text._ZN7rocprim17ROCPRIM_400000_NS6detail17trampoline_kernelINS0_14default_configENS1_35adjacent_difference_config_selectorILb0EtEEZNS1_24adjacent_difference_implIS3_Lb0ELb0EPKtPtN6thrust23THRUST_200600_302600_NS4plusItEEEE10hipError_tPvRmT2_T3_mT4_P12ihipStream_tbEUlT_E_NS1_11comp_targetILNS1_3genE9ELNS1_11target_archE1100ELNS1_3gpuE3ELNS1_3repE0EEENS1_30default_config_static_selectorELNS0_4arch9wavefront6targetE1EEEvT1_,"axG",@progbits,_ZN7rocprim17ROCPRIM_400000_NS6detail17trampoline_kernelINS0_14default_configENS1_35adjacent_difference_config_selectorILb0EtEEZNS1_24adjacent_difference_implIS3_Lb0ELb0EPKtPtN6thrust23THRUST_200600_302600_NS4plusItEEEE10hipError_tPvRmT2_T3_mT4_P12ihipStream_tbEUlT_E_NS1_11comp_targetILNS1_3genE9ELNS1_11target_archE1100ELNS1_3gpuE3ELNS1_3repE0EEENS1_30default_config_static_selectorELNS0_4arch9wavefront6targetE1EEEvT1_,comdat
	.protected	_ZN7rocprim17ROCPRIM_400000_NS6detail17trampoline_kernelINS0_14default_configENS1_35adjacent_difference_config_selectorILb0EtEEZNS1_24adjacent_difference_implIS3_Lb0ELb0EPKtPtN6thrust23THRUST_200600_302600_NS4plusItEEEE10hipError_tPvRmT2_T3_mT4_P12ihipStream_tbEUlT_E_NS1_11comp_targetILNS1_3genE9ELNS1_11target_archE1100ELNS1_3gpuE3ELNS1_3repE0EEENS1_30default_config_static_selectorELNS0_4arch9wavefront6targetE1EEEvT1_ ; -- Begin function _ZN7rocprim17ROCPRIM_400000_NS6detail17trampoline_kernelINS0_14default_configENS1_35adjacent_difference_config_selectorILb0EtEEZNS1_24adjacent_difference_implIS3_Lb0ELb0EPKtPtN6thrust23THRUST_200600_302600_NS4plusItEEEE10hipError_tPvRmT2_T3_mT4_P12ihipStream_tbEUlT_E_NS1_11comp_targetILNS1_3genE9ELNS1_11target_archE1100ELNS1_3gpuE3ELNS1_3repE0EEENS1_30default_config_static_selectorELNS0_4arch9wavefront6targetE1EEEvT1_
	.globl	_ZN7rocprim17ROCPRIM_400000_NS6detail17trampoline_kernelINS0_14default_configENS1_35adjacent_difference_config_selectorILb0EtEEZNS1_24adjacent_difference_implIS3_Lb0ELb0EPKtPtN6thrust23THRUST_200600_302600_NS4plusItEEEE10hipError_tPvRmT2_T3_mT4_P12ihipStream_tbEUlT_E_NS1_11comp_targetILNS1_3genE9ELNS1_11target_archE1100ELNS1_3gpuE3ELNS1_3repE0EEENS1_30default_config_static_selectorELNS0_4arch9wavefront6targetE1EEEvT1_
	.p2align	8
	.type	_ZN7rocprim17ROCPRIM_400000_NS6detail17trampoline_kernelINS0_14default_configENS1_35adjacent_difference_config_selectorILb0EtEEZNS1_24adjacent_difference_implIS3_Lb0ELb0EPKtPtN6thrust23THRUST_200600_302600_NS4plusItEEEE10hipError_tPvRmT2_T3_mT4_P12ihipStream_tbEUlT_E_NS1_11comp_targetILNS1_3genE9ELNS1_11target_archE1100ELNS1_3gpuE3ELNS1_3repE0EEENS1_30default_config_static_selectorELNS0_4arch9wavefront6targetE1EEEvT1_,@function
_ZN7rocprim17ROCPRIM_400000_NS6detail17trampoline_kernelINS0_14default_configENS1_35adjacent_difference_config_selectorILb0EtEEZNS1_24adjacent_difference_implIS3_Lb0ELb0EPKtPtN6thrust23THRUST_200600_302600_NS4plusItEEEE10hipError_tPvRmT2_T3_mT4_P12ihipStream_tbEUlT_E_NS1_11comp_targetILNS1_3genE9ELNS1_11target_archE1100ELNS1_3gpuE3ELNS1_3repE0EEENS1_30default_config_static_selectorELNS0_4arch9wavefront6targetE1EEEvT1_: ; @_ZN7rocprim17ROCPRIM_400000_NS6detail17trampoline_kernelINS0_14default_configENS1_35adjacent_difference_config_selectorILb0EtEEZNS1_24adjacent_difference_implIS3_Lb0ELb0EPKtPtN6thrust23THRUST_200600_302600_NS4plusItEEEE10hipError_tPvRmT2_T3_mT4_P12ihipStream_tbEUlT_E_NS1_11comp_targetILNS1_3genE9ELNS1_11target_archE1100ELNS1_3gpuE3ELNS1_3repE0EEENS1_30default_config_static_selectorELNS0_4arch9wavefront6targetE1EEEvT1_
; %bb.0:
	.section	.rodata,"a",@progbits
	.p2align	6, 0x0
	.amdhsa_kernel _ZN7rocprim17ROCPRIM_400000_NS6detail17trampoline_kernelINS0_14default_configENS1_35adjacent_difference_config_selectorILb0EtEEZNS1_24adjacent_difference_implIS3_Lb0ELb0EPKtPtN6thrust23THRUST_200600_302600_NS4plusItEEEE10hipError_tPvRmT2_T3_mT4_P12ihipStream_tbEUlT_E_NS1_11comp_targetILNS1_3genE9ELNS1_11target_archE1100ELNS1_3gpuE3ELNS1_3repE0EEENS1_30default_config_static_selectorELNS0_4arch9wavefront6targetE1EEEvT1_
		.amdhsa_group_segment_fixed_size 0
		.amdhsa_private_segment_fixed_size 0
		.amdhsa_kernarg_size 56
		.amdhsa_user_sgpr_count 2
		.amdhsa_user_sgpr_dispatch_ptr 0
		.amdhsa_user_sgpr_queue_ptr 0
		.amdhsa_user_sgpr_kernarg_segment_ptr 1
		.amdhsa_user_sgpr_dispatch_id 0
		.amdhsa_user_sgpr_kernarg_preload_length 0
		.amdhsa_user_sgpr_kernarg_preload_offset 0
		.amdhsa_user_sgpr_private_segment_size 0
		.amdhsa_uses_dynamic_stack 0
		.amdhsa_enable_private_segment 0
		.amdhsa_system_sgpr_workgroup_id_x 1
		.amdhsa_system_sgpr_workgroup_id_y 0
		.amdhsa_system_sgpr_workgroup_id_z 0
		.amdhsa_system_sgpr_workgroup_info 0
		.amdhsa_system_vgpr_workitem_id 0
		.amdhsa_next_free_vgpr 1
		.amdhsa_next_free_sgpr 0
		.amdhsa_accum_offset 4
		.amdhsa_reserve_vcc 0
		.amdhsa_float_round_mode_32 0
		.amdhsa_float_round_mode_16_64 0
		.amdhsa_float_denorm_mode_32 3
		.amdhsa_float_denorm_mode_16_64 3
		.amdhsa_dx10_clamp 1
		.amdhsa_ieee_mode 1
		.amdhsa_fp16_overflow 0
		.amdhsa_tg_split 0
		.amdhsa_exception_fp_ieee_invalid_op 0
		.amdhsa_exception_fp_denorm_src 0
		.amdhsa_exception_fp_ieee_div_zero 0
		.amdhsa_exception_fp_ieee_overflow 0
		.amdhsa_exception_fp_ieee_underflow 0
		.amdhsa_exception_fp_ieee_inexact 0
		.amdhsa_exception_int_div_zero 0
	.end_amdhsa_kernel
	.section	.text._ZN7rocprim17ROCPRIM_400000_NS6detail17trampoline_kernelINS0_14default_configENS1_35adjacent_difference_config_selectorILb0EtEEZNS1_24adjacent_difference_implIS3_Lb0ELb0EPKtPtN6thrust23THRUST_200600_302600_NS4plusItEEEE10hipError_tPvRmT2_T3_mT4_P12ihipStream_tbEUlT_E_NS1_11comp_targetILNS1_3genE9ELNS1_11target_archE1100ELNS1_3gpuE3ELNS1_3repE0EEENS1_30default_config_static_selectorELNS0_4arch9wavefront6targetE1EEEvT1_,"axG",@progbits,_ZN7rocprim17ROCPRIM_400000_NS6detail17trampoline_kernelINS0_14default_configENS1_35adjacent_difference_config_selectorILb0EtEEZNS1_24adjacent_difference_implIS3_Lb0ELb0EPKtPtN6thrust23THRUST_200600_302600_NS4plusItEEEE10hipError_tPvRmT2_T3_mT4_P12ihipStream_tbEUlT_E_NS1_11comp_targetILNS1_3genE9ELNS1_11target_archE1100ELNS1_3gpuE3ELNS1_3repE0EEENS1_30default_config_static_selectorELNS0_4arch9wavefront6targetE1EEEvT1_,comdat
.Lfunc_end547:
	.size	_ZN7rocprim17ROCPRIM_400000_NS6detail17trampoline_kernelINS0_14default_configENS1_35adjacent_difference_config_selectorILb0EtEEZNS1_24adjacent_difference_implIS3_Lb0ELb0EPKtPtN6thrust23THRUST_200600_302600_NS4plusItEEEE10hipError_tPvRmT2_T3_mT4_P12ihipStream_tbEUlT_E_NS1_11comp_targetILNS1_3genE9ELNS1_11target_archE1100ELNS1_3gpuE3ELNS1_3repE0EEENS1_30default_config_static_selectorELNS0_4arch9wavefront6targetE1EEEvT1_, .Lfunc_end547-_ZN7rocprim17ROCPRIM_400000_NS6detail17trampoline_kernelINS0_14default_configENS1_35adjacent_difference_config_selectorILb0EtEEZNS1_24adjacent_difference_implIS3_Lb0ELb0EPKtPtN6thrust23THRUST_200600_302600_NS4plusItEEEE10hipError_tPvRmT2_T3_mT4_P12ihipStream_tbEUlT_E_NS1_11comp_targetILNS1_3genE9ELNS1_11target_archE1100ELNS1_3gpuE3ELNS1_3repE0EEENS1_30default_config_static_selectorELNS0_4arch9wavefront6targetE1EEEvT1_
                                        ; -- End function
	.section	.AMDGPU.csdata,"",@progbits
; Kernel info:
; codeLenInByte = 0
; NumSgprs: 6
; NumVgprs: 0
; NumAgprs: 0
; TotalNumVgprs: 0
; ScratchSize: 0
; MemoryBound: 0
; FloatMode: 240
; IeeeMode: 1
; LDSByteSize: 0 bytes/workgroup (compile time only)
; SGPRBlocks: 0
; VGPRBlocks: 0
; NumSGPRsForWavesPerEU: 6
; NumVGPRsForWavesPerEU: 1
; AccumOffset: 4
; Occupancy: 8
; WaveLimiterHint : 0
; COMPUTE_PGM_RSRC2:SCRATCH_EN: 0
; COMPUTE_PGM_RSRC2:USER_SGPR: 2
; COMPUTE_PGM_RSRC2:TRAP_HANDLER: 0
; COMPUTE_PGM_RSRC2:TGID_X_EN: 1
; COMPUTE_PGM_RSRC2:TGID_Y_EN: 0
; COMPUTE_PGM_RSRC2:TGID_Z_EN: 0
; COMPUTE_PGM_RSRC2:TIDIG_COMP_CNT: 0
; COMPUTE_PGM_RSRC3_GFX90A:ACCUM_OFFSET: 0
; COMPUTE_PGM_RSRC3_GFX90A:TG_SPLIT: 0
	.section	.text._ZN7rocprim17ROCPRIM_400000_NS6detail17trampoline_kernelINS0_14default_configENS1_35adjacent_difference_config_selectorILb0EtEEZNS1_24adjacent_difference_implIS3_Lb0ELb0EPKtPtN6thrust23THRUST_200600_302600_NS4plusItEEEE10hipError_tPvRmT2_T3_mT4_P12ihipStream_tbEUlT_E_NS1_11comp_targetILNS1_3genE8ELNS1_11target_archE1030ELNS1_3gpuE2ELNS1_3repE0EEENS1_30default_config_static_selectorELNS0_4arch9wavefront6targetE1EEEvT1_,"axG",@progbits,_ZN7rocprim17ROCPRIM_400000_NS6detail17trampoline_kernelINS0_14default_configENS1_35adjacent_difference_config_selectorILb0EtEEZNS1_24adjacent_difference_implIS3_Lb0ELb0EPKtPtN6thrust23THRUST_200600_302600_NS4plusItEEEE10hipError_tPvRmT2_T3_mT4_P12ihipStream_tbEUlT_E_NS1_11comp_targetILNS1_3genE8ELNS1_11target_archE1030ELNS1_3gpuE2ELNS1_3repE0EEENS1_30default_config_static_selectorELNS0_4arch9wavefront6targetE1EEEvT1_,comdat
	.protected	_ZN7rocprim17ROCPRIM_400000_NS6detail17trampoline_kernelINS0_14default_configENS1_35adjacent_difference_config_selectorILb0EtEEZNS1_24adjacent_difference_implIS3_Lb0ELb0EPKtPtN6thrust23THRUST_200600_302600_NS4plusItEEEE10hipError_tPvRmT2_T3_mT4_P12ihipStream_tbEUlT_E_NS1_11comp_targetILNS1_3genE8ELNS1_11target_archE1030ELNS1_3gpuE2ELNS1_3repE0EEENS1_30default_config_static_selectorELNS0_4arch9wavefront6targetE1EEEvT1_ ; -- Begin function _ZN7rocprim17ROCPRIM_400000_NS6detail17trampoline_kernelINS0_14default_configENS1_35adjacent_difference_config_selectorILb0EtEEZNS1_24adjacent_difference_implIS3_Lb0ELb0EPKtPtN6thrust23THRUST_200600_302600_NS4plusItEEEE10hipError_tPvRmT2_T3_mT4_P12ihipStream_tbEUlT_E_NS1_11comp_targetILNS1_3genE8ELNS1_11target_archE1030ELNS1_3gpuE2ELNS1_3repE0EEENS1_30default_config_static_selectorELNS0_4arch9wavefront6targetE1EEEvT1_
	.globl	_ZN7rocprim17ROCPRIM_400000_NS6detail17trampoline_kernelINS0_14default_configENS1_35adjacent_difference_config_selectorILb0EtEEZNS1_24adjacent_difference_implIS3_Lb0ELb0EPKtPtN6thrust23THRUST_200600_302600_NS4plusItEEEE10hipError_tPvRmT2_T3_mT4_P12ihipStream_tbEUlT_E_NS1_11comp_targetILNS1_3genE8ELNS1_11target_archE1030ELNS1_3gpuE2ELNS1_3repE0EEENS1_30default_config_static_selectorELNS0_4arch9wavefront6targetE1EEEvT1_
	.p2align	8
	.type	_ZN7rocprim17ROCPRIM_400000_NS6detail17trampoline_kernelINS0_14default_configENS1_35adjacent_difference_config_selectorILb0EtEEZNS1_24adjacent_difference_implIS3_Lb0ELb0EPKtPtN6thrust23THRUST_200600_302600_NS4plusItEEEE10hipError_tPvRmT2_T3_mT4_P12ihipStream_tbEUlT_E_NS1_11comp_targetILNS1_3genE8ELNS1_11target_archE1030ELNS1_3gpuE2ELNS1_3repE0EEENS1_30default_config_static_selectorELNS0_4arch9wavefront6targetE1EEEvT1_,@function
_ZN7rocprim17ROCPRIM_400000_NS6detail17trampoline_kernelINS0_14default_configENS1_35adjacent_difference_config_selectorILb0EtEEZNS1_24adjacent_difference_implIS3_Lb0ELb0EPKtPtN6thrust23THRUST_200600_302600_NS4plusItEEEE10hipError_tPvRmT2_T3_mT4_P12ihipStream_tbEUlT_E_NS1_11comp_targetILNS1_3genE8ELNS1_11target_archE1030ELNS1_3gpuE2ELNS1_3repE0EEENS1_30default_config_static_selectorELNS0_4arch9wavefront6targetE1EEEvT1_: ; @_ZN7rocprim17ROCPRIM_400000_NS6detail17trampoline_kernelINS0_14default_configENS1_35adjacent_difference_config_selectorILb0EtEEZNS1_24adjacent_difference_implIS3_Lb0ELb0EPKtPtN6thrust23THRUST_200600_302600_NS4plusItEEEE10hipError_tPvRmT2_T3_mT4_P12ihipStream_tbEUlT_E_NS1_11comp_targetILNS1_3genE8ELNS1_11target_archE1030ELNS1_3gpuE2ELNS1_3repE0EEENS1_30default_config_static_selectorELNS0_4arch9wavefront6targetE1EEEvT1_
; %bb.0:
	.section	.rodata,"a",@progbits
	.p2align	6, 0x0
	.amdhsa_kernel _ZN7rocprim17ROCPRIM_400000_NS6detail17trampoline_kernelINS0_14default_configENS1_35adjacent_difference_config_selectorILb0EtEEZNS1_24adjacent_difference_implIS3_Lb0ELb0EPKtPtN6thrust23THRUST_200600_302600_NS4plusItEEEE10hipError_tPvRmT2_T3_mT4_P12ihipStream_tbEUlT_E_NS1_11comp_targetILNS1_3genE8ELNS1_11target_archE1030ELNS1_3gpuE2ELNS1_3repE0EEENS1_30default_config_static_selectorELNS0_4arch9wavefront6targetE1EEEvT1_
		.amdhsa_group_segment_fixed_size 0
		.amdhsa_private_segment_fixed_size 0
		.amdhsa_kernarg_size 56
		.amdhsa_user_sgpr_count 2
		.amdhsa_user_sgpr_dispatch_ptr 0
		.amdhsa_user_sgpr_queue_ptr 0
		.amdhsa_user_sgpr_kernarg_segment_ptr 1
		.amdhsa_user_sgpr_dispatch_id 0
		.amdhsa_user_sgpr_kernarg_preload_length 0
		.amdhsa_user_sgpr_kernarg_preload_offset 0
		.amdhsa_user_sgpr_private_segment_size 0
		.amdhsa_uses_dynamic_stack 0
		.amdhsa_enable_private_segment 0
		.amdhsa_system_sgpr_workgroup_id_x 1
		.amdhsa_system_sgpr_workgroup_id_y 0
		.amdhsa_system_sgpr_workgroup_id_z 0
		.amdhsa_system_sgpr_workgroup_info 0
		.amdhsa_system_vgpr_workitem_id 0
		.amdhsa_next_free_vgpr 1
		.amdhsa_next_free_sgpr 0
		.amdhsa_accum_offset 4
		.amdhsa_reserve_vcc 0
		.amdhsa_float_round_mode_32 0
		.amdhsa_float_round_mode_16_64 0
		.amdhsa_float_denorm_mode_32 3
		.amdhsa_float_denorm_mode_16_64 3
		.amdhsa_dx10_clamp 1
		.amdhsa_ieee_mode 1
		.amdhsa_fp16_overflow 0
		.amdhsa_tg_split 0
		.amdhsa_exception_fp_ieee_invalid_op 0
		.amdhsa_exception_fp_denorm_src 0
		.amdhsa_exception_fp_ieee_div_zero 0
		.amdhsa_exception_fp_ieee_overflow 0
		.amdhsa_exception_fp_ieee_underflow 0
		.amdhsa_exception_fp_ieee_inexact 0
		.amdhsa_exception_int_div_zero 0
	.end_amdhsa_kernel
	.section	.text._ZN7rocprim17ROCPRIM_400000_NS6detail17trampoline_kernelINS0_14default_configENS1_35adjacent_difference_config_selectorILb0EtEEZNS1_24adjacent_difference_implIS3_Lb0ELb0EPKtPtN6thrust23THRUST_200600_302600_NS4plusItEEEE10hipError_tPvRmT2_T3_mT4_P12ihipStream_tbEUlT_E_NS1_11comp_targetILNS1_3genE8ELNS1_11target_archE1030ELNS1_3gpuE2ELNS1_3repE0EEENS1_30default_config_static_selectorELNS0_4arch9wavefront6targetE1EEEvT1_,"axG",@progbits,_ZN7rocprim17ROCPRIM_400000_NS6detail17trampoline_kernelINS0_14default_configENS1_35adjacent_difference_config_selectorILb0EtEEZNS1_24adjacent_difference_implIS3_Lb0ELb0EPKtPtN6thrust23THRUST_200600_302600_NS4plusItEEEE10hipError_tPvRmT2_T3_mT4_P12ihipStream_tbEUlT_E_NS1_11comp_targetILNS1_3genE8ELNS1_11target_archE1030ELNS1_3gpuE2ELNS1_3repE0EEENS1_30default_config_static_selectorELNS0_4arch9wavefront6targetE1EEEvT1_,comdat
.Lfunc_end548:
	.size	_ZN7rocprim17ROCPRIM_400000_NS6detail17trampoline_kernelINS0_14default_configENS1_35adjacent_difference_config_selectorILb0EtEEZNS1_24adjacent_difference_implIS3_Lb0ELb0EPKtPtN6thrust23THRUST_200600_302600_NS4plusItEEEE10hipError_tPvRmT2_T3_mT4_P12ihipStream_tbEUlT_E_NS1_11comp_targetILNS1_3genE8ELNS1_11target_archE1030ELNS1_3gpuE2ELNS1_3repE0EEENS1_30default_config_static_selectorELNS0_4arch9wavefront6targetE1EEEvT1_, .Lfunc_end548-_ZN7rocprim17ROCPRIM_400000_NS6detail17trampoline_kernelINS0_14default_configENS1_35adjacent_difference_config_selectorILb0EtEEZNS1_24adjacent_difference_implIS3_Lb0ELb0EPKtPtN6thrust23THRUST_200600_302600_NS4plusItEEEE10hipError_tPvRmT2_T3_mT4_P12ihipStream_tbEUlT_E_NS1_11comp_targetILNS1_3genE8ELNS1_11target_archE1030ELNS1_3gpuE2ELNS1_3repE0EEENS1_30default_config_static_selectorELNS0_4arch9wavefront6targetE1EEEvT1_
                                        ; -- End function
	.section	.AMDGPU.csdata,"",@progbits
; Kernel info:
; codeLenInByte = 0
; NumSgprs: 6
; NumVgprs: 0
; NumAgprs: 0
; TotalNumVgprs: 0
; ScratchSize: 0
; MemoryBound: 0
; FloatMode: 240
; IeeeMode: 1
; LDSByteSize: 0 bytes/workgroup (compile time only)
; SGPRBlocks: 0
; VGPRBlocks: 0
; NumSGPRsForWavesPerEU: 6
; NumVGPRsForWavesPerEU: 1
; AccumOffset: 4
; Occupancy: 8
; WaveLimiterHint : 0
; COMPUTE_PGM_RSRC2:SCRATCH_EN: 0
; COMPUTE_PGM_RSRC2:USER_SGPR: 2
; COMPUTE_PGM_RSRC2:TRAP_HANDLER: 0
; COMPUTE_PGM_RSRC2:TGID_X_EN: 1
; COMPUTE_PGM_RSRC2:TGID_Y_EN: 0
; COMPUTE_PGM_RSRC2:TGID_Z_EN: 0
; COMPUTE_PGM_RSRC2:TIDIG_COMP_CNT: 0
; COMPUTE_PGM_RSRC3_GFX90A:ACCUM_OFFSET: 0
; COMPUTE_PGM_RSRC3_GFX90A:TG_SPLIT: 0
	.section	.text._ZN7rocprim17ROCPRIM_400000_NS6detail17trampoline_kernelINS0_14default_configENS1_25transform_config_selectorItLb0EEEZNS1_14transform_implILb0ES3_S5_NS0_18transform_iteratorINS0_17counting_iteratorImlEEZNS1_24adjacent_difference_implIS3_Lb1ELb0EPKtPtN6thrust23THRUST_200600_302600_NS4plusItEEEE10hipError_tPvRmT2_T3_mT4_P12ihipStream_tbEUlmE_tEESD_NS0_8identityIvEEEESI_SL_SM_mSN_SP_bEUlT_E_NS1_11comp_targetILNS1_3genE0ELNS1_11target_archE4294967295ELNS1_3gpuE0ELNS1_3repE0EEENS1_30default_config_static_selectorELNS0_4arch9wavefront6targetE1EEEvT1_,"axG",@progbits,_ZN7rocprim17ROCPRIM_400000_NS6detail17trampoline_kernelINS0_14default_configENS1_25transform_config_selectorItLb0EEEZNS1_14transform_implILb0ES3_S5_NS0_18transform_iteratorINS0_17counting_iteratorImlEEZNS1_24adjacent_difference_implIS3_Lb1ELb0EPKtPtN6thrust23THRUST_200600_302600_NS4plusItEEEE10hipError_tPvRmT2_T3_mT4_P12ihipStream_tbEUlmE_tEESD_NS0_8identityIvEEEESI_SL_SM_mSN_SP_bEUlT_E_NS1_11comp_targetILNS1_3genE0ELNS1_11target_archE4294967295ELNS1_3gpuE0ELNS1_3repE0EEENS1_30default_config_static_selectorELNS0_4arch9wavefront6targetE1EEEvT1_,comdat
	.protected	_ZN7rocprim17ROCPRIM_400000_NS6detail17trampoline_kernelINS0_14default_configENS1_25transform_config_selectorItLb0EEEZNS1_14transform_implILb0ES3_S5_NS0_18transform_iteratorINS0_17counting_iteratorImlEEZNS1_24adjacent_difference_implIS3_Lb1ELb0EPKtPtN6thrust23THRUST_200600_302600_NS4plusItEEEE10hipError_tPvRmT2_T3_mT4_P12ihipStream_tbEUlmE_tEESD_NS0_8identityIvEEEESI_SL_SM_mSN_SP_bEUlT_E_NS1_11comp_targetILNS1_3genE0ELNS1_11target_archE4294967295ELNS1_3gpuE0ELNS1_3repE0EEENS1_30default_config_static_selectorELNS0_4arch9wavefront6targetE1EEEvT1_ ; -- Begin function _ZN7rocprim17ROCPRIM_400000_NS6detail17trampoline_kernelINS0_14default_configENS1_25transform_config_selectorItLb0EEEZNS1_14transform_implILb0ES3_S5_NS0_18transform_iteratorINS0_17counting_iteratorImlEEZNS1_24adjacent_difference_implIS3_Lb1ELb0EPKtPtN6thrust23THRUST_200600_302600_NS4plusItEEEE10hipError_tPvRmT2_T3_mT4_P12ihipStream_tbEUlmE_tEESD_NS0_8identityIvEEEESI_SL_SM_mSN_SP_bEUlT_E_NS1_11comp_targetILNS1_3genE0ELNS1_11target_archE4294967295ELNS1_3gpuE0ELNS1_3repE0EEENS1_30default_config_static_selectorELNS0_4arch9wavefront6targetE1EEEvT1_
	.globl	_ZN7rocprim17ROCPRIM_400000_NS6detail17trampoline_kernelINS0_14default_configENS1_25transform_config_selectorItLb0EEEZNS1_14transform_implILb0ES3_S5_NS0_18transform_iteratorINS0_17counting_iteratorImlEEZNS1_24adjacent_difference_implIS3_Lb1ELb0EPKtPtN6thrust23THRUST_200600_302600_NS4plusItEEEE10hipError_tPvRmT2_T3_mT4_P12ihipStream_tbEUlmE_tEESD_NS0_8identityIvEEEESI_SL_SM_mSN_SP_bEUlT_E_NS1_11comp_targetILNS1_3genE0ELNS1_11target_archE4294967295ELNS1_3gpuE0ELNS1_3repE0EEENS1_30default_config_static_selectorELNS0_4arch9wavefront6targetE1EEEvT1_
	.p2align	8
	.type	_ZN7rocprim17ROCPRIM_400000_NS6detail17trampoline_kernelINS0_14default_configENS1_25transform_config_selectorItLb0EEEZNS1_14transform_implILb0ES3_S5_NS0_18transform_iteratorINS0_17counting_iteratorImlEEZNS1_24adjacent_difference_implIS3_Lb1ELb0EPKtPtN6thrust23THRUST_200600_302600_NS4plusItEEEE10hipError_tPvRmT2_T3_mT4_P12ihipStream_tbEUlmE_tEESD_NS0_8identityIvEEEESI_SL_SM_mSN_SP_bEUlT_E_NS1_11comp_targetILNS1_3genE0ELNS1_11target_archE4294967295ELNS1_3gpuE0ELNS1_3repE0EEENS1_30default_config_static_selectorELNS0_4arch9wavefront6targetE1EEEvT1_,@function
_ZN7rocprim17ROCPRIM_400000_NS6detail17trampoline_kernelINS0_14default_configENS1_25transform_config_selectorItLb0EEEZNS1_14transform_implILb0ES3_S5_NS0_18transform_iteratorINS0_17counting_iteratorImlEEZNS1_24adjacent_difference_implIS3_Lb1ELb0EPKtPtN6thrust23THRUST_200600_302600_NS4plusItEEEE10hipError_tPvRmT2_T3_mT4_P12ihipStream_tbEUlmE_tEESD_NS0_8identityIvEEEESI_SL_SM_mSN_SP_bEUlT_E_NS1_11comp_targetILNS1_3genE0ELNS1_11target_archE4294967295ELNS1_3gpuE0ELNS1_3repE0EEENS1_30default_config_static_selectorELNS0_4arch9wavefront6targetE1EEEvT1_: ; @_ZN7rocprim17ROCPRIM_400000_NS6detail17trampoline_kernelINS0_14default_configENS1_25transform_config_selectorItLb0EEEZNS1_14transform_implILb0ES3_S5_NS0_18transform_iteratorINS0_17counting_iteratorImlEEZNS1_24adjacent_difference_implIS3_Lb1ELb0EPKtPtN6thrust23THRUST_200600_302600_NS4plusItEEEE10hipError_tPvRmT2_T3_mT4_P12ihipStream_tbEUlmE_tEESD_NS0_8identityIvEEEESI_SL_SM_mSN_SP_bEUlT_E_NS1_11comp_targetILNS1_3genE0ELNS1_11target_archE4294967295ELNS1_3gpuE0ELNS1_3repE0EEENS1_30default_config_static_selectorELNS0_4arch9wavefront6targetE1EEEvT1_
; %bb.0:
	.section	.rodata,"a",@progbits
	.p2align	6, 0x0
	.amdhsa_kernel _ZN7rocprim17ROCPRIM_400000_NS6detail17trampoline_kernelINS0_14default_configENS1_25transform_config_selectorItLb0EEEZNS1_14transform_implILb0ES3_S5_NS0_18transform_iteratorINS0_17counting_iteratorImlEEZNS1_24adjacent_difference_implIS3_Lb1ELb0EPKtPtN6thrust23THRUST_200600_302600_NS4plusItEEEE10hipError_tPvRmT2_T3_mT4_P12ihipStream_tbEUlmE_tEESD_NS0_8identityIvEEEESI_SL_SM_mSN_SP_bEUlT_E_NS1_11comp_targetILNS1_3genE0ELNS1_11target_archE4294967295ELNS1_3gpuE0ELNS1_3repE0EEENS1_30default_config_static_selectorELNS0_4arch9wavefront6targetE1EEEvT1_
		.amdhsa_group_segment_fixed_size 0
		.amdhsa_private_segment_fixed_size 0
		.amdhsa_kernarg_size 56
		.amdhsa_user_sgpr_count 2
		.amdhsa_user_sgpr_dispatch_ptr 0
		.amdhsa_user_sgpr_queue_ptr 0
		.amdhsa_user_sgpr_kernarg_segment_ptr 1
		.amdhsa_user_sgpr_dispatch_id 0
		.amdhsa_user_sgpr_kernarg_preload_length 0
		.amdhsa_user_sgpr_kernarg_preload_offset 0
		.amdhsa_user_sgpr_private_segment_size 0
		.amdhsa_uses_dynamic_stack 0
		.amdhsa_enable_private_segment 0
		.amdhsa_system_sgpr_workgroup_id_x 1
		.amdhsa_system_sgpr_workgroup_id_y 0
		.amdhsa_system_sgpr_workgroup_id_z 0
		.amdhsa_system_sgpr_workgroup_info 0
		.amdhsa_system_vgpr_workitem_id 0
		.amdhsa_next_free_vgpr 1
		.amdhsa_next_free_sgpr 0
		.amdhsa_accum_offset 4
		.amdhsa_reserve_vcc 0
		.amdhsa_float_round_mode_32 0
		.amdhsa_float_round_mode_16_64 0
		.amdhsa_float_denorm_mode_32 3
		.amdhsa_float_denorm_mode_16_64 3
		.amdhsa_dx10_clamp 1
		.amdhsa_ieee_mode 1
		.amdhsa_fp16_overflow 0
		.amdhsa_tg_split 0
		.amdhsa_exception_fp_ieee_invalid_op 0
		.amdhsa_exception_fp_denorm_src 0
		.amdhsa_exception_fp_ieee_div_zero 0
		.amdhsa_exception_fp_ieee_overflow 0
		.amdhsa_exception_fp_ieee_underflow 0
		.amdhsa_exception_fp_ieee_inexact 0
		.amdhsa_exception_int_div_zero 0
	.end_amdhsa_kernel
	.section	.text._ZN7rocprim17ROCPRIM_400000_NS6detail17trampoline_kernelINS0_14default_configENS1_25transform_config_selectorItLb0EEEZNS1_14transform_implILb0ES3_S5_NS0_18transform_iteratorINS0_17counting_iteratorImlEEZNS1_24adjacent_difference_implIS3_Lb1ELb0EPKtPtN6thrust23THRUST_200600_302600_NS4plusItEEEE10hipError_tPvRmT2_T3_mT4_P12ihipStream_tbEUlmE_tEESD_NS0_8identityIvEEEESI_SL_SM_mSN_SP_bEUlT_E_NS1_11comp_targetILNS1_3genE0ELNS1_11target_archE4294967295ELNS1_3gpuE0ELNS1_3repE0EEENS1_30default_config_static_selectorELNS0_4arch9wavefront6targetE1EEEvT1_,"axG",@progbits,_ZN7rocprim17ROCPRIM_400000_NS6detail17trampoline_kernelINS0_14default_configENS1_25transform_config_selectorItLb0EEEZNS1_14transform_implILb0ES3_S5_NS0_18transform_iteratorINS0_17counting_iteratorImlEEZNS1_24adjacent_difference_implIS3_Lb1ELb0EPKtPtN6thrust23THRUST_200600_302600_NS4plusItEEEE10hipError_tPvRmT2_T3_mT4_P12ihipStream_tbEUlmE_tEESD_NS0_8identityIvEEEESI_SL_SM_mSN_SP_bEUlT_E_NS1_11comp_targetILNS1_3genE0ELNS1_11target_archE4294967295ELNS1_3gpuE0ELNS1_3repE0EEENS1_30default_config_static_selectorELNS0_4arch9wavefront6targetE1EEEvT1_,comdat
.Lfunc_end549:
	.size	_ZN7rocprim17ROCPRIM_400000_NS6detail17trampoline_kernelINS0_14default_configENS1_25transform_config_selectorItLb0EEEZNS1_14transform_implILb0ES3_S5_NS0_18transform_iteratorINS0_17counting_iteratorImlEEZNS1_24adjacent_difference_implIS3_Lb1ELb0EPKtPtN6thrust23THRUST_200600_302600_NS4plusItEEEE10hipError_tPvRmT2_T3_mT4_P12ihipStream_tbEUlmE_tEESD_NS0_8identityIvEEEESI_SL_SM_mSN_SP_bEUlT_E_NS1_11comp_targetILNS1_3genE0ELNS1_11target_archE4294967295ELNS1_3gpuE0ELNS1_3repE0EEENS1_30default_config_static_selectorELNS0_4arch9wavefront6targetE1EEEvT1_, .Lfunc_end549-_ZN7rocprim17ROCPRIM_400000_NS6detail17trampoline_kernelINS0_14default_configENS1_25transform_config_selectorItLb0EEEZNS1_14transform_implILb0ES3_S5_NS0_18transform_iteratorINS0_17counting_iteratorImlEEZNS1_24adjacent_difference_implIS3_Lb1ELb0EPKtPtN6thrust23THRUST_200600_302600_NS4plusItEEEE10hipError_tPvRmT2_T3_mT4_P12ihipStream_tbEUlmE_tEESD_NS0_8identityIvEEEESI_SL_SM_mSN_SP_bEUlT_E_NS1_11comp_targetILNS1_3genE0ELNS1_11target_archE4294967295ELNS1_3gpuE0ELNS1_3repE0EEENS1_30default_config_static_selectorELNS0_4arch9wavefront6targetE1EEEvT1_
                                        ; -- End function
	.section	.AMDGPU.csdata,"",@progbits
; Kernel info:
; codeLenInByte = 0
; NumSgprs: 6
; NumVgprs: 0
; NumAgprs: 0
; TotalNumVgprs: 0
; ScratchSize: 0
; MemoryBound: 0
; FloatMode: 240
; IeeeMode: 1
; LDSByteSize: 0 bytes/workgroup (compile time only)
; SGPRBlocks: 0
; VGPRBlocks: 0
; NumSGPRsForWavesPerEU: 6
; NumVGPRsForWavesPerEU: 1
; AccumOffset: 4
; Occupancy: 8
; WaveLimiterHint : 0
; COMPUTE_PGM_RSRC2:SCRATCH_EN: 0
; COMPUTE_PGM_RSRC2:USER_SGPR: 2
; COMPUTE_PGM_RSRC2:TRAP_HANDLER: 0
; COMPUTE_PGM_RSRC2:TGID_X_EN: 1
; COMPUTE_PGM_RSRC2:TGID_Y_EN: 0
; COMPUTE_PGM_RSRC2:TGID_Z_EN: 0
; COMPUTE_PGM_RSRC2:TIDIG_COMP_CNT: 0
; COMPUTE_PGM_RSRC3_GFX90A:ACCUM_OFFSET: 0
; COMPUTE_PGM_RSRC3_GFX90A:TG_SPLIT: 0
	.section	.text._ZN7rocprim17ROCPRIM_400000_NS6detail17trampoline_kernelINS0_14default_configENS1_25transform_config_selectorItLb0EEEZNS1_14transform_implILb0ES3_S5_NS0_18transform_iteratorINS0_17counting_iteratorImlEEZNS1_24adjacent_difference_implIS3_Lb1ELb0EPKtPtN6thrust23THRUST_200600_302600_NS4plusItEEEE10hipError_tPvRmT2_T3_mT4_P12ihipStream_tbEUlmE_tEESD_NS0_8identityIvEEEESI_SL_SM_mSN_SP_bEUlT_E_NS1_11comp_targetILNS1_3genE5ELNS1_11target_archE942ELNS1_3gpuE9ELNS1_3repE0EEENS1_30default_config_static_selectorELNS0_4arch9wavefront6targetE1EEEvT1_,"axG",@progbits,_ZN7rocprim17ROCPRIM_400000_NS6detail17trampoline_kernelINS0_14default_configENS1_25transform_config_selectorItLb0EEEZNS1_14transform_implILb0ES3_S5_NS0_18transform_iteratorINS0_17counting_iteratorImlEEZNS1_24adjacent_difference_implIS3_Lb1ELb0EPKtPtN6thrust23THRUST_200600_302600_NS4plusItEEEE10hipError_tPvRmT2_T3_mT4_P12ihipStream_tbEUlmE_tEESD_NS0_8identityIvEEEESI_SL_SM_mSN_SP_bEUlT_E_NS1_11comp_targetILNS1_3genE5ELNS1_11target_archE942ELNS1_3gpuE9ELNS1_3repE0EEENS1_30default_config_static_selectorELNS0_4arch9wavefront6targetE1EEEvT1_,comdat
	.protected	_ZN7rocprim17ROCPRIM_400000_NS6detail17trampoline_kernelINS0_14default_configENS1_25transform_config_selectorItLb0EEEZNS1_14transform_implILb0ES3_S5_NS0_18transform_iteratorINS0_17counting_iteratorImlEEZNS1_24adjacent_difference_implIS3_Lb1ELb0EPKtPtN6thrust23THRUST_200600_302600_NS4plusItEEEE10hipError_tPvRmT2_T3_mT4_P12ihipStream_tbEUlmE_tEESD_NS0_8identityIvEEEESI_SL_SM_mSN_SP_bEUlT_E_NS1_11comp_targetILNS1_3genE5ELNS1_11target_archE942ELNS1_3gpuE9ELNS1_3repE0EEENS1_30default_config_static_selectorELNS0_4arch9wavefront6targetE1EEEvT1_ ; -- Begin function _ZN7rocprim17ROCPRIM_400000_NS6detail17trampoline_kernelINS0_14default_configENS1_25transform_config_selectorItLb0EEEZNS1_14transform_implILb0ES3_S5_NS0_18transform_iteratorINS0_17counting_iteratorImlEEZNS1_24adjacent_difference_implIS3_Lb1ELb0EPKtPtN6thrust23THRUST_200600_302600_NS4plusItEEEE10hipError_tPvRmT2_T3_mT4_P12ihipStream_tbEUlmE_tEESD_NS0_8identityIvEEEESI_SL_SM_mSN_SP_bEUlT_E_NS1_11comp_targetILNS1_3genE5ELNS1_11target_archE942ELNS1_3gpuE9ELNS1_3repE0EEENS1_30default_config_static_selectorELNS0_4arch9wavefront6targetE1EEEvT1_
	.globl	_ZN7rocprim17ROCPRIM_400000_NS6detail17trampoline_kernelINS0_14default_configENS1_25transform_config_selectorItLb0EEEZNS1_14transform_implILb0ES3_S5_NS0_18transform_iteratorINS0_17counting_iteratorImlEEZNS1_24adjacent_difference_implIS3_Lb1ELb0EPKtPtN6thrust23THRUST_200600_302600_NS4plusItEEEE10hipError_tPvRmT2_T3_mT4_P12ihipStream_tbEUlmE_tEESD_NS0_8identityIvEEEESI_SL_SM_mSN_SP_bEUlT_E_NS1_11comp_targetILNS1_3genE5ELNS1_11target_archE942ELNS1_3gpuE9ELNS1_3repE0EEENS1_30default_config_static_selectorELNS0_4arch9wavefront6targetE1EEEvT1_
	.p2align	8
	.type	_ZN7rocprim17ROCPRIM_400000_NS6detail17trampoline_kernelINS0_14default_configENS1_25transform_config_selectorItLb0EEEZNS1_14transform_implILb0ES3_S5_NS0_18transform_iteratorINS0_17counting_iteratorImlEEZNS1_24adjacent_difference_implIS3_Lb1ELb0EPKtPtN6thrust23THRUST_200600_302600_NS4plusItEEEE10hipError_tPvRmT2_T3_mT4_P12ihipStream_tbEUlmE_tEESD_NS0_8identityIvEEEESI_SL_SM_mSN_SP_bEUlT_E_NS1_11comp_targetILNS1_3genE5ELNS1_11target_archE942ELNS1_3gpuE9ELNS1_3repE0EEENS1_30default_config_static_selectorELNS0_4arch9wavefront6targetE1EEEvT1_,@function
_ZN7rocprim17ROCPRIM_400000_NS6detail17trampoline_kernelINS0_14default_configENS1_25transform_config_selectorItLb0EEEZNS1_14transform_implILb0ES3_S5_NS0_18transform_iteratorINS0_17counting_iteratorImlEEZNS1_24adjacent_difference_implIS3_Lb1ELb0EPKtPtN6thrust23THRUST_200600_302600_NS4plusItEEEE10hipError_tPvRmT2_T3_mT4_P12ihipStream_tbEUlmE_tEESD_NS0_8identityIvEEEESI_SL_SM_mSN_SP_bEUlT_E_NS1_11comp_targetILNS1_3genE5ELNS1_11target_archE942ELNS1_3gpuE9ELNS1_3repE0EEENS1_30default_config_static_selectorELNS0_4arch9wavefront6targetE1EEEvT1_: ; @_ZN7rocprim17ROCPRIM_400000_NS6detail17trampoline_kernelINS0_14default_configENS1_25transform_config_selectorItLb0EEEZNS1_14transform_implILb0ES3_S5_NS0_18transform_iteratorINS0_17counting_iteratorImlEEZNS1_24adjacent_difference_implIS3_Lb1ELb0EPKtPtN6thrust23THRUST_200600_302600_NS4plusItEEEE10hipError_tPvRmT2_T3_mT4_P12ihipStream_tbEUlmE_tEESD_NS0_8identityIvEEEESI_SL_SM_mSN_SP_bEUlT_E_NS1_11comp_targetILNS1_3genE5ELNS1_11target_archE942ELNS1_3gpuE9ELNS1_3repE0EEENS1_30default_config_static_selectorELNS0_4arch9wavefront6targetE1EEEvT1_
; %bb.0:
	s_load_dwordx4 s[4:7], s[0:1], 0x18
	s_load_dwordx2 s[8:9], s[0:1], 0x28
	s_load_dwordx4 s[12:15], s[0:1], 0x0
	s_load_dword s20, s[0:1], 0x10
	s_load_dword s3, s[0:1], 0x38
	s_waitcnt lgkmcnt(0)
	s_lshl_b64 s[0:1], s[4:5], 1
	s_add_u32 s26, s8, s0
	s_addc_u32 s27, s9, s1
	s_lshl_b32 s18, s2, 11
	s_add_i32 s3, s3, -1
	s_add_u32 s0, s12, s18
	s_addc_u32 s1, s13, 0
	s_add_u32 s22, s0, s4
	s_addc_u32 s23, s1, s5
	s_mov_b32 s19, 0
	s_cmp_lg_u32 s2, s3
	v_lshlrev_b32_e32 v6, 1, v0
	s_cbranch_scc0 .LBB550_2
; %bb.1:
	v_mov_b32_e32 v1, 0
	v_lshl_add_u64 v[2:3], s[22:23], 0, v[0:1]
	v_mad_u64_u32 v[4:5], s[0:1], v2, s20, 0
	v_mov_b32_e32 v2, v5
	v_mad_u64_u32 v[2:3], s[0:1], v3, s20, v[2:3]
	s_mov_b32 s21, s19
	v_mov_b32_e32 v5, v2
	v_lshl_add_u64 v[2:3], v[4:5], 1, s[14:15]
	s_lshl_b64 s[0:1], s[20:21], 9
	v_lshl_add_u64 v[4:5], v[2:3], 0, s[0:1]
	v_lshl_add_u64 v[8:9], v[4:5], 0, s[0:1]
	;; [unrolled: 1-line block ×4, first 2 shown]
	global_load_ushort v14, v[2:3], off
	global_load_ushort v15, v[4:5], off
	;; [unrolled: 1-line block ×5, first 2 shown]
	v_lshl_add_u64 v[2:3], v[12:13], 0, s[0:1]
	global_load_ushort v4, v[2:3], off
	v_lshl_add_u64 v[2:3], v[2:3], 0, s[0:1]
	global_load_ushort v5, v[2:3], off
	;; [unrolled: 2-line block ×3, first 2 shown]
	s_lshl_b64 s[2:3], s[18:19], 1
	s_add_u32 s2, s26, s2
	v_mov_b32_e32 v7, v1
	s_addc_u32 s3, s27, s3
	v_lshl_add_u64 v[8:9], s[2:3], 0, v[6:7]
	s_mov_b64 s[16:17], -1
	s_waitcnt vmcnt(7)
	global_store_short v6, v14, s[2:3]
	s_waitcnt vmcnt(7)
	global_store_short v6, v15, s[2:3] offset:512
	s_waitcnt vmcnt(7)
	global_store_short v6, v16, s[2:3] offset:1024
	;; [unrolled: 2-line block ×6, first 2 shown]
	s_cbranch_execz .LBB550_3
	s_branch .LBB550_32
.LBB550_2:
	s_mov_b64 s[16:17], 0
                                        ; implicit-def: $vgpr2
                                        ; implicit-def: $vgpr8_vgpr9
.LBB550_3:
	s_sub_i32 s21, s6, s18
	v_cmp_gt_u32_e32 vcc, s21, v0
                                        ; implicit-def: $vgpr2_vgpr3_vgpr4_vgpr5
	s_and_saveexec_b64 s[0:1], vcc
	s_cbranch_execz .LBB550_5
; %bb.4:
	v_mov_b32_e32 v1, 0
	s_waitcnt vmcnt(7)
	v_lshl_add_u64 v[2:3], s[22:23], 0, v[0:1]
	v_mad_u64_u32 v[4:5], s[2:3], v2, s20, 0
	v_mov_b32_e32 v2, v5
	v_mad_u64_u32 v[2:3], s[2:3], v3, s20, v[2:3]
	v_mov_b32_e32 v5, v2
	v_lshl_add_u64 v[2:3], v[4:5], 1, s[14:15]
	global_load_ushort v2, v[2:3], off
.LBB550_5:
	s_or_b64 exec, exec, s[0:1]
	v_or_b32_e32 v8, 0x100, v0
	v_cmp_gt_u32_e64 s[0:1], s21, v8
	s_and_saveexec_b64 s[2:3], s[0:1]
	s_cbranch_execz .LBB550_7
; %bb.6:
	v_mov_b32_e32 v9, 0
	v_lshl_add_u64 v[8:9], s[22:23], 0, v[8:9]
	v_mad_u64_u32 v[10:11], s[4:5], v8, s20, 0
	v_mov_b32_e32 v8, v11
	v_mad_u64_u32 v[8:9], s[4:5], v9, s20, v[8:9]
	v_mov_b32_e32 v11, v8
	v_lshl_add_u64 v[8:9], v[10:11], 1, s[14:15]
	global_load_ushort v1, v[8:9], off
	s_mov_b32 s4, 0x5040100
	s_waitcnt vmcnt(0)
	v_perm_b32 v2, v1, v2, s4
.LBB550_7:
	s_or_b64 exec, exec, s[2:3]
	v_or_b32_e32 v8, 0x200, v0
	v_cmp_gt_u32_e64 s[2:3], s21, v8
	s_and_saveexec_b64 s[4:5], s[2:3]
	s_cbranch_execz .LBB550_9
; %bb.8:
	v_mov_b32_e32 v9, 0
	v_lshl_add_u64 v[8:9], s[22:23], 0, v[8:9]
	v_mad_u64_u32 v[10:11], s[6:7], v8, s20, 0
	v_mov_b32_e32 v8, v11
	v_mad_u64_u32 v[8:9], s[6:7], v9, s20, v[8:9]
	v_mov_b32_e32 v11, v8
	v_lshl_add_u64 v[8:9], v[10:11], 1, s[14:15]
	global_load_ushort v1, v[8:9], off
	s_mov_b32 s6, 0xffff
	s_waitcnt vmcnt(0)
	v_bfi_b32 v3, s6, v1, v3
.LBB550_9:
	s_or_b64 exec, exec, s[4:5]
	v_or_b32_e32 v8, 0x300, v0
	v_cmp_gt_u32_e64 s[4:5], s21, v8
	s_and_saveexec_b64 s[6:7], s[4:5]
	s_cbranch_execz .LBB550_11
; %bb.10:
	v_mov_b32_e32 v9, 0
	v_lshl_add_u64 v[8:9], s[22:23], 0, v[8:9]
	v_mad_u64_u32 v[10:11], s[8:9], v8, s20, 0
	v_mov_b32_e32 v8, v11
	v_mad_u64_u32 v[8:9], s[8:9], v9, s20, v[8:9]
	v_mov_b32_e32 v11, v8
	v_lshl_add_u64 v[8:9], v[10:11], 1, s[14:15]
	global_load_ushort v1, v[8:9], off
	s_mov_b32 s8, 0x5040100
	s_waitcnt vmcnt(0)
	v_perm_b32 v3, v1, v3, s8
.LBB550_11:
	s_or_b64 exec, exec, s[6:7]
	v_or_b32_e32 v8, 0x400, v0
	v_cmp_gt_u32_e64 s[6:7], s21, v8
	s_and_saveexec_b64 s[8:9], s[6:7]
	s_cbranch_execz .LBB550_13
; %bb.12:
	v_mov_b32_e32 v9, 0
	v_lshl_add_u64 v[8:9], s[22:23], 0, v[8:9]
	v_mad_u64_u32 v[10:11], s[10:11], v8, s20, 0
	v_mov_b32_e32 v8, v11
	v_mad_u64_u32 v[8:9], s[10:11], v9, s20, v[8:9]
	v_mov_b32_e32 v11, v8
	v_lshl_add_u64 v[8:9], v[10:11], 1, s[14:15]
	global_load_ushort v1, v[8:9], off
	s_mov_b32 s10, 0xffff
	s_waitcnt vmcnt(0)
	v_bfi_b32 v4, s10, v1, v4
.LBB550_13:
	;; [unrolled: 36-line block ×3, first 2 shown]
	s_or_b64 exec, exec, s[12:13]
	v_or_b32_e32 v0, 0x700, v0
	v_cmp_gt_u32_e64 s[12:13], s21, v0
	s_and_saveexec_b64 s[24:25], s[12:13]
	s_cbranch_execz .LBB550_19
; %bb.18:
	v_mov_b32_e32 v1, 0
	v_lshl_add_u64 v[0:1], s[22:23], 0, v[0:1]
	v_mad_u64_u32 v[8:9], s[22:23], v0, s20, 0
	v_mov_b32_e32 v0, v9
	v_mad_u64_u32 v[0:1], s[20:21], v1, s20, v[0:1]
	v_mov_b32_e32 v9, v0
	v_lshl_add_u64 v[0:1], v[8:9], 1, s[14:15]
	global_load_ushort v0, v[0:1], off
	s_mov_b32 s14, 0x5040100
	s_waitcnt vmcnt(0)
	v_perm_b32 v5, v0, v5, s14
.LBB550_19:
	s_or_b64 exec, exec, s[24:25]
	s_lshl_b64 s[14:15], s[18:19], 1
	s_add_u32 s14, s26, s14
	s_addc_u32 s15, s27, s15
	v_mov_b32_e32 v7, 0
	v_lshl_add_u64 v[8:9], s[14:15], 0, v[6:7]
	s_and_saveexec_b64 s[14:15], vcc
	s_cbranch_execnz .LBB550_35
; %bb.20:
	s_or_b64 exec, exec, s[14:15]
	s_and_saveexec_b64 s[14:15], s[0:1]
	s_cbranch_execnz .LBB550_36
.LBB550_21:
	s_or_b64 exec, exec, s[14:15]
	s_mov_b32 s14, 0xffff
	s_and_saveexec_b64 s[0:1], s[2:3]
	s_cbranch_execz .LBB550_23
.LBB550_22:
	global_store_short v[8:9], v3, off offset:1024
.LBB550_23:
	s_or_b64 exec, exec, s[0:1]
	v_bfi_b32 v0, s14, v3, v3
	v_cndmask_b32_e64 v0, v0, v3, s[4:5]
	s_and_saveexec_b64 s[0:1], s[4:5]
	s_cbranch_execz .LBB550_25
; %bb.24:
	global_store_short_d16_hi v[8:9], v0, off offset:1536
.LBB550_25:
	s_or_b64 exec, exec, s[0:1]
	s_mov_b32 s2, 0xffff
	v_cndmask_b32_e64 v0, v4, v4, s[6:7]
	s_and_saveexec_b64 s[0:1], s[6:7]
	s_cbranch_execz .LBB550_27
; %bb.26:
	global_store_short v[8:9], v0, off offset:2048
.LBB550_27:
	s_or_b64 exec, exec, s[0:1]
	v_bfi_b32 v0, s2, v0, v4
	v_cndmask_b32_e64 v0, v0, v4, s[8:9]
	s_and_saveexec_b64 s[0:1], s[8:9]
	s_cbranch_execnz .LBB550_37
; %bb.28:
	s_or_b64 exec, exec, s[0:1]
	s_and_saveexec_b64 s[0:1], s[10:11]
	s_cbranch_execnz .LBB550_38
.LBB550_29:
	s_or_b64 exec, exec, s[0:1]
                                        ; implicit-def: $vgpr2
	s_and_saveexec_b64 s[0:1], s[12:13]
	s_cbranch_execz .LBB550_31
.LBB550_30:
	v_cndmask_b32_e64 v0, v5, v5, s[12:13]
	s_waitcnt vmcnt(0)
	v_lshrrev_b32_e32 v2, 16, v0
	s_or_b64 s[16:17], s[16:17], exec
.LBB550_31:
	s_or_b64 exec, exec, s[0:1]
.LBB550_32:
	s_and_saveexec_b64 s[0:1], s[16:17]
	s_cbranch_execnz .LBB550_34
; %bb.33:
	s_endpgm
.LBB550_34:
	s_waitcnt vmcnt(0)
	global_store_short v[8:9], v2, off offset:3584
	s_endpgm
.LBB550_35:
	s_waitcnt vmcnt(0)
	global_store_short v[8:9], v2, off
	s_or_b64 exec, exec, s[14:15]
	s_and_saveexec_b64 s[14:15], s[0:1]
	s_cbranch_execz .LBB550_21
.LBB550_36:
	s_waitcnt vmcnt(0)
	global_store_short_d16_hi v[8:9], v2, off offset:512
	s_or_b64 exec, exec, s[14:15]
	s_mov_b32 s14, 0xffff
	s_and_saveexec_b64 s[0:1], s[2:3]
	s_cbranch_execnz .LBB550_22
	s_branch .LBB550_23
.LBB550_37:
	global_store_short_d16_hi v[8:9], v0, off offset:2560
	s_or_b64 exec, exec, s[0:1]
	s_and_saveexec_b64 s[0:1], s[10:11]
	s_cbranch_execz .LBB550_29
.LBB550_38:
	v_cndmask_b32_e64 v0, v5, v5, s[10:11]
	global_store_short v[8:9], v0, off offset:3072
	s_or_b64 exec, exec, s[0:1]
                                        ; implicit-def: $vgpr2
	s_and_saveexec_b64 s[0:1], s[12:13]
	s_cbranch_execnz .LBB550_30
	s_branch .LBB550_31
	.section	.rodata,"a",@progbits
	.p2align	6, 0x0
	.amdhsa_kernel _ZN7rocprim17ROCPRIM_400000_NS6detail17trampoline_kernelINS0_14default_configENS1_25transform_config_selectorItLb0EEEZNS1_14transform_implILb0ES3_S5_NS0_18transform_iteratorINS0_17counting_iteratorImlEEZNS1_24adjacent_difference_implIS3_Lb1ELb0EPKtPtN6thrust23THRUST_200600_302600_NS4plusItEEEE10hipError_tPvRmT2_T3_mT4_P12ihipStream_tbEUlmE_tEESD_NS0_8identityIvEEEESI_SL_SM_mSN_SP_bEUlT_E_NS1_11comp_targetILNS1_3genE5ELNS1_11target_archE942ELNS1_3gpuE9ELNS1_3repE0EEENS1_30default_config_static_selectorELNS0_4arch9wavefront6targetE1EEEvT1_
		.amdhsa_group_segment_fixed_size 0
		.amdhsa_private_segment_fixed_size 0
		.amdhsa_kernarg_size 312
		.amdhsa_user_sgpr_count 2
		.amdhsa_user_sgpr_dispatch_ptr 0
		.amdhsa_user_sgpr_queue_ptr 0
		.amdhsa_user_sgpr_kernarg_segment_ptr 1
		.amdhsa_user_sgpr_dispatch_id 0
		.amdhsa_user_sgpr_kernarg_preload_length 0
		.amdhsa_user_sgpr_kernarg_preload_offset 0
		.amdhsa_user_sgpr_private_segment_size 0
		.amdhsa_uses_dynamic_stack 0
		.amdhsa_enable_private_segment 0
		.amdhsa_system_sgpr_workgroup_id_x 1
		.amdhsa_system_sgpr_workgroup_id_y 0
		.amdhsa_system_sgpr_workgroup_id_z 0
		.amdhsa_system_sgpr_workgroup_info 0
		.amdhsa_system_vgpr_workitem_id 0
		.amdhsa_next_free_vgpr 19
		.amdhsa_next_free_sgpr 28
		.amdhsa_accum_offset 20
		.amdhsa_reserve_vcc 1
		.amdhsa_float_round_mode_32 0
		.amdhsa_float_round_mode_16_64 0
		.amdhsa_float_denorm_mode_32 3
		.amdhsa_float_denorm_mode_16_64 3
		.amdhsa_dx10_clamp 1
		.amdhsa_ieee_mode 1
		.amdhsa_fp16_overflow 0
		.amdhsa_tg_split 0
		.amdhsa_exception_fp_ieee_invalid_op 0
		.amdhsa_exception_fp_denorm_src 0
		.amdhsa_exception_fp_ieee_div_zero 0
		.amdhsa_exception_fp_ieee_overflow 0
		.amdhsa_exception_fp_ieee_underflow 0
		.amdhsa_exception_fp_ieee_inexact 0
		.amdhsa_exception_int_div_zero 0
	.end_amdhsa_kernel
	.section	.text._ZN7rocprim17ROCPRIM_400000_NS6detail17trampoline_kernelINS0_14default_configENS1_25transform_config_selectorItLb0EEEZNS1_14transform_implILb0ES3_S5_NS0_18transform_iteratorINS0_17counting_iteratorImlEEZNS1_24adjacent_difference_implIS3_Lb1ELb0EPKtPtN6thrust23THRUST_200600_302600_NS4plusItEEEE10hipError_tPvRmT2_T3_mT4_P12ihipStream_tbEUlmE_tEESD_NS0_8identityIvEEEESI_SL_SM_mSN_SP_bEUlT_E_NS1_11comp_targetILNS1_3genE5ELNS1_11target_archE942ELNS1_3gpuE9ELNS1_3repE0EEENS1_30default_config_static_selectorELNS0_4arch9wavefront6targetE1EEEvT1_,"axG",@progbits,_ZN7rocprim17ROCPRIM_400000_NS6detail17trampoline_kernelINS0_14default_configENS1_25transform_config_selectorItLb0EEEZNS1_14transform_implILb0ES3_S5_NS0_18transform_iteratorINS0_17counting_iteratorImlEEZNS1_24adjacent_difference_implIS3_Lb1ELb0EPKtPtN6thrust23THRUST_200600_302600_NS4plusItEEEE10hipError_tPvRmT2_T3_mT4_P12ihipStream_tbEUlmE_tEESD_NS0_8identityIvEEEESI_SL_SM_mSN_SP_bEUlT_E_NS1_11comp_targetILNS1_3genE5ELNS1_11target_archE942ELNS1_3gpuE9ELNS1_3repE0EEENS1_30default_config_static_selectorELNS0_4arch9wavefront6targetE1EEEvT1_,comdat
.Lfunc_end550:
	.size	_ZN7rocprim17ROCPRIM_400000_NS6detail17trampoline_kernelINS0_14default_configENS1_25transform_config_selectorItLb0EEEZNS1_14transform_implILb0ES3_S5_NS0_18transform_iteratorINS0_17counting_iteratorImlEEZNS1_24adjacent_difference_implIS3_Lb1ELb0EPKtPtN6thrust23THRUST_200600_302600_NS4plusItEEEE10hipError_tPvRmT2_T3_mT4_P12ihipStream_tbEUlmE_tEESD_NS0_8identityIvEEEESI_SL_SM_mSN_SP_bEUlT_E_NS1_11comp_targetILNS1_3genE5ELNS1_11target_archE942ELNS1_3gpuE9ELNS1_3repE0EEENS1_30default_config_static_selectorELNS0_4arch9wavefront6targetE1EEEvT1_, .Lfunc_end550-_ZN7rocprim17ROCPRIM_400000_NS6detail17trampoline_kernelINS0_14default_configENS1_25transform_config_selectorItLb0EEEZNS1_14transform_implILb0ES3_S5_NS0_18transform_iteratorINS0_17counting_iteratorImlEEZNS1_24adjacent_difference_implIS3_Lb1ELb0EPKtPtN6thrust23THRUST_200600_302600_NS4plusItEEEE10hipError_tPvRmT2_T3_mT4_P12ihipStream_tbEUlmE_tEESD_NS0_8identityIvEEEESI_SL_SM_mSN_SP_bEUlT_E_NS1_11comp_targetILNS1_3genE5ELNS1_11target_archE942ELNS1_3gpuE9ELNS1_3repE0EEENS1_30default_config_static_selectorELNS0_4arch9wavefront6targetE1EEEvT1_
                                        ; -- End function
	.section	.AMDGPU.csdata,"",@progbits
; Kernel info:
; codeLenInByte = 1528
; NumSgprs: 34
; NumVgprs: 19
; NumAgprs: 0
; TotalNumVgprs: 19
; ScratchSize: 0
; MemoryBound: 0
; FloatMode: 240
; IeeeMode: 1
; LDSByteSize: 0 bytes/workgroup (compile time only)
; SGPRBlocks: 4
; VGPRBlocks: 2
; NumSGPRsForWavesPerEU: 34
; NumVGPRsForWavesPerEU: 19
; AccumOffset: 20
; Occupancy: 8
; WaveLimiterHint : 1
; COMPUTE_PGM_RSRC2:SCRATCH_EN: 0
; COMPUTE_PGM_RSRC2:USER_SGPR: 2
; COMPUTE_PGM_RSRC2:TRAP_HANDLER: 0
; COMPUTE_PGM_RSRC2:TGID_X_EN: 1
; COMPUTE_PGM_RSRC2:TGID_Y_EN: 0
; COMPUTE_PGM_RSRC2:TGID_Z_EN: 0
; COMPUTE_PGM_RSRC2:TIDIG_COMP_CNT: 0
; COMPUTE_PGM_RSRC3_GFX90A:ACCUM_OFFSET: 4
; COMPUTE_PGM_RSRC3_GFX90A:TG_SPLIT: 0
	.section	.text._ZN7rocprim17ROCPRIM_400000_NS6detail17trampoline_kernelINS0_14default_configENS1_25transform_config_selectorItLb0EEEZNS1_14transform_implILb0ES3_S5_NS0_18transform_iteratorINS0_17counting_iteratorImlEEZNS1_24adjacent_difference_implIS3_Lb1ELb0EPKtPtN6thrust23THRUST_200600_302600_NS4plusItEEEE10hipError_tPvRmT2_T3_mT4_P12ihipStream_tbEUlmE_tEESD_NS0_8identityIvEEEESI_SL_SM_mSN_SP_bEUlT_E_NS1_11comp_targetILNS1_3genE4ELNS1_11target_archE910ELNS1_3gpuE8ELNS1_3repE0EEENS1_30default_config_static_selectorELNS0_4arch9wavefront6targetE1EEEvT1_,"axG",@progbits,_ZN7rocprim17ROCPRIM_400000_NS6detail17trampoline_kernelINS0_14default_configENS1_25transform_config_selectorItLb0EEEZNS1_14transform_implILb0ES3_S5_NS0_18transform_iteratorINS0_17counting_iteratorImlEEZNS1_24adjacent_difference_implIS3_Lb1ELb0EPKtPtN6thrust23THRUST_200600_302600_NS4plusItEEEE10hipError_tPvRmT2_T3_mT4_P12ihipStream_tbEUlmE_tEESD_NS0_8identityIvEEEESI_SL_SM_mSN_SP_bEUlT_E_NS1_11comp_targetILNS1_3genE4ELNS1_11target_archE910ELNS1_3gpuE8ELNS1_3repE0EEENS1_30default_config_static_selectorELNS0_4arch9wavefront6targetE1EEEvT1_,comdat
	.protected	_ZN7rocprim17ROCPRIM_400000_NS6detail17trampoline_kernelINS0_14default_configENS1_25transform_config_selectorItLb0EEEZNS1_14transform_implILb0ES3_S5_NS0_18transform_iteratorINS0_17counting_iteratorImlEEZNS1_24adjacent_difference_implIS3_Lb1ELb0EPKtPtN6thrust23THRUST_200600_302600_NS4plusItEEEE10hipError_tPvRmT2_T3_mT4_P12ihipStream_tbEUlmE_tEESD_NS0_8identityIvEEEESI_SL_SM_mSN_SP_bEUlT_E_NS1_11comp_targetILNS1_3genE4ELNS1_11target_archE910ELNS1_3gpuE8ELNS1_3repE0EEENS1_30default_config_static_selectorELNS0_4arch9wavefront6targetE1EEEvT1_ ; -- Begin function _ZN7rocprim17ROCPRIM_400000_NS6detail17trampoline_kernelINS0_14default_configENS1_25transform_config_selectorItLb0EEEZNS1_14transform_implILb0ES3_S5_NS0_18transform_iteratorINS0_17counting_iteratorImlEEZNS1_24adjacent_difference_implIS3_Lb1ELb0EPKtPtN6thrust23THRUST_200600_302600_NS4plusItEEEE10hipError_tPvRmT2_T3_mT4_P12ihipStream_tbEUlmE_tEESD_NS0_8identityIvEEEESI_SL_SM_mSN_SP_bEUlT_E_NS1_11comp_targetILNS1_3genE4ELNS1_11target_archE910ELNS1_3gpuE8ELNS1_3repE0EEENS1_30default_config_static_selectorELNS0_4arch9wavefront6targetE1EEEvT1_
	.globl	_ZN7rocprim17ROCPRIM_400000_NS6detail17trampoline_kernelINS0_14default_configENS1_25transform_config_selectorItLb0EEEZNS1_14transform_implILb0ES3_S5_NS0_18transform_iteratorINS0_17counting_iteratorImlEEZNS1_24adjacent_difference_implIS3_Lb1ELb0EPKtPtN6thrust23THRUST_200600_302600_NS4plusItEEEE10hipError_tPvRmT2_T3_mT4_P12ihipStream_tbEUlmE_tEESD_NS0_8identityIvEEEESI_SL_SM_mSN_SP_bEUlT_E_NS1_11comp_targetILNS1_3genE4ELNS1_11target_archE910ELNS1_3gpuE8ELNS1_3repE0EEENS1_30default_config_static_selectorELNS0_4arch9wavefront6targetE1EEEvT1_
	.p2align	8
	.type	_ZN7rocprim17ROCPRIM_400000_NS6detail17trampoline_kernelINS0_14default_configENS1_25transform_config_selectorItLb0EEEZNS1_14transform_implILb0ES3_S5_NS0_18transform_iteratorINS0_17counting_iteratorImlEEZNS1_24adjacent_difference_implIS3_Lb1ELb0EPKtPtN6thrust23THRUST_200600_302600_NS4plusItEEEE10hipError_tPvRmT2_T3_mT4_P12ihipStream_tbEUlmE_tEESD_NS0_8identityIvEEEESI_SL_SM_mSN_SP_bEUlT_E_NS1_11comp_targetILNS1_3genE4ELNS1_11target_archE910ELNS1_3gpuE8ELNS1_3repE0EEENS1_30default_config_static_selectorELNS0_4arch9wavefront6targetE1EEEvT1_,@function
_ZN7rocprim17ROCPRIM_400000_NS6detail17trampoline_kernelINS0_14default_configENS1_25transform_config_selectorItLb0EEEZNS1_14transform_implILb0ES3_S5_NS0_18transform_iteratorINS0_17counting_iteratorImlEEZNS1_24adjacent_difference_implIS3_Lb1ELb0EPKtPtN6thrust23THRUST_200600_302600_NS4plusItEEEE10hipError_tPvRmT2_T3_mT4_P12ihipStream_tbEUlmE_tEESD_NS0_8identityIvEEEESI_SL_SM_mSN_SP_bEUlT_E_NS1_11comp_targetILNS1_3genE4ELNS1_11target_archE910ELNS1_3gpuE8ELNS1_3repE0EEENS1_30default_config_static_selectorELNS0_4arch9wavefront6targetE1EEEvT1_: ; @_ZN7rocprim17ROCPRIM_400000_NS6detail17trampoline_kernelINS0_14default_configENS1_25transform_config_selectorItLb0EEEZNS1_14transform_implILb0ES3_S5_NS0_18transform_iteratorINS0_17counting_iteratorImlEEZNS1_24adjacent_difference_implIS3_Lb1ELb0EPKtPtN6thrust23THRUST_200600_302600_NS4plusItEEEE10hipError_tPvRmT2_T3_mT4_P12ihipStream_tbEUlmE_tEESD_NS0_8identityIvEEEESI_SL_SM_mSN_SP_bEUlT_E_NS1_11comp_targetILNS1_3genE4ELNS1_11target_archE910ELNS1_3gpuE8ELNS1_3repE0EEENS1_30default_config_static_selectorELNS0_4arch9wavefront6targetE1EEEvT1_
; %bb.0:
	.section	.rodata,"a",@progbits
	.p2align	6, 0x0
	.amdhsa_kernel _ZN7rocprim17ROCPRIM_400000_NS6detail17trampoline_kernelINS0_14default_configENS1_25transform_config_selectorItLb0EEEZNS1_14transform_implILb0ES3_S5_NS0_18transform_iteratorINS0_17counting_iteratorImlEEZNS1_24adjacent_difference_implIS3_Lb1ELb0EPKtPtN6thrust23THRUST_200600_302600_NS4plusItEEEE10hipError_tPvRmT2_T3_mT4_P12ihipStream_tbEUlmE_tEESD_NS0_8identityIvEEEESI_SL_SM_mSN_SP_bEUlT_E_NS1_11comp_targetILNS1_3genE4ELNS1_11target_archE910ELNS1_3gpuE8ELNS1_3repE0EEENS1_30default_config_static_selectorELNS0_4arch9wavefront6targetE1EEEvT1_
		.amdhsa_group_segment_fixed_size 0
		.amdhsa_private_segment_fixed_size 0
		.amdhsa_kernarg_size 56
		.amdhsa_user_sgpr_count 2
		.amdhsa_user_sgpr_dispatch_ptr 0
		.amdhsa_user_sgpr_queue_ptr 0
		.amdhsa_user_sgpr_kernarg_segment_ptr 1
		.amdhsa_user_sgpr_dispatch_id 0
		.amdhsa_user_sgpr_kernarg_preload_length 0
		.amdhsa_user_sgpr_kernarg_preload_offset 0
		.amdhsa_user_sgpr_private_segment_size 0
		.amdhsa_uses_dynamic_stack 0
		.amdhsa_enable_private_segment 0
		.amdhsa_system_sgpr_workgroup_id_x 1
		.amdhsa_system_sgpr_workgroup_id_y 0
		.amdhsa_system_sgpr_workgroup_id_z 0
		.amdhsa_system_sgpr_workgroup_info 0
		.amdhsa_system_vgpr_workitem_id 0
		.amdhsa_next_free_vgpr 1
		.amdhsa_next_free_sgpr 0
		.amdhsa_accum_offset 4
		.amdhsa_reserve_vcc 0
		.amdhsa_float_round_mode_32 0
		.amdhsa_float_round_mode_16_64 0
		.amdhsa_float_denorm_mode_32 3
		.amdhsa_float_denorm_mode_16_64 3
		.amdhsa_dx10_clamp 1
		.amdhsa_ieee_mode 1
		.amdhsa_fp16_overflow 0
		.amdhsa_tg_split 0
		.amdhsa_exception_fp_ieee_invalid_op 0
		.amdhsa_exception_fp_denorm_src 0
		.amdhsa_exception_fp_ieee_div_zero 0
		.amdhsa_exception_fp_ieee_overflow 0
		.amdhsa_exception_fp_ieee_underflow 0
		.amdhsa_exception_fp_ieee_inexact 0
		.amdhsa_exception_int_div_zero 0
	.end_amdhsa_kernel
	.section	.text._ZN7rocprim17ROCPRIM_400000_NS6detail17trampoline_kernelINS0_14default_configENS1_25transform_config_selectorItLb0EEEZNS1_14transform_implILb0ES3_S5_NS0_18transform_iteratorINS0_17counting_iteratorImlEEZNS1_24adjacent_difference_implIS3_Lb1ELb0EPKtPtN6thrust23THRUST_200600_302600_NS4plusItEEEE10hipError_tPvRmT2_T3_mT4_P12ihipStream_tbEUlmE_tEESD_NS0_8identityIvEEEESI_SL_SM_mSN_SP_bEUlT_E_NS1_11comp_targetILNS1_3genE4ELNS1_11target_archE910ELNS1_3gpuE8ELNS1_3repE0EEENS1_30default_config_static_selectorELNS0_4arch9wavefront6targetE1EEEvT1_,"axG",@progbits,_ZN7rocprim17ROCPRIM_400000_NS6detail17trampoline_kernelINS0_14default_configENS1_25transform_config_selectorItLb0EEEZNS1_14transform_implILb0ES3_S5_NS0_18transform_iteratorINS0_17counting_iteratorImlEEZNS1_24adjacent_difference_implIS3_Lb1ELb0EPKtPtN6thrust23THRUST_200600_302600_NS4plusItEEEE10hipError_tPvRmT2_T3_mT4_P12ihipStream_tbEUlmE_tEESD_NS0_8identityIvEEEESI_SL_SM_mSN_SP_bEUlT_E_NS1_11comp_targetILNS1_3genE4ELNS1_11target_archE910ELNS1_3gpuE8ELNS1_3repE0EEENS1_30default_config_static_selectorELNS0_4arch9wavefront6targetE1EEEvT1_,comdat
.Lfunc_end551:
	.size	_ZN7rocprim17ROCPRIM_400000_NS6detail17trampoline_kernelINS0_14default_configENS1_25transform_config_selectorItLb0EEEZNS1_14transform_implILb0ES3_S5_NS0_18transform_iteratorINS0_17counting_iteratorImlEEZNS1_24adjacent_difference_implIS3_Lb1ELb0EPKtPtN6thrust23THRUST_200600_302600_NS4plusItEEEE10hipError_tPvRmT2_T3_mT4_P12ihipStream_tbEUlmE_tEESD_NS0_8identityIvEEEESI_SL_SM_mSN_SP_bEUlT_E_NS1_11comp_targetILNS1_3genE4ELNS1_11target_archE910ELNS1_3gpuE8ELNS1_3repE0EEENS1_30default_config_static_selectorELNS0_4arch9wavefront6targetE1EEEvT1_, .Lfunc_end551-_ZN7rocprim17ROCPRIM_400000_NS6detail17trampoline_kernelINS0_14default_configENS1_25transform_config_selectorItLb0EEEZNS1_14transform_implILb0ES3_S5_NS0_18transform_iteratorINS0_17counting_iteratorImlEEZNS1_24adjacent_difference_implIS3_Lb1ELb0EPKtPtN6thrust23THRUST_200600_302600_NS4plusItEEEE10hipError_tPvRmT2_T3_mT4_P12ihipStream_tbEUlmE_tEESD_NS0_8identityIvEEEESI_SL_SM_mSN_SP_bEUlT_E_NS1_11comp_targetILNS1_3genE4ELNS1_11target_archE910ELNS1_3gpuE8ELNS1_3repE0EEENS1_30default_config_static_selectorELNS0_4arch9wavefront6targetE1EEEvT1_
                                        ; -- End function
	.section	.AMDGPU.csdata,"",@progbits
; Kernel info:
; codeLenInByte = 0
; NumSgprs: 6
; NumVgprs: 0
; NumAgprs: 0
; TotalNumVgprs: 0
; ScratchSize: 0
; MemoryBound: 0
; FloatMode: 240
; IeeeMode: 1
; LDSByteSize: 0 bytes/workgroup (compile time only)
; SGPRBlocks: 0
; VGPRBlocks: 0
; NumSGPRsForWavesPerEU: 6
; NumVGPRsForWavesPerEU: 1
; AccumOffset: 4
; Occupancy: 8
; WaveLimiterHint : 0
; COMPUTE_PGM_RSRC2:SCRATCH_EN: 0
; COMPUTE_PGM_RSRC2:USER_SGPR: 2
; COMPUTE_PGM_RSRC2:TRAP_HANDLER: 0
; COMPUTE_PGM_RSRC2:TGID_X_EN: 1
; COMPUTE_PGM_RSRC2:TGID_Y_EN: 0
; COMPUTE_PGM_RSRC2:TGID_Z_EN: 0
; COMPUTE_PGM_RSRC2:TIDIG_COMP_CNT: 0
; COMPUTE_PGM_RSRC3_GFX90A:ACCUM_OFFSET: 0
; COMPUTE_PGM_RSRC3_GFX90A:TG_SPLIT: 0
	.section	.text._ZN7rocprim17ROCPRIM_400000_NS6detail17trampoline_kernelINS0_14default_configENS1_25transform_config_selectorItLb0EEEZNS1_14transform_implILb0ES3_S5_NS0_18transform_iteratorINS0_17counting_iteratorImlEEZNS1_24adjacent_difference_implIS3_Lb1ELb0EPKtPtN6thrust23THRUST_200600_302600_NS4plusItEEEE10hipError_tPvRmT2_T3_mT4_P12ihipStream_tbEUlmE_tEESD_NS0_8identityIvEEEESI_SL_SM_mSN_SP_bEUlT_E_NS1_11comp_targetILNS1_3genE3ELNS1_11target_archE908ELNS1_3gpuE7ELNS1_3repE0EEENS1_30default_config_static_selectorELNS0_4arch9wavefront6targetE1EEEvT1_,"axG",@progbits,_ZN7rocprim17ROCPRIM_400000_NS6detail17trampoline_kernelINS0_14default_configENS1_25transform_config_selectorItLb0EEEZNS1_14transform_implILb0ES3_S5_NS0_18transform_iteratorINS0_17counting_iteratorImlEEZNS1_24adjacent_difference_implIS3_Lb1ELb0EPKtPtN6thrust23THRUST_200600_302600_NS4plusItEEEE10hipError_tPvRmT2_T3_mT4_P12ihipStream_tbEUlmE_tEESD_NS0_8identityIvEEEESI_SL_SM_mSN_SP_bEUlT_E_NS1_11comp_targetILNS1_3genE3ELNS1_11target_archE908ELNS1_3gpuE7ELNS1_3repE0EEENS1_30default_config_static_selectorELNS0_4arch9wavefront6targetE1EEEvT1_,comdat
	.protected	_ZN7rocprim17ROCPRIM_400000_NS6detail17trampoline_kernelINS0_14default_configENS1_25transform_config_selectorItLb0EEEZNS1_14transform_implILb0ES3_S5_NS0_18transform_iteratorINS0_17counting_iteratorImlEEZNS1_24adjacent_difference_implIS3_Lb1ELb0EPKtPtN6thrust23THRUST_200600_302600_NS4plusItEEEE10hipError_tPvRmT2_T3_mT4_P12ihipStream_tbEUlmE_tEESD_NS0_8identityIvEEEESI_SL_SM_mSN_SP_bEUlT_E_NS1_11comp_targetILNS1_3genE3ELNS1_11target_archE908ELNS1_3gpuE7ELNS1_3repE0EEENS1_30default_config_static_selectorELNS0_4arch9wavefront6targetE1EEEvT1_ ; -- Begin function _ZN7rocprim17ROCPRIM_400000_NS6detail17trampoline_kernelINS0_14default_configENS1_25transform_config_selectorItLb0EEEZNS1_14transform_implILb0ES3_S5_NS0_18transform_iteratorINS0_17counting_iteratorImlEEZNS1_24adjacent_difference_implIS3_Lb1ELb0EPKtPtN6thrust23THRUST_200600_302600_NS4plusItEEEE10hipError_tPvRmT2_T3_mT4_P12ihipStream_tbEUlmE_tEESD_NS0_8identityIvEEEESI_SL_SM_mSN_SP_bEUlT_E_NS1_11comp_targetILNS1_3genE3ELNS1_11target_archE908ELNS1_3gpuE7ELNS1_3repE0EEENS1_30default_config_static_selectorELNS0_4arch9wavefront6targetE1EEEvT1_
	.globl	_ZN7rocprim17ROCPRIM_400000_NS6detail17trampoline_kernelINS0_14default_configENS1_25transform_config_selectorItLb0EEEZNS1_14transform_implILb0ES3_S5_NS0_18transform_iteratorINS0_17counting_iteratorImlEEZNS1_24adjacent_difference_implIS3_Lb1ELb0EPKtPtN6thrust23THRUST_200600_302600_NS4plusItEEEE10hipError_tPvRmT2_T3_mT4_P12ihipStream_tbEUlmE_tEESD_NS0_8identityIvEEEESI_SL_SM_mSN_SP_bEUlT_E_NS1_11comp_targetILNS1_3genE3ELNS1_11target_archE908ELNS1_3gpuE7ELNS1_3repE0EEENS1_30default_config_static_selectorELNS0_4arch9wavefront6targetE1EEEvT1_
	.p2align	8
	.type	_ZN7rocprim17ROCPRIM_400000_NS6detail17trampoline_kernelINS0_14default_configENS1_25transform_config_selectorItLb0EEEZNS1_14transform_implILb0ES3_S5_NS0_18transform_iteratorINS0_17counting_iteratorImlEEZNS1_24adjacent_difference_implIS3_Lb1ELb0EPKtPtN6thrust23THRUST_200600_302600_NS4plusItEEEE10hipError_tPvRmT2_T3_mT4_P12ihipStream_tbEUlmE_tEESD_NS0_8identityIvEEEESI_SL_SM_mSN_SP_bEUlT_E_NS1_11comp_targetILNS1_3genE3ELNS1_11target_archE908ELNS1_3gpuE7ELNS1_3repE0EEENS1_30default_config_static_selectorELNS0_4arch9wavefront6targetE1EEEvT1_,@function
_ZN7rocprim17ROCPRIM_400000_NS6detail17trampoline_kernelINS0_14default_configENS1_25transform_config_selectorItLb0EEEZNS1_14transform_implILb0ES3_S5_NS0_18transform_iteratorINS0_17counting_iteratorImlEEZNS1_24adjacent_difference_implIS3_Lb1ELb0EPKtPtN6thrust23THRUST_200600_302600_NS4plusItEEEE10hipError_tPvRmT2_T3_mT4_P12ihipStream_tbEUlmE_tEESD_NS0_8identityIvEEEESI_SL_SM_mSN_SP_bEUlT_E_NS1_11comp_targetILNS1_3genE3ELNS1_11target_archE908ELNS1_3gpuE7ELNS1_3repE0EEENS1_30default_config_static_selectorELNS0_4arch9wavefront6targetE1EEEvT1_: ; @_ZN7rocprim17ROCPRIM_400000_NS6detail17trampoline_kernelINS0_14default_configENS1_25transform_config_selectorItLb0EEEZNS1_14transform_implILb0ES3_S5_NS0_18transform_iteratorINS0_17counting_iteratorImlEEZNS1_24adjacent_difference_implIS3_Lb1ELb0EPKtPtN6thrust23THRUST_200600_302600_NS4plusItEEEE10hipError_tPvRmT2_T3_mT4_P12ihipStream_tbEUlmE_tEESD_NS0_8identityIvEEEESI_SL_SM_mSN_SP_bEUlT_E_NS1_11comp_targetILNS1_3genE3ELNS1_11target_archE908ELNS1_3gpuE7ELNS1_3repE0EEENS1_30default_config_static_selectorELNS0_4arch9wavefront6targetE1EEEvT1_
; %bb.0:
	.section	.rodata,"a",@progbits
	.p2align	6, 0x0
	.amdhsa_kernel _ZN7rocprim17ROCPRIM_400000_NS6detail17trampoline_kernelINS0_14default_configENS1_25transform_config_selectorItLb0EEEZNS1_14transform_implILb0ES3_S5_NS0_18transform_iteratorINS0_17counting_iteratorImlEEZNS1_24adjacent_difference_implIS3_Lb1ELb0EPKtPtN6thrust23THRUST_200600_302600_NS4plusItEEEE10hipError_tPvRmT2_T3_mT4_P12ihipStream_tbEUlmE_tEESD_NS0_8identityIvEEEESI_SL_SM_mSN_SP_bEUlT_E_NS1_11comp_targetILNS1_3genE3ELNS1_11target_archE908ELNS1_3gpuE7ELNS1_3repE0EEENS1_30default_config_static_selectorELNS0_4arch9wavefront6targetE1EEEvT1_
		.amdhsa_group_segment_fixed_size 0
		.amdhsa_private_segment_fixed_size 0
		.amdhsa_kernarg_size 56
		.amdhsa_user_sgpr_count 2
		.amdhsa_user_sgpr_dispatch_ptr 0
		.amdhsa_user_sgpr_queue_ptr 0
		.amdhsa_user_sgpr_kernarg_segment_ptr 1
		.amdhsa_user_sgpr_dispatch_id 0
		.amdhsa_user_sgpr_kernarg_preload_length 0
		.amdhsa_user_sgpr_kernarg_preload_offset 0
		.amdhsa_user_sgpr_private_segment_size 0
		.amdhsa_uses_dynamic_stack 0
		.amdhsa_enable_private_segment 0
		.amdhsa_system_sgpr_workgroup_id_x 1
		.amdhsa_system_sgpr_workgroup_id_y 0
		.amdhsa_system_sgpr_workgroup_id_z 0
		.amdhsa_system_sgpr_workgroup_info 0
		.amdhsa_system_vgpr_workitem_id 0
		.amdhsa_next_free_vgpr 1
		.amdhsa_next_free_sgpr 0
		.amdhsa_accum_offset 4
		.amdhsa_reserve_vcc 0
		.amdhsa_float_round_mode_32 0
		.amdhsa_float_round_mode_16_64 0
		.amdhsa_float_denorm_mode_32 3
		.amdhsa_float_denorm_mode_16_64 3
		.amdhsa_dx10_clamp 1
		.amdhsa_ieee_mode 1
		.amdhsa_fp16_overflow 0
		.amdhsa_tg_split 0
		.amdhsa_exception_fp_ieee_invalid_op 0
		.amdhsa_exception_fp_denorm_src 0
		.amdhsa_exception_fp_ieee_div_zero 0
		.amdhsa_exception_fp_ieee_overflow 0
		.amdhsa_exception_fp_ieee_underflow 0
		.amdhsa_exception_fp_ieee_inexact 0
		.amdhsa_exception_int_div_zero 0
	.end_amdhsa_kernel
	.section	.text._ZN7rocprim17ROCPRIM_400000_NS6detail17trampoline_kernelINS0_14default_configENS1_25transform_config_selectorItLb0EEEZNS1_14transform_implILb0ES3_S5_NS0_18transform_iteratorINS0_17counting_iteratorImlEEZNS1_24adjacent_difference_implIS3_Lb1ELb0EPKtPtN6thrust23THRUST_200600_302600_NS4plusItEEEE10hipError_tPvRmT2_T3_mT4_P12ihipStream_tbEUlmE_tEESD_NS0_8identityIvEEEESI_SL_SM_mSN_SP_bEUlT_E_NS1_11comp_targetILNS1_3genE3ELNS1_11target_archE908ELNS1_3gpuE7ELNS1_3repE0EEENS1_30default_config_static_selectorELNS0_4arch9wavefront6targetE1EEEvT1_,"axG",@progbits,_ZN7rocprim17ROCPRIM_400000_NS6detail17trampoline_kernelINS0_14default_configENS1_25transform_config_selectorItLb0EEEZNS1_14transform_implILb0ES3_S5_NS0_18transform_iteratorINS0_17counting_iteratorImlEEZNS1_24adjacent_difference_implIS3_Lb1ELb0EPKtPtN6thrust23THRUST_200600_302600_NS4plusItEEEE10hipError_tPvRmT2_T3_mT4_P12ihipStream_tbEUlmE_tEESD_NS0_8identityIvEEEESI_SL_SM_mSN_SP_bEUlT_E_NS1_11comp_targetILNS1_3genE3ELNS1_11target_archE908ELNS1_3gpuE7ELNS1_3repE0EEENS1_30default_config_static_selectorELNS0_4arch9wavefront6targetE1EEEvT1_,comdat
.Lfunc_end552:
	.size	_ZN7rocprim17ROCPRIM_400000_NS6detail17trampoline_kernelINS0_14default_configENS1_25transform_config_selectorItLb0EEEZNS1_14transform_implILb0ES3_S5_NS0_18transform_iteratorINS0_17counting_iteratorImlEEZNS1_24adjacent_difference_implIS3_Lb1ELb0EPKtPtN6thrust23THRUST_200600_302600_NS4plusItEEEE10hipError_tPvRmT2_T3_mT4_P12ihipStream_tbEUlmE_tEESD_NS0_8identityIvEEEESI_SL_SM_mSN_SP_bEUlT_E_NS1_11comp_targetILNS1_3genE3ELNS1_11target_archE908ELNS1_3gpuE7ELNS1_3repE0EEENS1_30default_config_static_selectorELNS0_4arch9wavefront6targetE1EEEvT1_, .Lfunc_end552-_ZN7rocprim17ROCPRIM_400000_NS6detail17trampoline_kernelINS0_14default_configENS1_25transform_config_selectorItLb0EEEZNS1_14transform_implILb0ES3_S5_NS0_18transform_iteratorINS0_17counting_iteratorImlEEZNS1_24adjacent_difference_implIS3_Lb1ELb0EPKtPtN6thrust23THRUST_200600_302600_NS4plusItEEEE10hipError_tPvRmT2_T3_mT4_P12ihipStream_tbEUlmE_tEESD_NS0_8identityIvEEEESI_SL_SM_mSN_SP_bEUlT_E_NS1_11comp_targetILNS1_3genE3ELNS1_11target_archE908ELNS1_3gpuE7ELNS1_3repE0EEENS1_30default_config_static_selectorELNS0_4arch9wavefront6targetE1EEEvT1_
                                        ; -- End function
	.section	.AMDGPU.csdata,"",@progbits
; Kernel info:
; codeLenInByte = 0
; NumSgprs: 6
; NumVgprs: 0
; NumAgprs: 0
; TotalNumVgprs: 0
; ScratchSize: 0
; MemoryBound: 0
; FloatMode: 240
; IeeeMode: 1
; LDSByteSize: 0 bytes/workgroup (compile time only)
; SGPRBlocks: 0
; VGPRBlocks: 0
; NumSGPRsForWavesPerEU: 6
; NumVGPRsForWavesPerEU: 1
; AccumOffset: 4
; Occupancy: 8
; WaveLimiterHint : 0
; COMPUTE_PGM_RSRC2:SCRATCH_EN: 0
; COMPUTE_PGM_RSRC2:USER_SGPR: 2
; COMPUTE_PGM_RSRC2:TRAP_HANDLER: 0
; COMPUTE_PGM_RSRC2:TGID_X_EN: 1
; COMPUTE_PGM_RSRC2:TGID_Y_EN: 0
; COMPUTE_PGM_RSRC2:TGID_Z_EN: 0
; COMPUTE_PGM_RSRC2:TIDIG_COMP_CNT: 0
; COMPUTE_PGM_RSRC3_GFX90A:ACCUM_OFFSET: 0
; COMPUTE_PGM_RSRC3_GFX90A:TG_SPLIT: 0
	.section	.text._ZN7rocprim17ROCPRIM_400000_NS6detail17trampoline_kernelINS0_14default_configENS1_25transform_config_selectorItLb0EEEZNS1_14transform_implILb0ES3_S5_NS0_18transform_iteratorINS0_17counting_iteratorImlEEZNS1_24adjacent_difference_implIS3_Lb1ELb0EPKtPtN6thrust23THRUST_200600_302600_NS4plusItEEEE10hipError_tPvRmT2_T3_mT4_P12ihipStream_tbEUlmE_tEESD_NS0_8identityIvEEEESI_SL_SM_mSN_SP_bEUlT_E_NS1_11comp_targetILNS1_3genE2ELNS1_11target_archE906ELNS1_3gpuE6ELNS1_3repE0EEENS1_30default_config_static_selectorELNS0_4arch9wavefront6targetE1EEEvT1_,"axG",@progbits,_ZN7rocprim17ROCPRIM_400000_NS6detail17trampoline_kernelINS0_14default_configENS1_25transform_config_selectorItLb0EEEZNS1_14transform_implILb0ES3_S5_NS0_18transform_iteratorINS0_17counting_iteratorImlEEZNS1_24adjacent_difference_implIS3_Lb1ELb0EPKtPtN6thrust23THRUST_200600_302600_NS4plusItEEEE10hipError_tPvRmT2_T3_mT4_P12ihipStream_tbEUlmE_tEESD_NS0_8identityIvEEEESI_SL_SM_mSN_SP_bEUlT_E_NS1_11comp_targetILNS1_3genE2ELNS1_11target_archE906ELNS1_3gpuE6ELNS1_3repE0EEENS1_30default_config_static_selectorELNS0_4arch9wavefront6targetE1EEEvT1_,comdat
	.protected	_ZN7rocprim17ROCPRIM_400000_NS6detail17trampoline_kernelINS0_14default_configENS1_25transform_config_selectorItLb0EEEZNS1_14transform_implILb0ES3_S5_NS0_18transform_iteratorINS0_17counting_iteratorImlEEZNS1_24adjacent_difference_implIS3_Lb1ELb0EPKtPtN6thrust23THRUST_200600_302600_NS4plusItEEEE10hipError_tPvRmT2_T3_mT4_P12ihipStream_tbEUlmE_tEESD_NS0_8identityIvEEEESI_SL_SM_mSN_SP_bEUlT_E_NS1_11comp_targetILNS1_3genE2ELNS1_11target_archE906ELNS1_3gpuE6ELNS1_3repE0EEENS1_30default_config_static_selectorELNS0_4arch9wavefront6targetE1EEEvT1_ ; -- Begin function _ZN7rocprim17ROCPRIM_400000_NS6detail17trampoline_kernelINS0_14default_configENS1_25transform_config_selectorItLb0EEEZNS1_14transform_implILb0ES3_S5_NS0_18transform_iteratorINS0_17counting_iteratorImlEEZNS1_24adjacent_difference_implIS3_Lb1ELb0EPKtPtN6thrust23THRUST_200600_302600_NS4plusItEEEE10hipError_tPvRmT2_T3_mT4_P12ihipStream_tbEUlmE_tEESD_NS0_8identityIvEEEESI_SL_SM_mSN_SP_bEUlT_E_NS1_11comp_targetILNS1_3genE2ELNS1_11target_archE906ELNS1_3gpuE6ELNS1_3repE0EEENS1_30default_config_static_selectorELNS0_4arch9wavefront6targetE1EEEvT1_
	.globl	_ZN7rocprim17ROCPRIM_400000_NS6detail17trampoline_kernelINS0_14default_configENS1_25transform_config_selectorItLb0EEEZNS1_14transform_implILb0ES3_S5_NS0_18transform_iteratorINS0_17counting_iteratorImlEEZNS1_24adjacent_difference_implIS3_Lb1ELb0EPKtPtN6thrust23THRUST_200600_302600_NS4plusItEEEE10hipError_tPvRmT2_T3_mT4_P12ihipStream_tbEUlmE_tEESD_NS0_8identityIvEEEESI_SL_SM_mSN_SP_bEUlT_E_NS1_11comp_targetILNS1_3genE2ELNS1_11target_archE906ELNS1_3gpuE6ELNS1_3repE0EEENS1_30default_config_static_selectorELNS0_4arch9wavefront6targetE1EEEvT1_
	.p2align	8
	.type	_ZN7rocprim17ROCPRIM_400000_NS6detail17trampoline_kernelINS0_14default_configENS1_25transform_config_selectorItLb0EEEZNS1_14transform_implILb0ES3_S5_NS0_18transform_iteratorINS0_17counting_iteratorImlEEZNS1_24adjacent_difference_implIS3_Lb1ELb0EPKtPtN6thrust23THRUST_200600_302600_NS4plusItEEEE10hipError_tPvRmT2_T3_mT4_P12ihipStream_tbEUlmE_tEESD_NS0_8identityIvEEEESI_SL_SM_mSN_SP_bEUlT_E_NS1_11comp_targetILNS1_3genE2ELNS1_11target_archE906ELNS1_3gpuE6ELNS1_3repE0EEENS1_30default_config_static_selectorELNS0_4arch9wavefront6targetE1EEEvT1_,@function
_ZN7rocprim17ROCPRIM_400000_NS6detail17trampoline_kernelINS0_14default_configENS1_25transform_config_selectorItLb0EEEZNS1_14transform_implILb0ES3_S5_NS0_18transform_iteratorINS0_17counting_iteratorImlEEZNS1_24adjacent_difference_implIS3_Lb1ELb0EPKtPtN6thrust23THRUST_200600_302600_NS4plusItEEEE10hipError_tPvRmT2_T3_mT4_P12ihipStream_tbEUlmE_tEESD_NS0_8identityIvEEEESI_SL_SM_mSN_SP_bEUlT_E_NS1_11comp_targetILNS1_3genE2ELNS1_11target_archE906ELNS1_3gpuE6ELNS1_3repE0EEENS1_30default_config_static_selectorELNS0_4arch9wavefront6targetE1EEEvT1_: ; @_ZN7rocprim17ROCPRIM_400000_NS6detail17trampoline_kernelINS0_14default_configENS1_25transform_config_selectorItLb0EEEZNS1_14transform_implILb0ES3_S5_NS0_18transform_iteratorINS0_17counting_iteratorImlEEZNS1_24adjacent_difference_implIS3_Lb1ELb0EPKtPtN6thrust23THRUST_200600_302600_NS4plusItEEEE10hipError_tPvRmT2_T3_mT4_P12ihipStream_tbEUlmE_tEESD_NS0_8identityIvEEEESI_SL_SM_mSN_SP_bEUlT_E_NS1_11comp_targetILNS1_3genE2ELNS1_11target_archE906ELNS1_3gpuE6ELNS1_3repE0EEENS1_30default_config_static_selectorELNS0_4arch9wavefront6targetE1EEEvT1_
; %bb.0:
	.section	.rodata,"a",@progbits
	.p2align	6, 0x0
	.amdhsa_kernel _ZN7rocprim17ROCPRIM_400000_NS6detail17trampoline_kernelINS0_14default_configENS1_25transform_config_selectorItLb0EEEZNS1_14transform_implILb0ES3_S5_NS0_18transform_iteratorINS0_17counting_iteratorImlEEZNS1_24adjacent_difference_implIS3_Lb1ELb0EPKtPtN6thrust23THRUST_200600_302600_NS4plusItEEEE10hipError_tPvRmT2_T3_mT4_P12ihipStream_tbEUlmE_tEESD_NS0_8identityIvEEEESI_SL_SM_mSN_SP_bEUlT_E_NS1_11comp_targetILNS1_3genE2ELNS1_11target_archE906ELNS1_3gpuE6ELNS1_3repE0EEENS1_30default_config_static_selectorELNS0_4arch9wavefront6targetE1EEEvT1_
		.amdhsa_group_segment_fixed_size 0
		.amdhsa_private_segment_fixed_size 0
		.amdhsa_kernarg_size 56
		.amdhsa_user_sgpr_count 2
		.amdhsa_user_sgpr_dispatch_ptr 0
		.amdhsa_user_sgpr_queue_ptr 0
		.amdhsa_user_sgpr_kernarg_segment_ptr 1
		.amdhsa_user_sgpr_dispatch_id 0
		.amdhsa_user_sgpr_kernarg_preload_length 0
		.amdhsa_user_sgpr_kernarg_preload_offset 0
		.amdhsa_user_sgpr_private_segment_size 0
		.amdhsa_uses_dynamic_stack 0
		.amdhsa_enable_private_segment 0
		.amdhsa_system_sgpr_workgroup_id_x 1
		.amdhsa_system_sgpr_workgroup_id_y 0
		.amdhsa_system_sgpr_workgroup_id_z 0
		.amdhsa_system_sgpr_workgroup_info 0
		.amdhsa_system_vgpr_workitem_id 0
		.amdhsa_next_free_vgpr 1
		.amdhsa_next_free_sgpr 0
		.amdhsa_accum_offset 4
		.amdhsa_reserve_vcc 0
		.amdhsa_float_round_mode_32 0
		.amdhsa_float_round_mode_16_64 0
		.amdhsa_float_denorm_mode_32 3
		.amdhsa_float_denorm_mode_16_64 3
		.amdhsa_dx10_clamp 1
		.amdhsa_ieee_mode 1
		.amdhsa_fp16_overflow 0
		.amdhsa_tg_split 0
		.amdhsa_exception_fp_ieee_invalid_op 0
		.amdhsa_exception_fp_denorm_src 0
		.amdhsa_exception_fp_ieee_div_zero 0
		.amdhsa_exception_fp_ieee_overflow 0
		.amdhsa_exception_fp_ieee_underflow 0
		.amdhsa_exception_fp_ieee_inexact 0
		.amdhsa_exception_int_div_zero 0
	.end_amdhsa_kernel
	.section	.text._ZN7rocprim17ROCPRIM_400000_NS6detail17trampoline_kernelINS0_14default_configENS1_25transform_config_selectorItLb0EEEZNS1_14transform_implILb0ES3_S5_NS0_18transform_iteratorINS0_17counting_iteratorImlEEZNS1_24adjacent_difference_implIS3_Lb1ELb0EPKtPtN6thrust23THRUST_200600_302600_NS4plusItEEEE10hipError_tPvRmT2_T3_mT4_P12ihipStream_tbEUlmE_tEESD_NS0_8identityIvEEEESI_SL_SM_mSN_SP_bEUlT_E_NS1_11comp_targetILNS1_3genE2ELNS1_11target_archE906ELNS1_3gpuE6ELNS1_3repE0EEENS1_30default_config_static_selectorELNS0_4arch9wavefront6targetE1EEEvT1_,"axG",@progbits,_ZN7rocprim17ROCPRIM_400000_NS6detail17trampoline_kernelINS0_14default_configENS1_25transform_config_selectorItLb0EEEZNS1_14transform_implILb0ES3_S5_NS0_18transform_iteratorINS0_17counting_iteratorImlEEZNS1_24adjacent_difference_implIS3_Lb1ELb0EPKtPtN6thrust23THRUST_200600_302600_NS4plusItEEEE10hipError_tPvRmT2_T3_mT4_P12ihipStream_tbEUlmE_tEESD_NS0_8identityIvEEEESI_SL_SM_mSN_SP_bEUlT_E_NS1_11comp_targetILNS1_3genE2ELNS1_11target_archE906ELNS1_3gpuE6ELNS1_3repE0EEENS1_30default_config_static_selectorELNS0_4arch9wavefront6targetE1EEEvT1_,comdat
.Lfunc_end553:
	.size	_ZN7rocprim17ROCPRIM_400000_NS6detail17trampoline_kernelINS0_14default_configENS1_25transform_config_selectorItLb0EEEZNS1_14transform_implILb0ES3_S5_NS0_18transform_iteratorINS0_17counting_iteratorImlEEZNS1_24adjacent_difference_implIS3_Lb1ELb0EPKtPtN6thrust23THRUST_200600_302600_NS4plusItEEEE10hipError_tPvRmT2_T3_mT4_P12ihipStream_tbEUlmE_tEESD_NS0_8identityIvEEEESI_SL_SM_mSN_SP_bEUlT_E_NS1_11comp_targetILNS1_3genE2ELNS1_11target_archE906ELNS1_3gpuE6ELNS1_3repE0EEENS1_30default_config_static_selectorELNS0_4arch9wavefront6targetE1EEEvT1_, .Lfunc_end553-_ZN7rocprim17ROCPRIM_400000_NS6detail17trampoline_kernelINS0_14default_configENS1_25transform_config_selectorItLb0EEEZNS1_14transform_implILb0ES3_S5_NS0_18transform_iteratorINS0_17counting_iteratorImlEEZNS1_24adjacent_difference_implIS3_Lb1ELb0EPKtPtN6thrust23THRUST_200600_302600_NS4plusItEEEE10hipError_tPvRmT2_T3_mT4_P12ihipStream_tbEUlmE_tEESD_NS0_8identityIvEEEESI_SL_SM_mSN_SP_bEUlT_E_NS1_11comp_targetILNS1_3genE2ELNS1_11target_archE906ELNS1_3gpuE6ELNS1_3repE0EEENS1_30default_config_static_selectorELNS0_4arch9wavefront6targetE1EEEvT1_
                                        ; -- End function
	.section	.AMDGPU.csdata,"",@progbits
; Kernel info:
; codeLenInByte = 0
; NumSgprs: 6
; NumVgprs: 0
; NumAgprs: 0
; TotalNumVgprs: 0
; ScratchSize: 0
; MemoryBound: 0
; FloatMode: 240
; IeeeMode: 1
; LDSByteSize: 0 bytes/workgroup (compile time only)
; SGPRBlocks: 0
; VGPRBlocks: 0
; NumSGPRsForWavesPerEU: 6
; NumVGPRsForWavesPerEU: 1
; AccumOffset: 4
; Occupancy: 8
; WaveLimiterHint : 0
; COMPUTE_PGM_RSRC2:SCRATCH_EN: 0
; COMPUTE_PGM_RSRC2:USER_SGPR: 2
; COMPUTE_PGM_RSRC2:TRAP_HANDLER: 0
; COMPUTE_PGM_RSRC2:TGID_X_EN: 1
; COMPUTE_PGM_RSRC2:TGID_Y_EN: 0
; COMPUTE_PGM_RSRC2:TGID_Z_EN: 0
; COMPUTE_PGM_RSRC2:TIDIG_COMP_CNT: 0
; COMPUTE_PGM_RSRC3_GFX90A:ACCUM_OFFSET: 0
; COMPUTE_PGM_RSRC3_GFX90A:TG_SPLIT: 0
	.section	.text._ZN7rocprim17ROCPRIM_400000_NS6detail17trampoline_kernelINS0_14default_configENS1_25transform_config_selectorItLb0EEEZNS1_14transform_implILb0ES3_S5_NS0_18transform_iteratorINS0_17counting_iteratorImlEEZNS1_24adjacent_difference_implIS3_Lb1ELb0EPKtPtN6thrust23THRUST_200600_302600_NS4plusItEEEE10hipError_tPvRmT2_T3_mT4_P12ihipStream_tbEUlmE_tEESD_NS0_8identityIvEEEESI_SL_SM_mSN_SP_bEUlT_E_NS1_11comp_targetILNS1_3genE10ELNS1_11target_archE1201ELNS1_3gpuE5ELNS1_3repE0EEENS1_30default_config_static_selectorELNS0_4arch9wavefront6targetE1EEEvT1_,"axG",@progbits,_ZN7rocprim17ROCPRIM_400000_NS6detail17trampoline_kernelINS0_14default_configENS1_25transform_config_selectorItLb0EEEZNS1_14transform_implILb0ES3_S5_NS0_18transform_iteratorINS0_17counting_iteratorImlEEZNS1_24adjacent_difference_implIS3_Lb1ELb0EPKtPtN6thrust23THRUST_200600_302600_NS4plusItEEEE10hipError_tPvRmT2_T3_mT4_P12ihipStream_tbEUlmE_tEESD_NS0_8identityIvEEEESI_SL_SM_mSN_SP_bEUlT_E_NS1_11comp_targetILNS1_3genE10ELNS1_11target_archE1201ELNS1_3gpuE5ELNS1_3repE0EEENS1_30default_config_static_selectorELNS0_4arch9wavefront6targetE1EEEvT1_,comdat
	.protected	_ZN7rocprim17ROCPRIM_400000_NS6detail17trampoline_kernelINS0_14default_configENS1_25transform_config_selectorItLb0EEEZNS1_14transform_implILb0ES3_S5_NS0_18transform_iteratorINS0_17counting_iteratorImlEEZNS1_24adjacent_difference_implIS3_Lb1ELb0EPKtPtN6thrust23THRUST_200600_302600_NS4plusItEEEE10hipError_tPvRmT2_T3_mT4_P12ihipStream_tbEUlmE_tEESD_NS0_8identityIvEEEESI_SL_SM_mSN_SP_bEUlT_E_NS1_11comp_targetILNS1_3genE10ELNS1_11target_archE1201ELNS1_3gpuE5ELNS1_3repE0EEENS1_30default_config_static_selectorELNS0_4arch9wavefront6targetE1EEEvT1_ ; -- Begin function _ZN7rocprim17ROCPRIM_400000_NS6detail17trampoline_kernelINS0_14default_configENS1_25transform_config_selectorItLb0EEEZNS1_14transform_implILb0ES3_S5_NS0_18transform_iteratorINS0_17counting_iteratorImlEEZNS1_24adjacent_difference_implIS3_Lb1ELb0EPKtPtN6thrust23THRUST_200600_302600_NS4plusItEEEE10hipError_tPvRmT2_T3_mT4_P12ihipStream_tbEUlmE_tEESD_NS0_8identityIvEEEESI_SL_SM_mSN_SP_bEUlT_E_NS1_11comp_targetILNS1_3genE10ELNS1_11target_archE1201ELNS1_3gpuE5ELNS1_3repE0EEENS1_30default_config_static_selectorELNS0_4arch9wavefront6targetE1EEEvT1_
	.globl	_ZN7rocprim17ROCPRIM_400000_NS6detail17trampoline_kernelINS0_14default_configENS1_25transform_config_selectorItLb0EEEZNS1_14transform_implILb0ES3_S5_NS0_18transform_iteratorINS0_17counting_iteratorImlEEZNS1_24adjacent_difference_implIS3_Lb1ELb0EPKtPtN6thrust23THRUST_200600_302600_NS4plusItEEEE10hipError_tPvRmT2_T3_mT4_P12ihipStream_tbEUlmE_tEESD_NS0_8identityIvEEEESI_SL_SM_mSN_SP_bEUlT_E_NS1_11comp_targetILNS1_3genE10ELNS1_11target_archE1201ELNS1_3gpuE5ELNS1_3repE0EEENS1_30default_config_static_selectorELNS0_4arch9wavefront6targetE1EEEvT1_
	.p2align	8
	.type	_ZN7rocprim17ROCPRIM_400000_NS6detail17trampoline_kernelINS0_14default_configENS1_25transform_config_selectorItLb0EEEZNS1_14transform_implILb0ES3_S5_NS0_18transform_iteratorINS0_17counting_iteratorImlEEZNS1_24adjacent_difference_implIS3_Lb1ELb0EPKtPtN6thrust23THRUST_200600_302600_NS4plusItEEEE10hipError_tPvRmT2_T3_mT4_P12ihipStream_tbEUlmE_tEESD_NS0_8identityIvEEEESI_SL_SM_mSN_SP_bEUlT_E_NS1_11comp_targetILNS1_3genE10ELNS1_11target_archE1201ELNS1_3gpuE5ELNS1_3repE0EEENS1_30default_config_static_selectorELNS0_4arch9wavefront6targetE1EEEvT1_,@function
_ZN7rocprim17ROCPRIM_400000_NS6detail17trampoline_kernelINS0_14default_configENS1_25transform_config_selectorItLb0EEEZNS1_14transform_implILb0ES3_S5_NS0_18transform_iteratorINS0_17counting_iteratorImlEEZNS1_24adjacent_difference_implIS3_Lb1ELb0EPKtPtN6thrust23THRUST_200600_302600_NS4plusItEEEE10hipError_tPvRmT2_T3_mT4_P12ihipStream_tbEUlmE_tEESD_NS0_8identityIvEEEESI_SL_SM_mSN_SP_bEUlT_E_NS1_11comp_targetILNS1_3genE10ELNS1_11target_archE1201ELNS1_3gpuE5ELNS1_3repE0EEENS1_30default_config_static_selectorELNS0_4arch9wavefront6targetE1EEEvT1_: ; @_ZN7rocprim17ROCPRIM_400000_NS6detail17trampoline_kernelINS0_14default_configENS1_25transform_config_selectorItLb0EEEZNS1_14transform_implILb0ES3_S5_NS0_18transform_iteratorINS0_17counting_iteratorImlEEZNS1_24adjacent_difference_implIS3_Lb1ELb0EPKtPtN6thrust23THRUST_200600_302600_NS4plusItEEEE10hipError_tPvRmT2_T3_mT4_P12ihipStream_tbEUlmE_tEESD_NS0_8identityIvEEEESI_SL_SM_mSN_SP_bEUlT_E_NS1_11comp_targetILNS1_3genE10ELNS1_11target_archE1201ELNS1_3gpuE5ELNS1_3repE0EEENS1_30default_config_static_selectorELNS0_4arch9wavefront6targetE1EEEvT1_
; %bb.0:
	.section	.rodata,"a",@progbits
	.p2align	6, 0x0
	.amdhsa_kernel _ZN7rocprim17ROCPRIM_400000_NS6detail17trampoline_kernelINS0_14default_configENS1_25transform_config_selectorItLb0EEEZNS1_14transform_implILb0ES3_S5_NS0_18transform_iteratorINS0_17counting_iteratorImlEEZNS1_24adjacent_difference_implIS3_Lb1ELb0EPKtPtN6thrust23THRUST_200600_302600_NS4plusItEEEE10hipError_tPvRmT2_T3_mT4_P12ihipStream_tbEUlmE_tEESD_NS0_8identityIvEEEESI_SL_SM_mSN_SP_bEUlT_E_NS1_11comp_targetILNS1_3genE10ELNS1_11target_archE1201ELNS1_3gpuE5ELNS1_3repE0EEENS1_30default_config_static_selectorELNS0_4arch9wavefront6targetE1EEEvT1_
		.amdhsa_group_segment_fixed_size 0
		.amdhsa_private_segment_fixed_size 0
		.amdhsa_kernarg_size 56
		.amdhsa_user_sgpr_count 2
		.amdhsa_user_sgpr_dispatch_ptr 0
		.amdhsa_user_sgpr_queue_ptr 0
		.amdhsa_user_sgpr_kernarg_segment_ptr 1
		.amdhsa_user_sgpr_dispatch_id 0
		.amdhsa_user_sgpr_kernarg_preload_length 0
		.amdhsa_user_sgpr_kernarg_preload_offset 0
		.amdhsa_user_sgpr_private_segment_size 0
		.amdhsa_uses_dynamic_stack 0
		.amdhsa_enable_private_segment 0
		.amdhsa_system_sgpr_workgroup_id_x 1
		.amdhsa_system_sgpr_workgroup_id_y 0
		.amdhsa_system_sgpr_workgroup_id_z 0
		.amdhsa_system_sgpr_workgroup_info 0
		.amdhsa_system_vgpr_workitem_id 0
		.amdhsa_next_free_vgpr 1
		.amdhsa_next_free_sgpr 0
		.amdhsa_accum_offset 4
		.amdhsa_reserve_vcc 0
		.amdhsa_float_round_mode_32 0
		.amdhsa_float_round_mode_16_64 0
		.amdhsa_float_denorm_mode_32 3
		.amdhsa_float_denorm_mode_16_64 3
		.amdhsa_dx10_clamp 1
		.amdhsa_ieee_mode 1
		.amdhsa_fp16_overflow 0
		.amdhsa_tg_split 0
		.amdhsa_exception_fp_ieee_invalid_op 0
		.amdhsa_exception_fp_denorm_src 0
		.amdhsa_exception_fp_ieee_div_zero 0
		.amdhsa_exception_fp_ieee_overflow 0
		.amdhsa_exception_fp_ieee_underflow 0
		.amdhsa_exception_fp_ieee_inexact 0
		.amdhsa_exception_int_div_zero 0
	.end_amdhsa_kernel
	.section	.text._ZN7rocprim17ROCPRIM_400000_NS6detail17trampoline_kernelINS0_14default_configENS1_25transform_config_selectorItLb0EEEZNS1_14transform_implILb0ES3_S5_NS0_18transform_iteratorINS0_17counting_iteratorImlEEZNS1_24adjacent_difference_implIS3_Lb1ELb0EPKtPtN6thrust23THRUST_200600_302600_NS4plusItEEEE10hipError_tPvRmT2_T3_mT4_P12ihipStream_tbEUlmE_tEESD_NS0_8identityIvEEEESI_SL_SM_mSN_SP_bEUlT_E_NS1_11comp_targetILNS1_3genE10ELNS1_11target_archE1201ELNS1_3gpuE5ELNS1_3repE0EEENS1_30default_config_static_selectorELNS0_4arch9wavefront6targetE1EEEvT1_,"axG",@progbits,_ZN7rocprim17ROCPRIM_400000_NS6detail17trampoline_kernelINS0_14default_configENS1_25transform_config_selectorItLb0EEEZNS1_14transform_implILb0ES3_S5_NS0_18transform_iteratorINS0_17counting_iteratorImlEEZNS1_24adjacent_difference_implIS3_Lb1ELb0EPKtPtN6thrust23THRUST_200600_302600_NS4plusItEEEE10hipError_tPvRmT2_T3_mT4_P12ihipStream_tbEUlmE_tEESD_NS0_8identityIvEEEESI_SL_SM_mSN_SP_bEUlT_E_NS1_11comp_targetILNS1_3genE10ELNS1_11target_archE1201ELNS1_3gpuE5ELNS1_3repE0EEENS1_30default_config_static_selectorELNS0_4arch9wavefront6targetE1EEEvT1_,comdat
.Lfunc_end554:
	.size	_ZN7rocprim17ROCPRIM_400000_NS6detail17trampoline_kernelINS0_14default_configENS1_25transform_config_selectorItLb0EEEZNS1_14transform_implILb0ES3_S5_NS0_18transform_iteratorINS0_17counting_iteratorImlEEZNS1_24adjacent_difference_implIS3_Lb1ELb0EPKtPtN6thrust23THRUST_200600_302600_NS4plusItEEEE10hipError_tPvRmT2_T3_mT4_P12ihipStream_tbEUlmE_tEESD_NS0_8identityIvEEEESI_SL_SM_mSN_SP_bEUlT_E_NS1_11comp_targetILNS1_3genE10ELNS1_11target_archE1201ELNS1_3gpuE5ELNS1_3repE0EEENS1_30default_config_static_selectorELNS0_4arch9wavefront6targetE1EEEvT1_, .Lfunc_end554-_ZN7rocprim17ROCPRIM_400000_NS6detail17trampoline_kernelINS0_14default_configENS1_25transform_config_selectorItLb0EEEZNS1_14transform_implILb0ES3_S5_NS0_18transform_iteratorINS0_17counting_iteratorImlEEZNS1_24adjacent_difference_implIS3_Lb1ELb0EPKtPtN6thrust23THRUST_200600_302600_NS4plusItEEEE10hipError_tPvRmT2_T3_mT4_P12ihipStream_tbEUlmE_tEESD_NS0_8identityIvEEEESI_SL_SM_mSN_SP_bEUlT_E_NS1_11comp_targetILNS1_3genE10ELNS1_11target_archE1201ELNS1_3gpuE5ELNS1_3repE0EEENS1_30default_config_static_selectorELNS0_4arch9wavefront6targetE1EEEvT1_
                                        ; -- End function
	.section	.AMDGPU.csdata,"",@progbits
; Kernel info:
; codeLenInByte = 0
; NumSgprs: 6
; NumVgprs: 0
; NumAgprs: 0
; TotalNumVgprs: 0
; ScratchSize: 0
; MemoryBound: 0
; FloatMode: 240
; IeeeMode: 1
; LDSByteSize: 0 bytes/workgroup (compile time only)
; SGPRBlocks: 0
; VGPRBlocks: 0
; NumSGPRsForWavesPerEU: 6
; NumVGPRsForWavesPerEU: 1
; AccumOffset: 4
; Occupancy: 8
; WaveLimiterHint : 0
; COMPUTE_PGM_RSRC2:SCRATCH_EN: 0
; COMPUTE_PGM_RSRC2:USER_SGPR: 2
; COMPUTE_PGM_RSRC2:TRAP_HANDLER: 0
; COMPUTE_PGM_RSRC2:TGID_X_EN: 1
; COMPUTE_PGM_RSRC2:TGID_Y_EN: 0
; COMPUTE_PGM_RSRC2:TGID_Z_EN: 0
; COMPUTE_PGM_RSRC2:TIDIG_COMP_CNT: 0
; COMPUTE_PGM_RSRC3_GFX90A:ACCUM_OFFSET: 0
; COMPUTE_PGM_RSRC3_GFX90A:TG_SPLIT: 0
	.section	.text._ZN7rocprim17ROCPRIM_400000_NS6detail17trampoline_kernelINS0_14default_configENS1_25transform_config_selectorItLb0EEEZNS1_14transform_implILb0ES3_S5_NS0_18transform_iteratorINS0_17counting_iteratorImlEEZNS1_24adjacent_difference_implIS3_Lb1ELb0EPKtPtN6thrust23THRUST_200600_302600_NS4plusItEEEE10hipError_tPvRmT2_T3_mT4_P12ihipStream_tbEUlmE_tEESD_NS0_8identityIvEEEESI_SL_SM_mSN_SP_bEUlT_E_NS1_11comp_targetILNS1_3genE10ELNS1_11target_archE1200ELNS1_3gpuE4ELNS1_3repE0EEENS1_30default_config_static_selectorELNS0_4arch9wavefront6targetE1EEEvT1_,"axG",@progbits,_ZN7rocprim17ROCPRIM_400000_NS6detail17trampoline_kernelINS0_14default_configENS1_25transform_config_selectorItLb0EEEZNS1_14transform_implILb0ES3_S5_NS0_18transform_iteratorINS0_17counting_iteratorImlEEZNS1_24adjacent_difference_implIS3_Lb1ELb0EPKtPtN6thrust23THRUST_200600_302600_NS4plusItEEEE10hipError_tPvRmT2_T3_mT4_P12ihipStream_tbEUlmE_tEESD_NS0_8identityIvEEEESI_SL_SM_mSN_SP_bEUlT_E_NS1_11comp_targetILNS1_3genE10ELNS1_11target_archE1200ELNS1_3gpuE4ELNS1_3repE0EEENS1_30default_config_static_selectorELNS0_4arch9wavefront6targetE1EEEvT1_,comdat
	.protected	_ZN7rocprim17ROCPRIM_400000_NS6detail17trampoline_kernelINS0_14default_configENS1_25transform_config_selectorItLb0EEEZNS1_14transform_implILb0ES3_S5_NS0_18transform_iteratorINS0_17counting_iteratorImlEEZNS1_24adjacent_difference_implIS3_Lb1ELb0EPKtPtN6thrust23THRUST_200600_302600_NS4plusItEEEE10hipError_tPvRmT2_T3_mT4_P12ihipStream_tbEUlmE_tEESD_NS0_8identityIvEEEESI_SL_SM_mSN_SP_bEUlT_E_NS1_11comp_targetILNS1_3genE10ELNS1_11target_archE1200ELNS1_3gpuE4ELNS1_3repE0EEENS1_30default_config_static_selectorELNS0_4arch9wavefront6targetE1EEEvT1_ ; -- Begin function _ZN7rocprim17ROCPRIM_400000_NS6detail17trampoline_kernelINS0_14default_configENS1_25transform_config_selectorItLb0EEEZNS1_14transform_implILb0ES3_S5_NS0_18transform_iteratorINS0_17counting_iteratorImlEEZNS1_24adjacent_difference_implIS3_Lb1ELb0EPKtPtN6thrust23THRUST_200600_302600_NS4plusItEEEE10hipError_tPvRmT2_T3_mT4_P12ihipStream_tbEUlmE_tEESD_NS0_8identityIvEEEESI_SL_SM_mSN_SP_bEUlT_E_NS1_11comp_targetILNS1_3genE10ELNS1_11target_archE1200ELNS1_3gpuE4ELNS1_3repE0EEENS1_30default_config_static_selectorELNS0_4arch9wavefront6targetE1EEEvT1_
	.globl	_ZN7rocprim17ROCPRIM_400000_NS6detail17trampoline_kernelINS0_14default_configENS1_25transform_config_selectorItLb0EEEZNS1_14transform_implILb0ES3_S5_NS0_18transform_iteratorINS0_17counting_iteratorImlEEZNS1_24adjacent_difference_implIS3_Lb1ELb0EPKtPtN6thrust23THRUST_200600_302600_NS4plusItEEEE10hipError_tPvRmT2_T3_mT4_P12ihipStream_tbEUlmE_tEESD_NS0_8identityIvEEEESI_SL_SM_mSN_SP_bEUlT_E_NS1_11comp_targetILNS1_3genE10ELNS1_11target_archE1200ELNS1_3gpuE4ELNS1_3repE0EEENS1_30default_config_static_selectorELNS0_4arch9wavefront6targetE1EEEvT1_
	.p2align	8
	.type	_ZN7rocprim17ROCPRIM_400000_NS6detail17trampoline_kernelINS0_14default_configENS1_25transform_config_selectorItLb0EEEZNS1_14transform_implILb0ES3_S5_NS0_18transform_iteratorINS0_17counting_iteratorImlEEZNS1_24adjacent_difference_implIS3_Lb1ELb0EPKtPtN6thrust23THRUST_200600_302600_NS4plusItEEEE10hipError_tPvRmT2_T3_mT4_P12ihipStream_tbEUlmE_tEESD_NS0_8identityIvEEEESI_SL_SM_mSN_SP_bEUlT_E_NS1_11comp_targetILNS1_3genE10ELNS1_11target_archE1200ELNS1_3gpuE4ELNS1_3repE0EEENS1_30default_config_static_selectorELNS0_4arch9wavefront6targetE1EEEvT1_,@function
_ZN7rocprim17ROCPRIM_400000_NS6detail17trampoline_kernelINS0_14default_configENS1_25transform_config_selectorItLb0EEEZNS1_14transform_implILb0ES3_S5_NS0_18transform_iteratorINS0_17counting_iteratorImlEEZNS1_24adjacent_difference_implIS3_Lb1ELb0EPKtPtN6thrust23THRUST_200600_302600_NS4plusItEEEE10hipError_tPvRmT2_T3_mT4_P12ihipStream_tbEUlmE_tEESD_NS0_8identityIvEEEESI_SL_SM_mSN_SP_bEUlT_E_NS1_11comp_targetILNS1_3genE10ELNS1_11target_archE1200ELNS1_3gpuE4ELNS1_3repE0EEENS1_30default_config_static_selectorELNS0_4arch9wavefront6targetE1EEEvT1_: ; @_ZN7rocprim17ROCPRIM_400000_NS6detail17trampoline_kernelINS0_14default_configENS1_25transform_config_selectorItLb0EEEZNS1_14transform_implILb0ES3_S5_NS0_18transform_iteratorINS0_17counting_iteratorImlEEZNS1_24adjacent_difference_implIS3_Lb1ELb0EPKtPtN6thrust23THRUST_200600_302600_NS4plusItEEEE10hipError_tPvRmT2_T3_mT4_P12ihipStream_tbEUlmE_tEESD_NS0_8identityIvEEEESI_SL_SM_mSN_SP_bEUlT_E_NS1_11comp_targetILNS1_3genE10ELNS1_11target_archE1200ELNS1_3gpuE4ELNS1_3repE0EEENS1_30default_config_static_selectorELNS0_4arch9wavefront6targetE1EEEvT1_
; %bb.0:
	.section	.rodata,"a",@progbits
	.p2align	6, 0x0
	.amdhsa_kernel _ZN7rocprim17ROCPRIM_400000_NS6detail17trampoline_kernelINS0_14default_configENS1_25transform_config_selectorItLb0EEEZNS1_14transform_implILb0ES3_S5_NS0_18transform_iteratorINS0_17counting_iteratorImlEEZNS1_24adjacent_difference_implIS3_Lb1ELb0EPKtPtN6thrust23THRUST_200600_302600_NS4plusItEEEE10hipError_tPvRmT2_T3_mT4_P12ihipStream_tbEUlmE_tEESD_NS0_8identityIvEEEESI_SL_SM_mSN_SP_bEUlT_E_NS1_11comp_targetILNS1_3genE10ELNS1_11target_archE1200ELNS1_3gpuE4ELNS1_3repE0EEENS1_30default_config_static_selectorELNS0_4arch9wavefront6targetE1EEEvT1_
		.amdhsa_group_segment_fixed_size 0
		.amdhsa_private_segment_fixed_size 0
		.amdhsa_kernarg_size 56
		.amdhsa_user_sgpr_count 2
		.amdhsa_user_sgpr_dispatch_ptr 0
		.amdhsa_user_sgpr_queue_ptr 0
		.amdhsa_user_sgpr_kernarg_segment_ptr 1
		.amdhsa_user_sgpr_dispatch_id 0
		.amdhsa_user_sgpr_kernarg_preload_length 0
		.amdhsa_user_sgpr_kernarg_preload_offset 0
		.amdhsa_user_sgpr_private_segment_size 0
		.amdhsa_uses_dynamic_stack 0
		.amdhsa_enable_private_segment 0
		.amdhsa_system_sgpr_workgroup_id_x 1
		.amdhsa_system_sgpr_workgroup_id_y 0
		.amdhsa_system_sgpr_workgroup_id_z 0
		.amdhsa_system_sgpr_workgroup_info 0
		.amdhsa_system_vgpr_workitem_id 0
		.amdhsa_next_free_vgpr 1
		.amdhsa_next_free_sgpr 0
		.amdhsa_accum_offset 4
		.amdhsa_reserve_vcc 0
		.amdhsa_float_round_mode_32 0
		.amdhsa_float_round_mode_16_64 0
		.amdhsa_float_denorm_mode_32 3
		.amdhsa_float_denorm_mode_16_64 3
		.amdhsa_dx10_clamp 1
		.amdhsa_ieee_mode 1
		.amdhsa_fp16_overflow 0
		.amdhsa_tg_split 0
		.amdhsa_exception_fp_ieee_invalid_op 0
		.amdhsa_exception_fp_denorm_src 0
		.amdhsa_exception_fp_ieee_div_zero 0
		.amdhsa_exception_fp_ieee_overflow 0
		.amdhsa_exception_fp_ieee_underflow 0
		.amdhsa_exception_fp_ieee_inexact 0
		.amdhsa_exception_int_div_zero 0
	.end_amdhsa_kernel
	.section	.text._ZN7rocprim17ROCPRIM_400000_NS6detail17trampoline_kernelINS0_14default_configENS1_25transform_config_selectorItLb0EEEZNS1_14transform_implILb0ES3_S5_NS0_18transform_iteratorINS0_17counting_iteratorImlEEZNS1_24adjacent_difference_implIS3_Lb1ELb0EPKtPtN6thrust23THRUST_200600_302600_NS4plusItEEEE10hipError_tPvRmT2_T3_mT4_P12ihipStream_tbEUlmE_tEESD_NS0_8identityIvEEEESI_SL_SM_mSN_SP_bEUlT_E_NS1_11comp_targetILNS1_3genE10ELNS1_11target_archE1200ELNS1_3gpuE4ELNS1_3repE0EEENS1_30default_config_static_selectorELNS0_4arch9wavefront6targetE1EEEvT1_,"axG",@progbits,_ZN7rocprim17ROCPRIM_400000_NS6detail17trampoline_kernelINS0_14default_configENS1_25transform_config_selectorItLb0EEEZNS1_14transform_implILb0ES3_S5_NS0_18transform_iteratorINS0_17counting_iteratorImlEEZNS1_24adjacent_difference_implIS3_Lb1ELb0EPKtPtN6thrust23THRUST_200600_302600_NS4plusItEEEE10hipError_tPvRmT2_T3_mT4_P12ihipStream_tbEUlmE_tEESD_NS0_8identityIvEEEESI_SL_SM_mSN_SP_bEUlT_E_NS1_11comp_targetILNS1_3genE10ELNS1_11target_archE1200ELNS1_3gpuE4ELNS1_3repE0EEENS1_30default_config_static_selectorELNS0_4arch9wavefront6targetE1EEEvT1_,comdat
.Lfunc_end555:
	.size	_ZN7rocprim17ROCPRIM_400000_NS6detail17trampoline_kernelINS0_14default_configENS1_25transform_config_selectorItLb0EEEZNS1_14transform_implILb0ES3_S5_NS0_18transform_iteratorINS0_17counting_iteratorImlEEZNS1_24adjacent_difference_implIS3_Lb1ELb0EPKtPtN6thrust23THRUST_200600_302600_NS4plusItEEEE10hipError_tPvRmT2_T3_mT4_P12ihipStream_tbEUlmE_tEESD_NS0_8identityIvEEEESI_SL_SM_mSN_SP_bEUlT_E_NS1_11comp_targetILNS1_3genE10ELNS1_11target_archE1200ELNS1_3gpuE4ELNS1_3repE0EEENS1_30default_config_static_selectorELNS0_4arch9wavefront6targetE1EEEvT1_, .Lfunc_end555-_ZN7rocprim17ROCPRIM_400000_NS6detail17trampoline_kernelINS0_14default_configENS1_25transform_config_selectorItLb0EEEZNS1_14transform_implILb0ES3_S5_NS0_18transform_iteratorINS0_17counting_iteratorImlEEZNS1_24adjacent_difference_implIS3_Lb1ELb0EPKtPtN6thrust23THRUST_200600_302600_NS4plusItEEEE10hipError_tPvRmT2_T3_mT4_P12ihipStream_tbEUlmE_tEESD_NS0_8identityIvEEEESI_SL_SM_mSN_SP_bEUlT_E_NS1_11comp_targetILNS1_3genE10ELNS1_11target_archE1200ELNS1_3gpuE4ELNS1_3repE0EEENS1_30default_config_static_selectorELNS0_4arch9wavefront6targetE1EEEvT1_
                                        ; -- End function
	.section	.AMDGPU.csdata,"",@progbits
; Kernel info:
; codeLenInByte = 0
; NumSgprs: 6
; NumVgprs: 0
; NumAgprs: 0
; TotalNumVgprs: 0
; ScratchSize: 0
; MemoryBound: 0
; FloatMode: 240
; IeeeMode: 1
; LDSByteSize: 0 bytes/workgroup (compile time only)
; SGPRBlocks: 0
; VGPRBlocks: 0
; NumSGPRsForWavesPerEU: 6
; NumVGPRsForWavesPerEU: 1
; AccumOffset: 4
; Occupancy: 8
; WaveLimiterHint : 0
; COMPUTE_PGM_RSRC2:SCRATCH_EN: 0
; COMPUTE_PGM_RSRC2:USER_SGPR: 2
; COMPUTE_PGM_RSRC2:TRAP_HANDLER: 0
; COMPUTE_PGM_RSRC2:TGID_X_EN: 1
; COMPUTE_PGM_RSRC2:TGID_Y_EN: 0
; COMPUTE_PGM_RSRC2:TGID_Z_EN: 0
; COMPUTE_PGM_RSRC2:TIDIG_COMP_CNT: 0
; COMPUTE_PGM_RSRC3_GFX90A:ACCUM_OFFSET: 0
; COMPUTE_PGM_RSRC3_GFX90A:TG_SPLIT: 0
	.section	.text._ZN7rocprim17ROCPRIM_400000_NS6detail17trampoline_kernelINS0_14default_configENS1_25transform_config_selectorItLb0EEEZNS1_14transform_implILb0ES3_S5_NS0_18transform_iteratorINS0_17counting_iteratorImlEEZNS1_24adjacent_difference_implIS3_Lb1ELb0EPKtPtN6thrust23THRUST_200600_302600_NS4plusItEEEE10hipError_tPvRmT2_T3_mT4_P12ihipStream_tbEUlmE_tEESD_NS0_8identityIvEEEESI_SL_SM_mSN_SP_bEUlT_E_NS1_11comp_targetILNS1_3genE9ELNS1_11target_archE1100ELNS1_3gpuE3ELNS1_3repE0EEENS1_30default_config_static_selectorELNS0_4arch9wavefront6targetE1EEEvT1_,"axG",@progbits,_ZN7rocprim17ROCPRIM_400000_NS6detail17trampoline_kernelINS0_14default_configENS1_25transform_config_selectorItLb0EEEZNS1_14transform_implILb0ES3_S5_NS0_18transform_iteratorINS0_17counting_iteratorImlEEZNS1_24adjacent_difference_implIS3_Lb1ELb0EPKtPtN6thrust23THRUST_200600_302600_NS4plusItEEEE10hipError_tPvRmT2_T3_mT4_P12ihipStream_tbEUlmE_tEESD_NS0_8identityIvEEEESI_SL_SM_mSN_SP_bEUlT_E_NS1_11comp_targetILNS1_3genE9ELNS1_11target_archE1100ELNS1_3gpuE3ELNS1_3repE0EEENS1_30default_config_static_selectorELNS0_4arch9wavefront6targetE1EEEvT1_,comdat
	.protected	_ZN7rocprim17ROCPRIM_400000_NS6detail17trampoline_kernelINS0_14default_configENS1_25transform_config_selectorItLb0EEEZNS1_14transform_implILb0ES3_S5_NS0_18transform_iteratorINS0_17counting_iteratorImlEEZNS1_24adjacent_difference_implIS3_Lb1ELb0EPKtPtN6thrust23THRUST_200600_302600_NS4plusItEEEE10hipError_tPvRmT2_T3_mT4_P12ihipStream_tbEUlmE_tEESD_NS0_8identityIvEEEESI_SL_SM_mSN_SP_bEUlT_E_NS1_11comp_targetILNS1_3genE9ELNS1_11target_archE1100ELNS1_3gpuE3ELNS1_3repE0EEENS1_30default_config_static_selectorELNS0_4arch9wavefront6targetE1EEEvT1_ ; -- Begin function _ZN7rocprim17ROCPRIM_400000_NS6detail17trampoline_kernelINS0_14default_configENS1_25transform_config_selectorItLb0EEEZNS1_14transform_implILb0ES3_S5_NS0_18transform_iteratorINS0_17counting_iteratorImlEEZNS1_24adjacent_difference_implIS3_Lb1ELb0EPKtPtN6thrust23THRUST_200600_302600_NS4plusItEEEE10hipError_tPvRmT2_T3_mT4_P12ihipStream_tbEUlmE_tEESD_NS0_8identityIvEEEESI_SL_SM_mSN_SP_bEUlT_E_NS1_11comp_targetILNS1_3genE9ELNS1_11target_archE1100ELNS1_3gpuE3ELNS1_3repE0EEENS1_30default_config_static_selectorELNS0_4arch9wavefront6targetE1EEEvT1_
	.globl	_ZN7rocprim17ROCPRIM_400000_NS6detail17trampoline_kernelINS0_14default_configENS1_25transform_config_selectorItLb0EEEZNS1_14transform_implILb0ES3_S5_NS0_18transform_iteratorINS0_17counting_iteratorImlEEZNS1_24adjacent_difference_implIS3_Lb1ELb0EPKtPtN6thrust23THRUST_200600_302600_NS4plusItEEEE10hipError_tPvRmT2_T3_mT4_P12ihipStream_tbEUlmE_tEESD_NS0_8identityIvEEEESI_SL_SM_mSN_SP_bEUlT_E_NS1_11comp_targetILNS1_3genE9ELNS1_11target_archE1100ELNS1_3gpuE3ELNS1_3repE0EEENS1_30default_config_static_selectorELNS0_4arch9wavefront6targetE1EEEvT1_
	.p2align	8
	.type	_ZN7rocprim17ROCPRIM_400000_NS6detail17trampoline_kernelINS0_14default_configENS1_25transform_config_selectorItLb0EEEZNS1_14transform_implILb0ES3_S5_NS0_18transform_iteratorINS0_17counting_iteratorImlEEZNS1_24adjacent_difference_implIS3_Lb1ELb0EPKtPtN6thrust23THRUST_200600_302600_NS4plusItEEEE10hipError_tPvRmT2_T3_mT4_P12ihipStream_tbEUlmE_tEESD_NS0_8identityIvEEEESI_SL_SM_mSN_SP_bEUlT_E_NS1_11comp_targetILNS1_3genE9ELNS1_11target_archE1100ELNS1_3gpuE3ELNS1_3repE0EEENS1_30default_config_static_selectorELNS0_4arch9wavefront6targetE1EEEvT1_,@function
_ZN7rocprim17ROCPRIM_400000_NS6detail17trampoline_kernelINS0_14default_configENS1_25transform_config_selectorItLb0EEEZNS1_14transform_implILb0ES3_S5_NS0_18transform_iteratorINS0_17counting_iteratorImlEEZNS1_24adjacent_difference_implIS3_Lb1ELb0EPKtPtN6thrust23THRUST_200600_302600_NS4plusItEEEE10hipError_tPvRmT2_T3_mT4_P12ihipStream_tbEUlmE_tEESD_NS0_8identityIvEEEESI_SL_SM_mSN_SP_bEUlT_E_NS1_11comp_targetILNS1_3genE9ELNS1_11target_archE1100ELNS1_3gpuE3ELNS1_3repE0EEENS1_30default_config_static_selectorELNS0_4arch9wavefront6targetE1EEEvT1_: ; @_ZN7rocprim17ROCPRIM_400000_NS6detail17trampoline_kernelINS0_14default_configENS1_25transform_config_selectorItLb0EEEZNS1_14transform_implILb0ES3_S5_NS0_18transform_iteratorINS0_17counting_iteratorImlEEZNS1_24adjacent_difference_implIS3_Lb1ELb0EPKtPtN6thrust23THRUST_200600_302600_NS4plusItEEEE10hipError_tPvRmT2_T3_mT4_P12ihipStream_tbEUlmE_tEESD_NS0_8identityIvEEEESI_SL_SM_mSN_SP_bEUlT_E_NS1_11comp_targetILNS1_3genE9ELNS1_11target_archE1100ELNS1_3gpuE3ELNS1_3repE0EEENS1_30default_config_static_selectorELNS0_4arch9wavefront6targetE1EEEvT1_
; %bb.0:
	.section	.rodata,"a",@progbits
	.p2align	6, 0x0
	.amdhsa_kernel _ZN7rocprim17ROCPRIM_400000_NS6detail17trampoline_kernelINS0_14default_configENS1_25transform_config_selectorItLb0EEEZNS1_14transform_implILb0ES3_S5_NS0_18transform_iteratorINS0_17counting_iteratorImlEEZNS1_24adjacent_difference_implIS3_Lb1ELb0EPKtPtN6thrust23THRUST_200600_302600_NS4plusItEEEE10hipError_tPvRmT2_T3_mT4_P12ihipStream_tbEUlmE_tEESD_NS0_8identityIvEEEESI_SL_SM_mSN_SP_bEUlT_E_NS1_11comp_targetILNS1_3genE9ELNS1_11target_archE1100ELNS1_3gpuE3ELNS1_3repE0EEENS1_30default_config_static_selectorELNS0_4arch9wavefront6targetE1EEEvT1_
		.amdhsa_group_segment_fixed_size 0
		.amdhsa_private_segment_fixed_size 0
		.amdhsa_kernarg_size 56
		.amdhsa_user_sgpr_count 2
		.amdhsa_user_sgpr_dispatch_ptr 0
		.amdhsa_user_sgpr_queue_ptr 0
		.amdhsa_user_sgpr_kernarg_segment_ptr 1
		.amdhsa_user_sgpr_dispatch_id 0
		.amdhsa_user_sgpr_kernarg_preload_length 0
		.amdhsa_user_sgpr_kernarg_preload_offset 0
		.amdhsa_user_sgpr_private_segment_size 0
		.amdhsa_uses_dynamic_stack 0
		.amdhsa_enable_private_segment 0
		.amdhsa_system_sgpr_workgroup_id_x 1
		.amdhsa_system_sgpr_workgroup_id_y 0
		.amdhsa_system_sgpr_workgroup_id_z 0
		.amdhsa_system_sgpr_workgroup_info 0
		.amdhsa_system_vgpr_workitem_id 0
		.amdhsa_next_free_vgpr 1
		.amdhsa_next_free_sgpr 0
		.amdhsa_accum_offset 4
		.amdhsa_reserve_vcc 0
		.amdhsa_float_round_mode_32 0
		.amdhsa_float_round_mode_16_64 0
		.amdhsa_float_denorm_mode_32 3
		.amdhsa_float_denorm_mode_16_64 3
		.amdhsa_dx10_clamp 1
		.amdhsa_ieee_mode 1
		.amdhsa_fp16_overflow 0
		.amdhsa_tg_split 0
		.amdhsa_exception_fp_ieee_invalid_op 0
		.amdhsa_exception_fp_denorm_src 0
		.amdhsa_exception_fp_ieee_div_zero 0
		.amdhsa_exception_fp_ieee_overflow 0
		.amdhsa_exception_fp_ieee_underflow 0
		.amdhsa_exception_fp_ieee_inexact 0
		.amdhsa_exception_int_div_zero 0
	.end_amdhsa_kernel
	.section	.text._ZN7rocprim17ROCPRIM_400000_NS6detail17trampoline_kernelINS0_14default_configENS1_25transform_config_selectorItLb0EEEZNS1_14transform_implILb0ES3_S5_NS0_18transform_iteratorINS0_17counting_iteratorImlEEZNS1_24adjacent_difference_implIS3_Lb1ELb0EPKtPtN6thrust23THRUST_200600_302600_NS4plusItEEEE10hipError_tPvRmT2_T3_mT4_P12ihipStream_tbEUlmE_tEESD_NS0_8identityIvEEEESI_SL_SM_mSN_SP_bEUlT_E_NS1_11comp_targetILNS1_3genE9ELNS1_11target_archE1100ELNS1_3gpuE3ELNS1_3repE0EEENS1_30default_config_static_selectorELNS0_4arch9wavefront6targetE1EEEvT1_,"axG",@progbits,_ZN7rocprim17ROCPRIM_400000_NS6detail17trampoline_kernelINS0_14default_configENS1_25transform_config_selectorItLb0EEEZNS1_14transform_implILb0ES3_S5_NS0_18transform_iteratorINS0_17counting_iteratorImlEEZNS1_24adjacent_difference_implIS3_Lb1ELb0EPKtPtN6thrust23THRUST_200600_302600_NS4plusItEEEE10hipError_tPvRmT2_T3_mT4_P12ihipStream_tbEUlmE_tEESD_NS0_8identityIvEEEESI_SL_SM_mSN_SP_bEUlT_E_NS1_11comp_targetILNS1_3genE9ELNS1_11target_archE1100ELNS1_3gpuE3ELNS1_3repE0EEENS1_30default_config_static_selectorELNS0_4arch9wavefront6targetE1EEEvT1_,comdat
.Lfunc_end556:
	.size	_ZN7rocprim17ROCPRIM_400000_NS6detail17trampoline_kernelINS0_14default_configENS1_25transform_config_selectorItLb0EEEZNS1_14transform_implILb0ES3_S5_NS0_18transform_iteratorINS0_17counting_iteratorImlEEZNS1_24adjacent_difference_implIS3_Lb1ELb0EPKtPtN6thrust23THRUST_200600_302600_NS4plusItEEEE10hipError_tPvRmT2_T3_mT4_P12ihipStream_tbEUlmE_tEESD_NS0_8identityIvEEEESI_SL_SM_mSN_SP_bEUlT_E_NS1_11comp_targetILNS1_3genE9ELNS1_11target_archE1100ELNS1_3gpuE3ELNS1_3repE0EEENS1_30default_config_static_selectorELNS0_4arch9wavefront6targetE1EEEvT1_, .Lfunc_end556-_ZN7rocprim17ROCPRIM_400000_NS6detail17trampoline_kernelINS0_14default_configENS1_25transform_config_selectorItLb0EEEZNS1_14transform_implILb0ES3_S5_NS0_18transform_iteratorINS0_17counting_iteratorImlEEZNS1_24adjacent_difference_implIS3_Lb1ELb0EPKtPtN6thrust23THRUST_200600_302600_NS4plusItEEEE10hipError_tPvRmT2_T3_mT4_P12ihipStream_tbEUlmE_tEESD_NS0_8identityIvEEEESI_SL_SM_mSN_SP_bEUlT_E_NS1_11comp_targetILNS1_3genE9ELNS1_11target_archE1100ELNS1_3gpuE3ELNS1_3repE0EEENS1_30default_config_static_selectorELNS0_4arch9wavefront6targetE1EEEvT1_
                                        ; -- End function
	.section	.AMDGPU.csdata,"",@progbits
; Kernel info:
; codeLenInByte = 0
; NumSgprs: 6
; NumVgprs: 0
; NumAgprs: 0
; TotalNumVgprs: 0
; ScratchSize: 0
; MemoryBound: 0
; FloatMode: 240
; IeeeMode: 1
; LDSByteSize: 0 bytes/workgroup (compile time only)
; SGPRBlocks: 0
; VGPRBlocks: 0
; NumSGPRsForWavesPerEU: 6
; NumVGPRsForWavesPerEU: 1
; AccumOffset: 4
; Occupancy: 8
; WaveLimiterHint : 0
; COMPUTE_PGM_RSRC2:SCRATCH_EN: 0
; COMPUTE_PGM_RSRC2:USER_SGPR: 2
; COMPUTE_PGM_RSRC2:TRAP_HANDLER: 0
; COMPUTE_PGM_RSRC2:TGID_X_EN: 1
; COMPUTE_PGM_RSRC2:TGID_Y_EN: 0
; COMPUTE_PGM_RSRC2:TGID_Z_EN: 0
; COMPUTE_PGM_RSRC2:TIDIG_COMP_CNT: 0
; COMPUTE_PGM_RSRC3_GFX90A:ACCUM_OFFSET: 0
; COMPUTE_PGM_RSRC3_GFX90A:TG_SPLIT: 0
	.section	.text._ZN7rocprim17ROCPRIM_400000_NS6detail17trampoline_kernelINS0_14default_configENS1_25transform_config_selectorItLb0EEEZNS1_14transform_implILb0ES3_S5_NS0_18transform_iteratorINS0_17counting_iteratorImlEEZNS1_24adjacent_difference_implIS3_Lb1ELb0EPKtPtN6thrust23THRUST_200600_302600_NS4plusItEEEE10hipError_tPvRmT2_T3_mT4_P12ihipStream_tbEUlmE_tEESD_NS0_8identityIvEEEESI_SL_SM_mSN_SP_bEUlT_E_NS1_11comp_targetILNS1_3genE8ELNS1_11target_archE1030ELNS1_3gpuE2ELNS1_3repE0EEENS1_30default_config_static_selectorELNS0_4arch9wavefront6targetE1EEEvT1_,"axG",@progbits,_ZN7rocprim17ROCPRIM_400000_NS6detail17trampoline_kernelINS0_14default_configENS1_25transform_config_selectorItLb0EEEZNS1_14transform_implILb0ES3_S5_NS0_18transform_iteratorINS0_17counting_iteratorImlEEZNS1_24adjacent_difference_implIS3_Lb1ELb0EPKtPtN6thrust23THRUST_200600_302600_NS4plusItEEEE10hipError_tPvRmT2_T3_mT4_P12ihipStream_tbEUlmE_tEESD_NS0_8identityIvEEEESI_SL_SM_mSN_SP_bEUlT_E_NS1_11comp_targetILNS1_3genE8ELNS1_11target_archE1030ELNS1_3gpuE2ELNS1_3repE0EEENS1_30default_config_static_selectorELNS0_4arch9wavefront6targetE1EEEvT1_,comdat
	.protected	_ZN7rocprim17ROCPRIM_400000_NS6detail17trampoline_kernelINS0_14default_configENS1_25transform_config_selectorItLb0EEEZNS1_14transform_implILb0ES3_S5_NS0_18transform_iteratorINS0_17counting_iteratorImlEEZNS1_24adjacent_difference_implIS3_Lb1ELb0EPKtPtN6thrust23THRUST_200600_302600_NS4plusItEEEE10hipError_tPvRmT2_T3_mT4_P12ihipStream_tbEUlmE_tEESD_NS0_8identityIvEEEESI_SL_SM_mSN_SP_bEUlT_E_NS1_11comp_targetILNS1_3genE8ELNS1_11target_archE1030ELNS1_3gpuE2ELNS1_3repE0EEENS1_30default_config_static_selectorELNS0_4arch9wavefront6targetE1EEEvT1_ ; -- Begin function _ZN7rocprim17ROCPRIM_400000_NS6detail17trampoline_kernelINS0_14default_configENS1_25transform_config_selectorItLb0EEEZNS1_14transform_implILb0ES3_S5_NS0_18transform_iteratorINS0_17counting_iteratorImlEEZNS1_24adjacent_difference_implIS3_Lb1ELb0EPKtPtN6thrust23THRUST_200600_302600_NS4plusItEEEE10hipError_tPvRmT2_T3_mT4_P12ihipStream_tbEUlmE_tEESD_NS0_8identityIvEEEESI_SL_SM_mSN_SP_bEUlT_E_NS1_11comp_targetILNS1_3genE8ELNS1_11target_archE1030ELNS1_3gpuE2ELNS1_3repE0EEENS1_30default_config_static_selectorELNS0_4arch9wavefront6targetE1EEEvT1_
	.globl	_ZN7rocprim17ROCPRIM_400000_NS6detail17trampoline_kernelINS0_14default_configENS1_25transform_config_selectorItLb0EEEZNS1_14transform_implILb0ES3_S5_NS0_18transform_iteratorINS0_17counting_iteratorImlEEZNS1_24adjacent_difference_implIS3_Lb1ELb0EPKtPtN6thrust23THRUST_200600_302600_NS4plusItEEEE10hipError_tPvRmT2_T3_mT4_P12ihipStream_tbEUlmE_tEESD_NS0_8identityIvEEEESI_SL_SM_mSN_SP_bEUlT_E_NS1_11comp_targetILNS1_3genE8ELNS1_11target_archE1030ELNS1_3gpuE2ELNS1_3repE0EEENS1_30default_config_static_selectorELNS0_4arch9wavefront6targetE1EEEvT1_
	.p2align	8
	.type	_ZN7rocprim17ROCPRIM_400000_NS6detail17trampoline_kernelINS0_14default_configENS1_25transform_config_selectorItLb0EEEZNS1_14transform_implILb0ES3_S5_NS0_18transform_iteratorINS0_17counting_iteratorImlEEZNS1_24adjacent_difference_implIS3_Lb1ELb0EPKtPtN6thrust23THRUST_200600_302600_NS4plusItEEEE10hipError_tPvRmT2_T3_mT4_P12ihipStream_tbEUlmE_tEESD_NS0_8identityIvEEEESI_SL_SM_mSN_SP_bEUlT_E_NS1_11comp_targetILNS1_3genE8ELNS1_11target_archE1030ELNS1_3gpuE2ELNS1_3repE0EEENS1_30default_config_static_selectorELNS0_4arch9wavefront6targetE1EEEvT1_,@function
_ZN7rocprim17ROCPRIM_400000_NS6detail17trampoline_kernelINS0_14default_configENS1_25transform_config_selectorItLb0EEEZNS1_14transform_implILb0ES3_S5_NS0_18transform_iteratorINS0_17counting_iteratorImlEEZNS1_24adjacent_difference_implIS3_Lb1ELb0EPKtPtN6thrust23THRUST_200600_302600_NS4plusItEEEE10hipError_tPvRmT2_T3_mT4_P12ihipStream_tbEUlmE_tEESD_NS0_8identityIvEEEESI_SL_SM_mSN_SP_bEUlT_E_NS1_11comp_targetILNS1_3genE8ELNS1_11target_archE1030ELNS1_3gpuE2ELNS1_3repE0EEENS1_30default_config_static_selectorELNS0_4arch9wavefront6targetE1EEEvT1_: ; @_ZN7rocprim17ROCPRIM_400000_NS6detail17trampoline_kernelINS0_14default_configENS1_25transform_config_selectorItLb0EEEZNS1_14transform_implILb0ES3_S5_NS0_18transform_iteratorINS0_17counting_iteratorImlEEZNS1_24adjacent_difference_implIS3_Lb1ELb0EPKtPtN6thrust23THRUST_200600_302600_NS4plusItEEEE10hipError_tPvRmT2_T3_mT4_P12ihipStream_tbEUlmE_tEESD_NS0_8identityIvEEEESI_SL_SM_mSN_SP_bEUlT_E_NS1_11comp_targetILNS1_3genE8ELNS1_11target_archE1030ELNS1_3gpuE2ELNS1_3repE0EEENS1_30default_config_static_selectorELNS0_4arch9wavefront6targetE1EEEvT1_
; %bb.0:
	.section	.rodata,"a",@progbits
	.p2align	6, 0x0
	.amdhsa_kernel _ZN7rocprim17ROCPRIM_400000_NS6detail17trampoline_kernelINS0_14default_configENS1_25transform_config_selectorItLb0EEEZNS1_14transform_implILb0ES3_S5_NS0_18transform_iteratorINS0_17counting_iteratorImlEEZNS1_24adjacent_difference_implIS3_Lb1ELb0EPKtPtN6thrust23THRUST_200600_302600_NS4plusItEEEE10hipError_tPvRmT2_T3_mT4_P12ihipStream_tbEUlmE_tEESD_NS0_8identityIvEEEESI_SL_SM_mSN_SP_bEUlT_E_NS1_11comp_targetILNS1_3genE8ELNS1_11target_archE1030ELNS1_3gpuE2ELNS1_3repE0EEENS1_30default_config_static_selectorELNS0_4arch9wavefront6targetE1EEEvT1_
		.amdhsa_group_segment_fixed_size 0
		.amdhsa_private_segment_fixed_size 0
		.amdhsa_kernarg_size 56
		.amdhsa_user_sgpr_count 2
		.amdhsa_user_sgpr_dispatch_ptr 0
		.amdhsa_user_sgpr_queue_ptr 0
		.amdhsa_user_sgpr_kernarg_segment_ptr 1
		.amdhsa_user_sgpr_dispatch_id 0
		.amdhsa_user_sgpr_kernarg_preload_length 0
		.amdhsa_user_sgpr_kernarg_preload_offset 0
		.amdhsa_user_sgpr_private_segment_size 0
		.amdhsa_uses_dynamic_stack 0
		.amdhsa_enable_private_segment 0
		.amdhsa_system_sgpr_workgroup_id_x 1
		.amdhsa_system_sgpr_workgroup_id_y 0
		.amdhsa_system_sgpr_workgroup_id_z 0
		.amdhsa_system_sgpr_workgroup_info 0
		.amdhsa_system_vgpr_workitem_id 0
		.amdhsa_next_free_vgpr 1
		.amdhsa_next_free_sgpr 0
		.amdhsa_accum_offset 4
		.amdhsa_reserve_vcc 0
		.amdhsa_float_round_mode_32 0
		.amdhsa_float_round_mode_16_64 0
		.amdhsa_float_denorm_mode_32 3
		.amdhsa_float_denorm_mode_16_64 3
		.amdhsa_dx10_clamp 1
		.amdhsa_ieee_mode 1
		.amdhsa_fp16_overflow 0
		.amdhsa_tg_split 0
		.amdhsa_exception_fp_ieee_invalid_op 0
		.amdhsa_exception_fp_denorm_src 0
		.amdhsa_exception_fp_ieee_div_zero 0
		.amdhsa_exception_fp_ieee_overflow 0
		.amdhsa_exception_fp_ieee_underflow 0
		.amdhsa_exception_fp_ieee_inexact 0
		.amdhsa_exception_int_div_zero 0
	.end_amdhsa_kernel
	.section	.text._ZN7rocprim17ROCPRIM_400000_NS6detail17trampoline_kernelINS0_14default_configENS1_25transform_config_selectorItLb0EEEZNS1_14transform_implILb0ES3_S5_NS0_18transform_iteratorINS0_17counting_iteratorImlEEZNS1_24adjacent_difference_implIS3_Lb1ELb0EPKtPtN6thrust23THRUST_200600_302600_NS4plusItEEEE10hipError_tPvRmT2_T3_mT4_P12ihipStream_tbEUlmE_tEESD_NS0_8identityIvEEEESI_SL_SM_mSN_SP_bEUlT_E_NS1_11comp_targetILNS1_3genE8ELNS1_11target_archE1030ELNS1_3gpuE2ELNS1_3repE0EEENS1_30default_config_static_selectorELNS0_4arch9wavefront6targetE1EEEvT1_,"axG",@progbits,_ZN7rocprim17ROCPRIM_400000_NS6detail17trampoline_kernelINS0_14default_configENS1_25transform_config_selectorItLb0EEEZNS1_14transform_implILb0ES3_S5_NS0_18transform_iteratorINS0_17counting_iteratorImlEEZNS1_24adjacent_difference_implIS3_Lb1ELb0EPKtPtN6thrust23THRUST_200600_302600_NS4plusItEEEE10hipError_tPvRmT2_T3_mT4_P12ihipStream_tbEUlmE_tEESD_NS0_8identityIvEEEESI_SL_SM_mSN_SP_bEUlT_E_NS1_11comp_targetILNS1_3genE8ELNS1_11target_archE1030ELNS1_3gpuE2ELNS1_3repE0EEENS1_30default_config_static_selectorELNS0_4arch9wavefront6targetE1EEEvT1_,comdat
.Lfunc_end557:
	.size	_ZN7rocprim17ROCPRIM_400000_NS6detail17trampoline_kernelINS0_14default_configENS1_25transform_config_selectorItLb0EEEZNS1_14transform_implILb0ES3_S5_NS0_18transform_iteratorINS0_17counting_iteratorImlEEZNS1_24adjacent_difference_implIS3_Lb1ELb0EPKtPtN6thrust23THRUST_200600_302600_NS4plusItEEEE10hipError_tPvRmT2_T3_mT4_P12ihipStream_tbEUlmE_tEESD_NS0_8identityIvEEEESI_SL_SM_mSN_SP_bEUlT_E_NS1_11comp_targetILNS1_3genE8ELNS1_11target_archE1030ELNS1_3gpuE2ELNS1_3repE0EEENS1_30default_config_static_selectorELNS0_4arch9wavefront6targetE1EEEvT1_, .Lfunc_end557-_ZN7rocprim17ROCPRIM_400000_NS6detail17trampoline_kernelINS0_14default_configENS1_25transform_config_selectorItLb0EEEZNS1_14transform_implILb0ES3_S5_NS0_18transform_iteratorINS0_17counting_iteratorImlEEZNS1_24adjacent_difference_implIS3_Lb1ELb0EPKtPtN6thrust23THRUST_200600_302600_NS4plusItEEEE10hipError_tPvRmT2_T3_mT4_P12ihipStream_tbEUlmE_tEESD_NS0_8identityIvEEEESI_SL_SM_mSN_SP_bEUlT_E_NS1_11comp_targetILNS1_3genE8ELNS1_11target_archE1030ELNS1_3gpuE2ELNS1_3repE0EEENS1_30default_config_static_selectorELNS0_4arch9wavefront6targetE1EEEvT1_
                                        ; -- End function
	.section	.AMDGPU.csdata,"",@progbits
; Kernel info:
; codeLenInByte = 0
; NumSgprs: 6
; NumVgprs: 0
; NumAgprs: 0
; TotalNumVgprs: 0
; ScratchSize: 0
; MemoryBound: 0
; FloatMode: 240
; IeeeMode: 1
; LDSByteSize: 0 bytes/workgroup (compile time only)
; SGPRBlocks: 0
; VGPRBlocks: 0
; NumSGPRsForWavesPerEU: 6
; NumVGPRsForWavesPerEU: 1
; AccumOffset: 4
; Occupancy: 8
; WaveLimiterHint : 0
; COMPUTE_PGM_RSRC2:SCRATCH_EN: 0
; COMPUTE_PGM_RSRC2:USER_SGPR: 2
; COMPUTE_PGM_RSRC2:TRAP_HANDLER: 0
; COMPUTE_PGM_RSRC2:TGID_X_EN: 1
; COMPUTE_PGM_RSRC2:TGID_Y_EN: 0
; COMPUTE_PGM_RSRC2:TGID_Z_EN: 0
; COMPUTE_PGM_RSRC2:TIDIG_COMP_CNT: 0
; COMPUTE_PGM_RSRC3_GFX90A:ACCUM_OFFSET: 0
; COMPUTE_PGM_RSRC3_GFX90A:TG_SPLIT: 0
	.section	.text._ZN7rocprim17ROCPRIM_400000_NS6detail17trampoline_kernelINS0_14default_configENS1_35adjacent_difference_config_selectorILb1EtEEZNS1_24adjacent_difference_implIS3_Lb1ELb0EPKtPtN6thrust23THRUST_200600_302600_NS4plusItEEEE10hipError_tPvRmT2_T3_mT4_P12ihipStream_tbEUlT_E_NS1_11comp_targetILNS1_3genE0ELNS1_11target_archE4294967295ELNS1_3gpuE0ELNS1_3repE0EEENS1_30default_config_static_selectorELNS0_4arch9wavefront6targetE1EEEvT1_,"axG",@progbits,_ZN7rocprim17ROCPRIM_400000_NS6detail17trampoline_kernelINS0_14default_configENS1_35adjacent_difference_config_selectorILb1EtEEZNS1_24adjacent_difference_implIS3_Lb1ELb0EPKtPtN6thrust23THRUST_200600_302600_NS4plusItEEEE10hipError_tPvRmT2_T3_mT4_P12ihipStream_tbEUlT_E_NS1_11comp_targetILNS1_3genE0ELNS1_11target_archE4294967295ELNS1_3gpuE0ELNS1_3repE0EEENS1_30default_config_static_selectorELNS0_4arch9wavefront6targetE1EEEvT1_,comdat
	.protected	_ZN7rocprim17ROCPRIM_400000_NS6detail17trampoline_kernelINS0_14default_configENS1_35adjacent_difference_config_selectorILb1EtEEZNS1_24adjacent_difference_implIS3_Lb1ELb0EPKtPtN6thrust23THRUST_200600_302600_NS4plusItEEEE10hipError_tPvRmT2_T3_mT4_P12ihipStream_tbEUlT_E_NS1_11comp_targetILNS1_3genE0ELNS1_11target_archE4294967295ELNS1_3gpuE0ELNS1_3repE0EEENS1_30default_config_static_selectorELNS0_4arch9wavefront6targetE1EEEvT1_ ; -- Begin function _ZN7rocprim17ROCPRIM_400000_NS6detail17trampoline_kernelINS0_14default_configENS1_35adjacent_difference_config_selectorILb1EtEEZNS1_24adjacent_difference_implIS3_Lb1ELb0EPKtPtN6thrust23THRUST_200600_302600_NS4plusItEEEE10hipError_tPvRmT2_T3_mT4_P12ihipStream_tbEUlT_E_NS1_11comp_targetILNS1_3genE0ELNS1_11target_archE4294967295ELNS1_3gpuE0ELNS1_3repE0EEENS1_30default_config_static_selectorELNS0_4arch9wavefront6targetE1EEEvT1_
	.globl	_ZN7rocprim17ROCPRIM_400000_NS6detail17trampoline_kernelINS0_14default_configENS1_35adjacent_difference_config_selectorILb1EtEEZNS1_24adjacent_difference_implIS3_Lb1ELb0EPKtPtN6thrust23THRUST_200600_302600_NS4plusItEEEE10hipError_tPvRmT2_T3_mT4_P12ihipStream_tbEUlT_E_NS1_11comp_targetILNS1_3genE0ELNS1_11target_archE4294967295ELNS1_3gpuE0ELNS1_3repE0EEENS1_30default_config_static_selectorELNS0_4arch9wavefront6targetE1EEEvT1_
	.p2align	8
	.type	_ZN7rocprim17ROCPRIM_400000_NS6detail17trampoline_kernelINS0_14default_configENS1_35adjacent_difference_config_selectorILb1EtEEZNS1_24adjacent_difference_implIS3_Lb1ELb0EPKtPtN6thrust23THRUST_200600_302600_NS4plusItEEEE10hipError_tPvRmT2_T3_mT4_P12ihipStream_tbEUlT_E_NS1_11comp_targetILNS1_3genE0ELNS1_11target_archE4294967295ELNS1_3gpuE0ELNS1_3repE0EEENS1_30default_config_static_selectorELNS0_4arch9wavefront6targetE1EEEvT1_,@function
_ZN7rocprim17ROCPRIM_400000_NS6detail17trampoline_kernelINS0_14default_configENS1_35adjacent_difference_config_selectorILb1EtEEZNS1_24adjacent_difference_implIS3_Lb1ELb0EPKtPtN6thrust23THRUST_200600_302600_NS4plusItEEEE10hipError_tPvRmT2_T3_mT4_P12ihipStream_tbEUlT_E_NS1_11comp_targetILNS1_3genE0ELNS1_11target_archE4294967295ELNS1_3gpuE0ELNS1_3repE0EEENS1_30default_config_static_selectorELNS0_4arch9wavefront6targetE1EEEvT1_: ; @_ZN7rocprim17ROCPRIM_400000_NS6detail17trampoline_kernelINS0_14default_configENS1_35adjacent_difference_config_selectorILb1EtEEZNS1_24adjacent_difference_implIS3_Lb1ELb0EPKtPtN6thrust23THRUST_200600_302600_NS4plusItEEEE10hipError_tPvRmT2_T3_mT4_P12ihipStream_tbEUlT_E_NS1_11comp_targetILNS1_3genE0ELNS1_11target_archE4294967295ELNS1_3gpuE0ELNS1_3repE0EEENS1_30default_config_static_selectorELNS0_4arch9wavefront6targetE1EEEvT1_
; %bb.0:
	.section	.rodata,"a",@progbits
	.p2align	6, 0x0
	.amdhsa_kernel _ZN7rocprim17ROCPRIM_400000_NS6detail17trampoline_kernelINS0_14default_configENS1_35adjacent_difference_config_selectorILb1EtEEZNS1_24adjacent_difference_implIS3_Lb1ELb0EPKtPtN6thrust23THRUST_200600_302600_NS4plusItEEEE10hipError_tPvRmT2_T3_mT4_P12ihipStream_tbEUlT_E_NS1_11comp_targetILNS1_3genE0ELNS1_11target_archE4294967295ELNS1_3gpuE0ELNS1_3repE0EEENS1_30default_config_static_selectorELNS0_4arch9wavefront6targetE1EEEvT1_
		.amdhsa_group_segment_fixed_size 0
		.amdhsa_private_segment_fixed_size 0
		.amdhsa_kernarg_size 56
		.amdhsa_user_sgpr_count 2
		.amdhsa_user_sgpr_dispatch_ptr 0
		.amdhsa_user_sgpr_queue_ptr 0
		.amdhsa_user_sgpr_kernarg_segment_ptr 1
		.amdhsa_user_sgpr_dispatch_id 0
		.amdhsa_user_sgpr_kernarg_preload_length 0
		.amdhsa_user_sgpr_kernarg_preload_offset 0
		.amdhsa_user_sgpr_private_segment_size 0
		.amdhsa_uses_dynamic_stack 0
		.amdhsa_enable_private_segment 0
		.amdhsa_system_sgpr_workgroup_id_x 1
		.amdhsa_system_sgpr_workgroup_id_y 0
		.amdhsa_system_sgpr_workgroup_id_z 0
		.amdhsa_system_sgpr_workgroup_info 0
		.amdhsa_system_vgpr_workitem_id 0
		.amdhsa_next_free_vgpr 1
		.amdhsa_next_free_sgpr 0
		.amdhsa_accum_offset 4
		.amdhsa_reserve_vcc 0
		.amdhsa_float_round_mode_32 0
		.amdhsa_float_round_mode_16_64 0
		.amdhsa_float_denorm_mode_32 3
		.amdhsa_float_denorm_mode_16_64 3
		.amdhsa_dx10_clamp 1
		.amdhsa_ieee_mode 1
		.amdhsa_fp16_overflow 0
		.amdhsa_tg_split 0
		.amdhsa_exception_fp_ieee_invalid_op 0
		.amdhsa_exception_fp_denorm_src 0
		.amdhsa_exception_fp_ieee_div_zero 0
		.amdhsa_exception_fp_ieee_overflow 0
		.amdhsa_exception_fp_ieee_underflow 0
		.amdhsa_exception_fp_ieee_inexact 0
		.amdhsa_exception_int_div_zero 0
	.end_amdhsa_kernel
	.section	.text._ZN7rocprim17ROCPRIM_400000_NS6detail17trampoline_kernelINS0_14default_configENS1_35adjacent_difference_config_selectorILb1EtEEZNS1_24adjacent_difference_implIS3_Lb1ELb0EPKtPtN6thrust23THRUST_200600_302600_NS4plusItEEEE10hipError_tPvRmT2_T3_mT4_P12ihipStream_tbEUlT_E_NS1_11comp_targetILNS1_3genE0ELNS1_11target_archE4294967295ELNS1_3gpuE0ELNS1_3repE0EEENS1_30default_config_static_selectorELNS0_4arch9wavefront6targetE1EEEvT1_,"axG",@progbits,_ZN7rocprim17ROCPRIM_400000_NS6detail17trampoline_kernelINS0_14default_configENS1_35adjacent_difference_config_selectorILb1EtEEZNS1_24adjacent_difference_implIS3_Lb1ELb0EPKtPtN6thrust23THRUST_200600_302600_NS4plusItEEEE10hipError_tPvRmT2_T3_mT4_P12ihipStream_tbEUlT_E_NS1_11comp_targetILNS1_3genE0ELNS1_11target_archE4294967295ELNS1_3gpuE0ELNS1_3repE0EEENS1_30default_config_static_selectorELNS0_4arch9wavefront6targetE1EEEvT1_,comdat
.Lfunc_end558:
	.size	_ZN7rocprim17ROCPRIM_400000_NS6detail17trampoline_kernelINS0_14default_configENS1_35adjacent_difference_config_selectorILb1EtEEZNS1_24adjacent_difference_implIS3_Lb1ELb0EPKtPtN6thrust23THRUST_200600_302600_NS4plusItEEEE10hipError_tPvRmT2_T3_mT4_P12ihipStream_tbEUlT_E_NS1_11comp_targetILNS1_3genE0ELNS1_11target_archE4294967295ELNS1_3gpuE0ELNS1_3repE0EEENS1_30default_config_static_selectorELNS0_4arch9wavefront6targetE1EEEvT1_, .Lfunc_end558-_ZN7rocprim17ROCPRIM_400000_NS6detail17trampoline_kernelINS0_14default_configENS1_35adjacent_difference_config_selectorILb1EtEEZNS1_24adjacent_difference_implIS3_Lb1ELb0EPKtPtN6thrust23THRUST_200600_302600_NS4plusItEEEE10hipError_tPvRmT2_T3_mT4_P12ihipStream_tbEUlT_E_NS1_11comp_targetILNS1_3genE0ELNS1_11target_archE4294967295ELNS1_3gpuE0ELNS1_3repE0EEENS1_30default_config_static_selectorELNS0_4arch9wavefront6targetE1EEEvT1_
                                        ; -- End function
	.section	.AMDGPU.csdata,"",@progbits
; Kernel info:
; codeLenInByte = 0
; NumSgprs: 6
; NumVgprs: 0
; NumAgprs: 0
; TotalNumVgprs: 0
; ScratchSize: 0
; MemoryBound: 0
; FloatMode: 240
; IeeeMode: 1
; LDSByteSize: 0 bytes/workgroup (compile time only)
; SGPRBlocks: 0
; VGPRBlocks: 0
; NumSGPRsForWavesPerEU: 6
; NumVGPRsForWavesPerEU: 1
; AccumOffset: 4
; Occupancy: 8
; WaveLimiterHint : 0
; COMPUTE_PGM_RSRC2:SCRATCH_EN: 0
; COMPUTE_PGM_RSRC2:USER_SGPR: 2
; COMPUTE_PGM_RSRC2:TRAP_HANDLER: 0
; COMPUTE_PGM_RSRC2:TGID_X_EN: 1
; COMPUTE_PGM_RSRC2:TGID_Y_EN: 0
; COMPUTE_PGM_RSRC2:TGID_Z_EN: 0
; COMPUTE_PGM_RSRC2:TIDIG_COMP_CNT: 0
; COMPUTE_PGM_RSRC3_GFX90A:ACCUM_OFFSET: 0
; COMPUTE_PGM_RSRC3_GFX90A:TG_SPLIT: 0
	.section	.text._ZN7rocprim17ROCPRIM_400000_NS6detail17trampoline_kernelINS0_14default_configENS1_35adjacent_difference_config_selectorILb1EtEEZNS1_24adjacent_difference_implIS3_Lb1ELb0EPKtPtN6thrust23THRUST_200600_302600_NS4plusItEEEE10hipError_tPvRmT2_T3_mT4_P12ihipStream_tbEUlT_E_NS1_11comp_targetILNS1_3genE10ELNS1_11target_archE1201ELNS1_3gpuE5ELNS1_3repE0EEENS1_30default_config_static_selectorELNS0_4arch9wavefront6targetE1EEEvT1_,"axG",@progbits,_ZN7rocprim17ROCPRIM_400000_NS6detail17trampoline_kernelINS0_14default_configENS1_35adjacent_difference_config_selectorILb1EtEEZNS1_24adjacent_difference_implIS3_Lb1ELb0EPKtPtN6thrust23THRUST_200600_302600_NS4plusItEEEE10hipError_tPvRmT2_T3_mT4_P12ihipStream_tbEUlT_E_NS1_11comp_targetILNS1_3genE10ELNS1_11target_archE1201ELNS1_3gpuE5ELNS1_3repE0EEENS1_30default_config_static_selectorELNS0_4arch9wavefront6targetE1EEEvT1_,comdat
	.protected	_ZN7rocprim17ROCPRIM_400000_NS6detail17trampoline_kernelINS0_14default_configENS1_35adjacent_difference_config_selectorILb1EtEEZNS1_24adjacent_difference_implIS3_Lb1ELb0EPKtPtN6thrust23THRUST_200600_302600_NS4plusItEEEE10hipError_tPvRmT2_T3_mT4_P12ihipStream_tbEUlT_E_NS1_11comp_targetILNS1_3genE10ELNS1_11target_archE1201ELNS1_3gpuE5ELNS1_3repE0EEENS1_30default_config_static_selectorELNS0_4arch9wavefront6targetE1EEEvT1_ ; -- Begin function _ZN7rocprim17ROCPRIM_400000_NS6detail17trampoline_kernelINS0_14default_configENS1_35adjacent_difference_config_selectorILb1EtEEZNS1_24adjacent_difference_implIS3_Lb1ELb0EPKtPtN6thrust23THRUST_200600_302600_NS4plusItEEEE10hipError_tPvRmT2_T3_mT4_P12ihipStream_tbEUlT_E_NS1_11comp_targetILNS1_3genE10ELNS1_11target_archE1201ELNS1_3gpuE5ELNS1_3repE0EEENS1_30default_config_static_selectorELNS0_4arch9wavefront6targetE1EEEvT1_
	.globl	_ZN7rocprim17ROCPRIM_400000_NS6detail17trampoline_kernelINS0_14default_configENS1_35adjacent_difference_config_selectorILb1EtEEZNS1_24adjacent_difference_implIS3_Lb1ELb0EPKtPtN6thrust23THRUST_200600_302600_NS4plusItEEEE10hipError_tPvRmT2_T3_mT4_P12ihipStream_tbEUlT_E_NS1_11comp_targetILNS1_3genE10ELNS1_11target_archE1201ELNS1_3gpuE5ELNS1_3repE0EEENS1_30default_config_static_selectorELNS0_4arch9wavefront6targetE1EEEvT1_
	.p2align	8
	.type	_ZN7rocprim17ROCPRIM_400000_NS6detail17trampoline_kernelINS0_14default_configENS1_35adjacent_difference_config_selectorILb1EtEEZNS1_24adjacent_difference_implIS3_Lb1ELb0EPKtPtN6thrust23THRUST_200600_302600_NS4plusItEEEE10hipError_tPvRmT2_T3_mT4_P12ihipStream_tbEUlT_E_NS1_11comp_targetILNS1_3genE10ELNS1_11target_archE1201ELNS1_3gpuE5ELNS1_3repE0EEENS1_30default_config_static_selectorELNS0_4arch9wavefront6targetE1EEEvT1_,@function
_ZN7rocprim17ROCPRIM_400000_NS6detail17trampoline_kernelINS0_14default_configENS1_35adjacent_difference_config_selectorILb1EtEEZNS1_24adjacent_difference_implIS3_Lb1ELb0EPKtPtN6thrust23THRUST_200600_302600_NS4plusItEEEE10hipError_tPvRmT2_T3_mT4_P12ihipStream_tbEUlT_E_NS1_11comp_targetILNS1_3genE10ELNS1_11target_archE1201ELNS1_3gpuE5ELNS1_3repE0EEENS1_30default_config_static_selectorELNS0_4arch9wavefront6targetE1EEEvT1_: ; @_ZN7rocprim17ROCPRIM_400000_NS6detail17trampoline_kernelINS0_14default_configENS1_35adjacent_difference_config_selectorILb1EtEEZNS1_24adjacent_difference_implIS3_Lb1ELb0EPKtPtN6thrust23THRUST_200600_302600_NS4plusItEEEE10hipError_tPvRmT2_T3_mT4_P12ihipStream_tbEUlT_E_NS1_11comp_targetILNS1_3genE10ELNS1_11target_archE1201ELNS1_3gpuE5ELNS1_3repE0EEENS1_30default_config_static_selectorELNS0_4arch9wavefront6targetE1EEEvT1_
; %bb.0:
	.section	.rodata,"a",@progbits
	.p2align	6, 0x0
	.amdhsa_kernel _ZN7rocprim17ROCPRIM_400000_NS6detail17trampoline_kernelINS0_14default_configENS1_35adjacent_difference_config_selectorILb1EtEEZNS1_24adjacent_difference_implIS3_Lb1ELb0EPKtPtN6thrust23THRUST_200600_302600_NS4plusItEEEE10hipError_tPvRmT2_T3_mT4_P12ihipStream_tbEUlT_E_NS1_11comp_targetILNS1_3genE10ELNS1_11target_archE1201ELNS1_3gpuE5ELNS1_3repE0EEENS1_30default_config_static_selectorELNS0_4arch9wavefront6targetE1EEEvT1_
		.amdhsa_group_segment_fixed_size 0
		.amdhsa_private_segment_fixed_size 0
		.amdhsa_kernarg_size 56
		.amdhsa_user_sgpr_count 2
		.amdhsa_user_sgpr_dispatch_ptr 0
		.amdhsa_user_sgpr_queue_ptr 0
		.amdhsa_user_sgpr_kernarg_segment_ptr 1
		.amdhsa_user_sgpr_dispatch_id 0
		.amdhsa_user_sgpr_kernarg_preload_length 0
		.amdhsa_user_sgpr_kernarg_preload_offset 0
		.amdhsa_user_sgpr_private_segment_size 0
		.amdhsa_uses_dynamic_stack 0
		.amdhsa_enable_private_segment 0
		.amdhsa_system_sgpr_workgroup_id_x 1
		.amdhsa_system_sgpr_workgroup_id_y 0
		.amdhsa_system_sgpr_workgroup_id_z 0
		.amdhsa_system_sgpr_workgroup_info 0
		.amdhsa_system_vgpr_workitem_id 0
		.amdhsa_next_free_vgpr 1
		.amdhsa_next_free_sgpr 0
		.amdhsa_accum_offset 4
		.amdhsa_reserve_vcc 0
		.amdhsa_float_round_mode_32 0
		.amdhsa_float_round_mode_16_64 0
		.amdhsa_float_denorm_mode_32 3
		.amdhsa_float_denorm_mode_16_64 3
		.amdhsa_dx10_clamp 1
		.amdhsa_ieee_mode 1
		.amdhsa_fp16_overflow 0
		.amdhsa_tg_split 0
		.amdhsa_exception_fp_ieee_invalid_op 0
		.amdhsa_exception_fp_denorm_src 0
		.amdhsa_exception_fp_ieee_div_zero 0
		.amdhsa_exception_fp_ieee_overflow 0
		.amdhsa_exception_fp_ieee_underflow 0
		.amdhsa_exception_fp_ieee_inexact 0
		.amdhsa_exception_int_div_zero 0
	.end_amdhsa_kernel
	.section	.text._ZN7rocprim17ROCPRIM_400000_NS6detail17trampoline_kernelINS0_14default_configENS1_35adjacent_difference_config_selectorILb1EtEEZNS1_24adjacent_difference_implIS3_Lb1ELb0EPKtPtN6thrust23THRUST_200600_302600_NS4plusItEEEE10hipError_tPvRmT2_T3_mT4_P12ihipStream_tbEUlT_E_NS1_11comp_targetILNS1_3genE10ELNS1_11target_archE1201ELNS1_3gpuE5ELNS1_3repE0EEENS1_30default_config_static_selectorELNS0_4arch9wavefront6targetE1EEEvT1_,"axG",@progbits,_ZN7rocprim17ROCPRIM_400000_NS6detail17trampoline_kernelINS0_14default_configENS1_35adjacent_difference_config_selectorILb1EtEEZNS1_24adjacent_difference_implIS3_Lb1ELb0EPKtPtN6thrust23THRUST_200600_302600_NS4plusItEEEE10hipError_tPvRmT2_T3_mT4_P12ihipStream_tbEUlT_E_NS1_11comp_targetILNS1_3genE10ELNS1_11target_archE1201ELNS1_3gpuE5ELNS1_3repE0EEENS1_30default_config_static_selectorELNS0_4arch9wavefront6targetE1EEEvT1_,comdat
.Lfunc_end559:
	.size	_ZN7rocprim17ROCPRIM_400000_NS6detail17trampoline_kernelINS0_14default_configENS1_35adjacent_difference_config_selectorILb1EtEEZNS1_24adjacent_difference_implIS3_Lb1ELb0EPKtPtN6thrust23THRUST_200600_302600_NS4plusItEEEE10hipError_tPvRmT2_T3_mT4_P12ihipStream_tbEUlT_E_NS1_11comp_targetILNS1_3genE10ELNS1_11target_archE1201ELNS1_3gpuE5ELNS1_3repE0EEENS1_30default_config_static_selectorELNS0_4arch9wavefront6targetE1EEEvT1_, .Lfunc_end559-_ZN7rocprim17ROCPRIM_400000_NS6detail17trampoline_kernelINS0_14default_configENS1_35adjacent_difference_config_selectorILb1EtEEZNS1_24adjacent_difference_implIS3_Lb1ELb0EPKtPtN6thrust23THRUST_200600_302600_NS4plusItEEEE10hipError_tPvRmT2_T3_mT4_P12ihipStream_tbEUlT_E_NS1_11comp_targetILNS1_3genE10ELNS1_11target_archE1201ELNS1_3gpuE5ELNS1_3repE0EEENS1_30default_config_static_selectorELNS0_4arch9wavefront6targetE1EEEvT1_
                                        ; -- End function
	.section	.AMDGPU.csdata,"",@progbits
; Kernel info:
; codeLenInByte = 0
; NumSgprs: 6
; NumVgprs: 0
; NumAgprs: 0
; TotalNumVgprs: 0
; ScratchSize: 0
; MemoryBound: 0
; FloatMode: 240
; IeeeMode: 1
; LDSByteSize: 0 bytes/workgroup (compile time only)
; SGPRBlocks: 0
; VGPRBlocks: 0
; NumSGPRsForWavesPerEU: 6
; NumVGPRsForWavesPerEU: 1
; AccumOffset: 4
; Occupancy: 8
; WaveLimiterHint : 0
; COMPUTE_PGM_RSRC2:SCRATCH_EN: 0
; COMPUTE_PGM_RSRC2:USER_SGPR: 2
; COMPUTE_PGM_RSRC2:TRAP_HANDLER: 0
; COMPUTE_PGM_RSRC2:TGID_X_EN: 1
; COMPUTE_PGM_RSRC2:TGID_Y_EN: 0
; COMPUTE_PGM_RSRC2:TGID_Z_EN: 0
; COMPUTE_PGM_RSRC2:TIDIG_COMP_CNT: 0
; COMPUTE_PGM_RSRC3_GFX90A:ACCUM_OFFSET: 0
; COMPUTE_PGM_RSRC3_GFX90A:TG_SPLIT: 0
	.section	.text._ZN7rocprim17ROCPRIM_400000_NS6detail17trampoline_kernelINS0_14default_configENS1_35adjacent_difference_config_selectorILb1EtEEZNS1_24adjacent_difference_implIS3_Lb1ELb0EPKtPtN6thrust23THRUST_200600_302600_NS4plusItEEEE10hipError_tPvRmT2_T3_mT4_P12ihipStream_tbEUlT_E_NS1_11comp_targetILNS1_3genE5ELNS1_11target_archE942ELNS1_3gpuE9ELNS1_3repE0EEENS1_30default_config_static_selectorELNS0_4arch9wavefront6targetE1EEEvT1_,"axG",@progbits,_ZN7rocprim17ROCPRIM_400000_NS6detail17trampoline_kernelINS0_14default_configENS1_35adjacent_difference_config_selectorILb1EtEEZNS1_24adjacent_difference_implIS3_Lb1ELb0EPKtPtN6thrust23THRUST_200600_302600_NS4plusItEEEE10hipError_tPvRmT2_T3_mT4_P12ihipStream_tbEUlT_E_NS1_11comp_targetILNS1_3genE5ELNS1_11target_archE942ELNS1_3gpuE9ELNS1_3repE0EEENS1_30default_config_static_selectorELNS0_4arch9wavefront6targetE1EEEvT1_,comdat
	.protected	_ZN7rocprim17ROCPRIM_400000_NS6detail17trampoline_kernelINS0_14default_configENS1_35adjacent_difference_config_selectorILb1EtEEZNS1_24adjacent_difference_implIS3_Lb1ELb0EPKtPtN6thrust23THRUST_200600_302600_NS4plusItEEEE10hipError_tPvRmT2_T3_mT4_P12ihipStream_tbEUlT_E_NS1_11comp_targetILNS1_3genE5ELNS1_11target_archE942ELNS1_3gpuE9ELNS1_3repE0EEENS1_30default_config_static_selectorELNS0_4arch9wavefront6targetE1EEEvT1_ ; -- Begin function _ZN7rocprim17ROCPRIM_400000_NS6detail17trampoline_kernelINS0_14default_configENS1_35adjacent_difference_config_selectorILb1EtEEZNS1_24adjacent_difference_implIS3_Lb1ELb0EPKtPtN6thrust23THRUST_200600_302600_NS4plusItEEEE10hipError_tPvRmT2_T3_mT4_P12ihipStream_tbEUlT_E_NS1_11comp_targetILNS1_3genE5ELNS1_11target_archE942ELNS1_3gpuE9ELNS1_3repE0EEENS1_30default_config_static_selectorELNS0_4arch9wavefront6targetE1EEEvT1_
	.globl	_ZN7rocprim17ROCPRIM_400000_NS6detail17trampoline_kernelINS0_14default_configENS1_35adjacent_difference_config_selectorILb1EtEEZNS1_24adjacent_difference_implIS3_Lb1ELb0EPKtPtN6thrust23THRUST_200600_302600_NS4plusItEEEE10hipError_tPvRmT2_T3_mT4_P12ihipStream_tbEUlT_E_NS1_11comp_targetILNS1_3genE5ELNS1_11target_archE942ELNS1_3gpuE9ELNS1_3repE0EEENS1_30default_config_static_selectorELNS0_4arch9wavefront6targetE1EEEvT1_
	.p2align	8
	.type	_ZN7rocprim17ROCPRIM_400000_NS6detail17trampoline_kernelINS0_14default_configENS1_35adjacent_difference_config_selectorILb1EtEEZNS1_24adjacent_difference_implIS3_Lb1ELb0EPKtPtN6thrust23THRUST_200600_302600_NS4plusItEEEE10hipError_tPvRmT2_T3_mT4_P12ihipStream_tbEUlT_E_NS1_11comp_targetILNS1_3genE5ELNS1_11target_archE942ELNS1_3gpuE9ELNS1_3repE0EEENS1_30default_config_static_selectorELNS0_4arch9wavefront6targetE1EEEvT1_,@function
_ZN7rocprim17ROCPRIM_400000_NS6detail17trampoline_kernelINS0_14default_configENS1_35adjacent_difference_config_selectorILb1EtEEZNS1_24adjacent_difference_implIS3_Lb1ELb0EPKtPtN6thrust23THRUST_200600_302600_NS4plusItEEEE10hipError_tPvRmT2_T3_mT4_P12ihipStream_tbEUlT_E_NS1_11comp_targetILNS1_3genE5ELNS1_11target_archE942ELNS1_3gpuE9ELNS1_3repE0EEENS1_30default_config_static_selectorELNS0_4arch9wavefront6targetE1EEEvT1_: ; @_ZN7rocprim17ROCPRIM_400000_NS6detail17trampoline_kernelINS0_14default_configENS1_35adjacent_difference_config_selectorILb1EtEEZNS1_24adjacent_difference_implIS3_Lb1ELb0EPKtPtN6thrust23THRUST_200600_302600_NS4plusItEEEE10hipError_tPvRmT2_T3_mT4_P12ihipStream_tbEUlT_E_NS1_11comp_targetILNS1_3genE5ELNS1_11target_archE942ELNS1_3gpuE9ELNS1_3repE0EEENS1_30default_config_static_selectorELNS0_4arch9wavefront6targetE1EEEvT1_
; %bb.0:
	s_load_dwordx8 s[4:11], s[0:1], 0x0
	s_load_dwordx4 s[12:15], s[0:1], 0x28
	s_mov_b32 s0, 0x90841c60
	v_bfrev_b32_e32 v1, 1
	s_movk_i32 s16, 0x7c0
	s_waitcnt lgkmcnt(0)
	s_lshl_b64 s[6:7], s[6:7], 1
	s_add_u32 s26, s4, s6
	s_addc_u32 s27, s5, s7
	s_add_u32 s0, 0x230, s0
	s_addc_u32 s1, 0, 0
	v_add_co_u32_e32 v1, vcc, s0, v1
	s_cmp_lg_u64 vcc, 0
	v_readfirstlane_b32 s5, v1
	s_addc_u32 s0, s1, 0x210841
	s_mul_hi_u32 s17, s5, 0xfffff840
	s_mul_i32 s1, s0, 0xfffff840
	s_sub_i32 s17, s17, s5
	s_add_i32 s17, s17, s1
	s_mul_i32 s19, s5, 0xfffff840
	s_mul_hi_u32 s1, s5, s17
	s_mul_i32 s18, s5, s17
	s_mul_hi_u32 s5, s5, s19
	s_add_u32 s5, s5, s18
	s_addc_u32 s1, 0, s1
	s_mul_hi_u32 s20, s0, s19
	s_mul_i32 s19, s0, s19
	s_add_u32 s5, s5, s19
	s_mul_hi_u32 s18, s0, s17
	s_addc_u32 s1, s1, s20
	s_addc_u32 s5, s18, 0
	s_mul_i32 s17, s0, s17
	s_add_u32 s1, s1, s17
	s_addc_u32 s5, 0, s5
	v_add_co_u32_e32 v1, vcc, s1, v1
	s_cmp_lg_u64 vcc, 0
	s_addc_u32 s0, s0, s5
	v_readfirstlane_b32 s17, v1
	s_mul_i32 s5, s10, s0
	s_mul_hi_u32 s18, s10, s17
	s_mul_hi_u32 s1, s10, s0
	s_add_u32 s5, s18, s5
	s_addc_u32 s1, 0, s1
	s_mul_hi_u32 s19, s11, s17
	s_mul_i32 s17, s11, s17
	s_add_u32 s5, s5, s17
	s_mul_hi_u32 s18, s11, s0
	s_addc_u32 s1, s1, s19
	s_addc_u32 s5, s18, 0
	s_mul_i32 s0, s11, s0
	s_add_u32 s0, s1, s0
	s_addc_u32 s1, 0, s5
	s_add_u32 s5, s0, 1
	s_addc_u32 s17, s1, 0
	s_add_u32 s18, s0, 2
	s_mul_i32 s20, s1, 0x7c0
	s_mul_hi_u32 s21, s0, 0x7c0
	s_addc_u32 s19, s1, 0
	s_add_i32 s21, s21, s20
	s_mul_i32 s20, s0, 0x7c0
	v_mov_b32_e32 v1, s20
	v_sub_co_u32_e32 v1, vcc, s10, v1
	s_cmp_lg_u64 vcc, 0
	s_subb_u32 s20, s11, s21
	v_subrev_co_u32_e32 v2, vcc, s16, v1
	s_cmp_lg_u64 vcc, 0
	s_subb_u32 s16, s20, 0
	v_readfirstlane_b32 s21, v2
	s_cmpk_gt_u32 s21, 0x7bf
	s_cselect_b32 s21, -1, 0
	s_cmp_eq_u32 s16, 0
	s_cselect_b32 s16, s21, -1
	s_cmp_lg_u32 s16, 0
	s_cselect_b32 s16, s19, s17
	v_readfirstlane_b32 s17, v1
	s_cselect_b32 s5, s18, s5
	s_cmpk_gt_u32 s17, 0x7bf
	s_cselect_b32 s17, -1, 0
	s_cmp_eq_u32 s20, 0
	s_cselect_b32 s17, s17, -1
	s_cmp_lg_u32 s17, 0
	s_cselect_b32 s17, s16, s1
	s_cselect_b32 s5, s5, s0
	s_mul_i32 s0, s17, 0x7c0
	s_mul_hi_u32 s1, s5, 0x7c0
	s_add_i32 s1, s1, s0
	s_mul_i32 s0, s5, 0x7c0
	s_sub_u32 s0, s10, s0
	s_subb_u32 s1, s11, s1
	s_cmp_lg_u64 s[0:1], 0
	s_cselect_b64 s[0:1], -1, 0
	v_cndmask_b32_e64 v1, 0, 1, s[0:1]
	s_mul_i32 s4, s2, 0x7c0
	v_readfirstlane_b32 s0, v1
	s_add_u32 s16, s5, s0
	s_addc_u32 s17, s17, 0
	s_add_u32 s18, s14, s2
	s_addc_u32 s19, s15, 0
	s_add_u32 s20, s16, -1
	s_addc_u32 s21, s17, -1
	v_mov_b64_e32 v[2:3], s[20:21]
	v_cmp_ge_u64_e64 s[0:1], s[18:19], v[2:3]
	s_mov_b32 s3, 0
	s_mov_b64 s[22:23], -1
	s_and_b64 vcc, exec, s[0:1]
	s_mul_i32 s11, s20, 0xfffff840
	s_cbranch_vccz .LBB560_64
; %bb.1:
	s_mov_b32 s5, s3
	s_add_i32 s28, s11, s10
	s_lshl_b64 s[22:23], s[4:5], 1
	s_add_u32 s22, s26, s22
	s_addc_u32 s23, s27, s23
	v_cmp_gt_u32_e32 vcc, s28, v0
                                        ; implicit-def: $vgpr1
	s_and_saveexec_b64 s[24:25], vcc
	s_cbranch_execz .LBB560_3
; %bb.2:
	v_lshlrev_b32_e32 v1, 1, v0
	global_load_ushort v1, v1, s[22:23]
.LBB560_3:
	s_or_b64 exec, exec, s[24:25]
	v_or_b32_e32 v2, 64, v0
	v_cmp_gt_u32_e32 vcc, s28, v2
                                        ; implicit-def: $vgpr2
	s_and_saveexec_b64 s[24:25], vcc
	s_cbranch_execz .LBB560_5
; %bb.4:
	v_lshlrev_b32_e32 v2, 1, v0
	global_load_ushort v2, v2, s[22:23] offset:128
.LBB560_5:
	s_or_b64 exec, exec, s[24:25]
	v_or_b32_e32 v3, 0x80, v0
	v_cmp_gt_u32_e32 vcc, s28, v3
                                        ; implicit-def: $vgpr3
	s_and_saveexec_b64 s[24:25], vcc
	s_cbranch_execz .LBB560_7
; %bb.6:
	v_lshlrev_b32_e32 v3, 1, v0
	global_load_ushort v3, v3, s[22:23] offset:256
.LBB560_7:
	s_or_b64 exec, exec, s[24:25]
	v_or_b32_e32 v4, 0xc0, v0
	v_cmp_gt_u32_e32 vcc, s28, v4
                                        ; implicit-def: $vgpr4
	s_and_saveexec_b64 s[24:25], vcc
	s_cbranch_execz .LBB560_9
; %bb.8:
	v_lshlrev_b32_e32 v4, 1, v0
	global_load_ushort v4, v4, s[22:23] offset:384
.LBB560_9:
	s_or_b64 exec, exec, s[24:25]
	v_or_b32_e32 v5, 0x100, v0
	v_cmp_gt_u32_e32 vcc, s28, v5
                                        ; implicit-def: $vgpr5
	s_and_saveexec_b64 s[24:25], vcc
	s_cbranch_execz .LBB560_11
; %bb.10:
	v_lshlrev_b32_e32 v5, 1, v0
	global_load_ushort v5, v5, s[22:23] offset:512
.LBB560_11:
	s_or_b64 exec, exec, s[24:25]
	v_or_b32_e32 v6, 0x140, v0
	v_cmp_gt_u32_e32 vcc, s28, v6
                                        ; implicit-def: $vgpr6
	s_and_saveexec_b64 s[24:25], vcc
	s_cbranch_execz .LBB560_13
; %bb.12:
	v_lshlrev_b32_e32 v6, 1, v0
	global_load_ushort v6, v6, s[22:23] offset:640
.LBB560_13:
	s_or_b64 exec, exec, s[24:25]
	v_or_b32_e32 v7, 0x180, v0
	v_cmp_gt_u32_e32 vcc, s28, v7
                                        ; implicit-def: $vgpr7
	s_and_saveexec_b64 s[24:25], vcc
	s_cbranch_execz .LBB560_15
; %bb.14:
	v_lshlrev_b32_e32 v7, 1, v0
	global_load_ushort v7, v7, s[22:23] offset:768
.LBB560_15:
	s_or_b64 exec, exec, s[24:25]
	v_or_b32_e32 v8, 0x1c0, v0
	v_cmp_gt_u32_e32 vcc, s28, v8
                                        ; implicit-def: $vgpr8
	s_and_saveexec_b64 s[24:25], vcc
	s_cbranch_execz .LBB560_17
; %bb.16:
	v_lshlrev_b32_e32 v8, 1, v0
	global_load_ushort v8, v8, s[22:23] offset:896
.LBB560_17:
	s_or_b64 exec, exec, s[24:25]
	v_or_b32_e32 v9, 0x200, v0
	v_cmp_gt_u32_e32 vcc, s28, v9
                                        ; implicit-def: $vgpr9
	s_and_saveexec_b64 s[24:25], vcc
	s_cbranch_execz .LBB560_19
; %bb.18:
	v_lshlrev_b32_e32 v9, 1, v0
	global_load_ushort v9, v9, s[22:23] offset:1024
.LBB560_19:
	s_or_b64 exec, exec, s[24:25]
	v_or_b32_e32 v10, 0x240, v0
	v_cmp_gt_u32_e32 vcc, s28, v10
                                        ; implicit-def: $vgpr10
	s_and_saveexec_b64 s[24:25], vcc
	s_cbranch_execz .LBB560_21
; %bb.20:
	v_lshlrev_b32_e32 v10, 1, v0
	global_load_ushort v10, v10, s[22:23] offset:1152
.LBB560_21:
	s_or_b64 exec, exec, s[24:25]
	v_or_b32_e32 v11, 0x280, v0
	v_cmp_gt_u32_e32 vcc, s28, v11
                                        ; implicit-def: $vgpr11
	s_and_saveexec_b64 s[24:25], vcc
	s_cbranch_execz .LBB560_23
; %bb.22:
	v_lshlrev_b32_e32 v11, 1, v0
	global_load_ushort v11, v11, s[22:23] offset:1280
.LBB560_23:
	s_or_b64 exec, exec, s[24:25]
	v_or_b32_e32 v12, 0x2c0, v0
	v_cmp_gt_u32_e32 vcc, s28, v12
                                        ; implicit-def: $vgpr12
	s_and_saveexec_b64 s[24:25], vcc
	s_cbranch_execz .LBB560_25
; %bb.24:
	v_lshlrev_b32_e32 v12, 1, v0
	global_load_ushort v12, v12, s[22:23] offset:1408
.LBB560_25:
	s_or_b64 exec, exec, s[24:25]
	v_or_b32_e32 v13, 0x300, v0
	v_cmp_gt_u32_e32 vcc, s28, v13
                                        ; implicit-def: $vgpr13
	s_and_saveexec_b64 s[24:25], vcc
	s_cbranch_execz .LBB560_27
; %bb.26:
	v_lshlrev_b32_e32 v13, 1, v0
	global_load_ushort v13, v13, s[22:23] offset:1536
.LBB560_27:
	s_or_b64 exec, exec, s[24:25]
	v_or_b32_e32 v14, 0x340, v0
	v_cmp_gt_u32_e32 vcc, s28, v14
                                        ; implicit-def: $vgpr14
	s_and_saveexec_b64 s[24:25], vcc
	s_cbranch_execz .LBB560_29
; %bb.28:
	v_lshlrev_b32_e32 v14, 1, v0
	global_load_ushort v14, v14, s[22:23] offset:1664
.LBB560_29:
	s_or_b64 exec, exec, s[24:25]
	v_or_b32_e32 v15, 0x380, v0
	v_cmp_gt_u32_e32 vcc, s28, v15
                                        ; implicit-def: $vgpr15
	s_and_saveexec_b64 s[24:25], vcc
	s_cbranch_execz .LBB560_31
; %bb.30:
	v_lshlrev_b32_e32 v15, 1, v0
	global_load_ushort v15, v15, s[22:23] offset:1792
.LBB560_31:
	s_or_b64 exec, exec, s[24:25]
	v_or_b32_e32 v16, 0x3c0, v0
	v_cmp_gt_u32_e32 vcc, s28, v16
                                        ; implicit-def: $vgpr16
	s_and_saveexec_b64 s[24:25], vcc
	s_cbranch_execz .LBB560_33
; %bb.32:
	v_lshlrev_b32_e32 v16, 1, v0
	global_load_ushort v16, v16, s[22:23] offset:1920
.LBB560_33:
	s_or_b64 exec, exec, s[24:25]
	v_or_b32_e32 v17, 0x400, v0
	v_cmp_gt_u32_e32 vcc, s28, v17
                                        ; implicit-def: $vgpr17
	s_and_saveexec_b64 s[24:25], vcc
	s_cbranch_execz .LBB560_35
; %bb.34:
	v_lshlrev_b32_e32 v17, 1, v0
	global_load_ushort v17, v17, s[22:23] offset:2048
.LBB560_35:
	s_or_b64 exec, exec, s[24:25]
	v_or_b32_e32 v18, 0x440, v0
	v_cmp_gt_u32_e32 vcc, s28, v18
                                        ; implicit-def: $vgpr18
	s_and_saveexec_b64 s[24:25], vcc
	s_cbranch_execz .LBB560_37
; %bb.36:
	v_lshlrev_b32_e32 v18, 1, v0
	global_load_ushort v18, v18, s[22:23] offset:2176
.LBB560_37:
	s_or_b64 exec, exec, s[24:25]
	v_or_b32_e32 v19, 0x480, v0
	v_cmp_gt_u32_e32 vcc, s28, v19
                                        ; implicit-def: $vgpr19
	s_and_saveexec_b64 s[24:25], vcc
	s_cbranch_execz .LBB560_39
; %bb.38:
	v_lshlrev_b32_e32 v19, 1, v0
	global_load_ushort v19, v19, s[22:23] offset:2304
.LBB560_39:
	s_or_b64 exec, exec, s[24:25]
	v_or_b32_e32 v20, 0x4c0, v0
	v_cmp_gt_u32_e32 vcc, s28, v20
                                        ; implicit-def: $vgpr20
	s_and_saveexec_b64 s[24:25], vcc
	s_cbranch_execz .LBB560_41
; %bb.40:
	v_lshlrev_b32_e32 v20, 1, v0
	global_load_ushort v20, v20, s[22:23] offset:2432
.LBB560_41:
	s_or_b64 exec, exec, s[24:25]
	v_or_b32_e32 v21, 0x500, v0
	v_cmp_gt_u32_e32 vcc, s28, v21
                                        ; implicit-def: $vgpr21
	s_and_saveexec_b64 s[24:25], vcc
	s_cbranch_execz .LBB560_43
; %bb.42:
	v_lshlrev_b32_e32 v21, 1, v0
	global_load_ushort v21, v21, s[22:23] offset:2560
.LBB560_43:
	s_or_b64 exec, exec, s[24:25]
	v_or_b32_e32 v22, 0x540, v0
	v_cmp_gt_u32_e32 vcc, s28, v22
                                        ; implicit-def: $vgpr22
	s_and_saveexec_b64 s[24:25], vcc
	s_cbranch_execz .LBB560_45
; %bb.44:
	v_lshlrev_b32_e32 v22, 1, v0
	global_load_ushort v22, v22, s[22:23] offset:2688
.LBB560_45:
	s_or_b64 exec, exec, s[24:25]
	v_or_b32_e32 v23, 0x580, v0
	v_cmp_gt_u32_e32 vcc, s28, v23
                                        ; implicit-def: $vgpr23
	s_and_saveexec_b64 s[24:25], vcc
	s_cbranch_execz .LBB560_47
; %bb.46:
	v_lshlrev_b32_e32 v23, 1, v0
	global_load_ushort v23, v23, s[22:23] offset:2816
.LBB560_47:
	s_or_b64 exec, exec, s[24:25]
	v_or_b32_e32 v24, 0x5c0, v0
	v_cmp_gt_u32_e32 vcc, s28, v24
                                        ; implicit-def: $vgpr24
	s_and_saveexec_b64 s[24:25], vcc
	s_cbranch_execz .LBB560_49
; %bb.48:
	v_lshlrev_b32_e32 v24, 1, v0
	global_load_ushort v24, v24, s[22:23] offset:2944
.LBB560_49:
	s_or_b64 exec, exec, s[24:25]
	v_or_b32_e32 v25, 0x600, v0
	v_cmp_gt_u32_e32 vcc, s28, v25
                                        ; implicit-def: $vgpr25
	s_and_saveexec_b64 s[24:25], vcc
	s_cbranch_execz .LBB560_51
; %bb.50:
	v_lshlrev_b32_e32 v25, 1, v0
	global_load_ushort v25, v25, s[22:23] offset:3072
.LBB560_51:
	s_or_b64 exec, exec, s[24:25]
	v_or_b32_e32 v26, 0x640, v0
	v_cmp_gt_u32_e32 vcc, s28, v26
                                        ; implicit-def: $vgpr26
	s_and_saveexec_b64 s[24:25], vcc
	s_cbranch_execz .LBB560_53
; %bb.52:
	v_lshlrev_b32_e32 v26, 1, v0
	global_load_ushort v26, v26, s[22:23] offset:3200
.LBB560_53:
	s_or_b64 exec, exec, s[24:25]
	v_or_b32_e32 v27, 0x680, v0
	v_cmp_gt_u32_e32 vcc, s28, v27
                                        ; implicit-def: $vgpr27
	s_and_saveexec_b64 s[24:25], vcc
	s_cbranch_execz .LBB560_55
; %bb.54:
	v_lshlrev_b32_e32 v27, 1, v0
	global_load_ushort v27, v27, s[22:23] offset:3328
.LBB560_55:
	s_or_b64 exec, exec, s[24:25]
	v_or_b32_e32 v28, 0x6c0, v0
	v_cmp_gt_u32_e32 vcc, s28, v28
                                        ; implicit-def: $vgpr28
	s_and_saveexec_b64 s[24:25], vcc
	s_cbranch_execz .LBB560_57
; %bb.56:
	v_lshlrev_b32_e32 v28, 1, v0
	global_load_ushort v28, v28, s[22:23] offset:3456
.LBB560_57:
	s_or_b64 exec, exec, s[24:25]
	v_or_b32_e32 v29, 0x700, v0
	v_cmp_gt_u32_e32 vcc, s28, v29
                                        ; implicit-def: $vgpr29
	s_and_saveexec_b64 s[24:25], vcc
	s_cbranch_execz .LBB560_59
; %bb.58:
	v_lshlrev_b32_e32 v29, 1, v0
	global_load_ushort v29, v29, s[22:23] offset:3584
.LBB560_59:
	s_or_b64 exec, exec, s[24:25]
	v_or_b32_e32 v30, 0x740, v0
	v_cmp_gt_u32_e32 vcc, s28, v30
                                        ; implicit-def: $vgpr30
	s_and_saveexec_b64 s[24:25], vcc
	s_cbranch_execz .LBB560_61
; %bb.60:
	v_lshlrev_b32_e32 v30, 1, v0
	global_load_ushort v30, v30, s[22:23] offset:3712
.LBB560_61:
	s_or_b64 exec, exec, s[24:25]
	v_or_b32_e32 v31, 0x780, v0
	v_cmp_gt_u32_e32 vcc, s28, v31
                                        ; implicit-def: $vgpr31
	s_and_saveexec_b64 s[24:25], vcc
	s_cbranch_execz .LBB560_63
; %bb.62:
	v_lshlrev_b32_e32 v31, 1, v0
	global_load_ushort v31, v31, s[22:23] offset:3840
.LBB560_63:
	s_or_b64 exec, exec, s[24:25]
	v_lshlrev_b32_e32 v32, 1, v0
	s_mov_b64 s[22:23], 0
	s_waitcnt vmcnt(0)
	ds_write_b16 v32, v1
	ds_write_b16 v32, v2 offset:128
	ds_write_b16 v32, v3 offset:256
	;; [unrolled: 1-line block ×30, first 2 shown]
	s_waitcnt lgkmcnt(0)
	; wave barrier
.LBB560_64:
	s_and_b64 vcc, exec, s[22:23]
	v_lshlrev_b32_e32 v18, 1, v0
	s_cbranch_vccz .LBB560_66
; %bb.65:
	s_mov_b32 s5, 0
	s_lshl_b64 s[22:23], s[4:5], 1
	s_add_u32 s22, s26, s22
	s_addc_u32 s23, s27, s23
	global_load_ushort v1, v18, s[22:23]
	global_load_ushort v2, v18, s[22:23] offset:128
	global_load_ushort v3, v18, s[22:23] offset:256
	;; [unrolled: 1-line block ×30, first 2 shown]
	s_waitcnt vmcnt(30)
	ds_write_b16 v18, v1
	s_waitcnt vmcnt(29)
	ds_write_b16 v18, v2 offset:128
	s_waitcnt vmcnt(28)
	ds_write_b16 v18, v3 offset:256
	;; [unrolled: 2-line block ×30, first 2 shown]
	s_waitcnt lgkmcnt(0)
	; wave barrier
.LBB560_66:
	v_mul_u32_u24_e32 v1, 31, v0
	v_lshlrev_b32_e32 v1, 1, v1
	s_waitcnt lgkmcnt(0)
	ds_read_b128 v[10:13], v1
	ds_read_b128 v[6:9], v1 offset:16
	ds_read_b128 v[2:5], v1 offset:32
	ds_read_b96 v[14:16], v1 offset:48
	ds_read_u16 v1, v1 offset:60
	s_cmp_eq_u64 s[18:19], 0
	s_waitcnt lgkmcnt(0)
	; wave barrier
	s_waitcnt lgkmcnt(0)
	s_cbranch_scc1 .LBB560_71
; %bb.67:
	s_lshl_b64 s[14:15], s[14:15], 1
	s_add_u32 s5, s12, s14
	s_addc_u32 s12, s13, s15
	s_lshl_b64 s[2:3], s[2:3], 1
	s_add_u32 s2, s5, s2
	s_addc_u32 s3, s12, s3
	v_mov_b32_e32 v17, 0
	global_load_ushort v34, v17, s[2:3] offset:-2
	s_cmp_eq_u64 s[18:19], s[20:21]
	s_cbranch_scc1 .LBB560_72
; %bb.68:
	v_cmp_ne_u32_e32 vcc, 0, v0
	s_waitcnt vmcnt(0)
	v_mov_b32_e32 v17, v34
	ds_write_b16 v18, v1
	s_waitcnt lgkmcnt(0)
	; wave barrier
	s_waitcnt lgkmcnt(0)
	s_and_saveexec_b64 s[2:3], vcc
	s_cbranch_execz .LBB560_70
; %bb.69:
	v_add_u32_e32 v17, -2, v18
	ds_read_u16 v17, v17
.LBB560_70:
	s_or_b64 exec, exec, s[2:3]
	s_waitcnt lgkmcnt(0)
	v_add_u16_e32 v17, v17, v10
	s_mov_b64 s[2:3], 0
	s_branch .LBB560_73
.LBB560_71:
                                        ; implicit-def: $vgpr19
                                        ; implicit-def: $vgpr20_vgpr21
                                        ; implicit-def: $vgpr22_vgpr23
                                        ; implicit-def: $vgpr24_vgpr25
                                        ; implicit-def: $vgpr26_vgpr27
                                        ; implicit-def: $vgpr28_vgpr29
                                        ; implicit-def: $vgpr30_vgpr31
                                        ; implicit-def: $vgpr32_vgpr33
                                        ; implicit-def: $vgpr17
	s_branch .LBB560_78
.LBB560_72:
	s_mov_b64 s[2:3], -1
                                        ; implicit-def: $vgpr17
.LBB560_73:
	s_and_b64 vcc, exec, s[2:3]
	v_mov_b32_e32 v19, v16
	v_mov_b64_e32 v[20:21], v[14:15]
	v_mov_b64_e32 v[22:23], v[4:5]
	;; [unrolled: 1-line block ×7, first 2 shown]
	s_cbranch_vccz .LBB560_77
; %bb.74:
	v_mul_u32_u24_e32 v17, 31, v0
	v_cmp_ne_u32_e32 vcc, 0, v0
	ds_write_b16 v18, v1
	s_waitcnt lgkmcnt(0)
	; wave barrier
	s_waitcnt lgkmcnt(0)
	s_and_saveexec_b64 s[2:3], vcc
	s_cbranch_execz .LBB560_76
; %bb.75:
	v_add_u32_e32 v19, -2, v18
	s_waitcnt vmcnt(0)
	ds_read_u16 v34, v19
.LBB560_76:
	s_or_b64 exec, exec, s[2:3]
	s_mul_i32 s2, s18, 0xfffff840
	s_add_i32 s2, s2, s10
	v_add_u32_e32 v19, 29, v17
	v_add_u32_e32 v20, 30, v17
	v_cmp_gt_u32_e32 vcc, s2, v19
	v_lshrrev_b32_e32 v21, 16, v16
	s_mov_b32 s3, 0x5040100
	v_cndmask_b32_e32 v19, 0, v16, vcc
	v_cmp_gt_u32_e32 vcc, s2, v20
	v_add_u32_e32 v22, 25, v17
	v_lshrrev_b32_e32 v24, 16, v15
	v_cndmask_b32_e32 v20, 0, v21, vcc
	v_perm_b32 v19, v20, v19, s3
	v_add_u32_e32 v20, 27, v17
	v_add_u32_e32 v21, 28, v17
	v_cmp_gt_u32_e32 vcc, s2, v20
	v_add_u32_e32 v23, 26, v17
	v_lshrrev_b32_e32 v26, 16, v5
	v_cndmask_b32_e32 v20, 0, v15, vcc
	v_cmp_gt_u32_e32 vcc, s2, v21
	v_add_u32_e32 v25, 22, v17
	v_lshrrev_b32_e32 v28, 16, v3
	v_cndmask_b32_e32 v21, 0, v24, vcc
	v_cmp_gt_u32_e32 vcc, s2, v22
	v_perm_b32 v21, v21, v20, s3
	v_lshrrev_b32_e32 v22, 16, v14
	v_cndmask_b32_e32 v20, 0, v14, vcc
	v_cmp_gt_u32_e32 vcc, s2, v23
	v_add_u32_e32 v23, 24, v17
	v_add_u32_e32 v24, 21, v17
	v_cndmask_b32_e32 v22, 0, v22, vcc
	v_perm_b32 v20, v22, v20, s3
	v_add_u32_e32 v22, 23, v17
	v_cmp_gt_u32_e32 vcc, s2, v22
	v_add_u32_e32 v27, 18, v17
	v_lshrrev_b32_e32 v30, 16, v9
	v_cndmask_b32_e32 v22, 0, v5, vcc
	v_cmp_gt_u32_e32 vcc, s2, v23
	v_add_u32_e32 v29, 14, v17
	v_lshrrev_b32_e32 v32, 16, v7
	v_cndmask_b32_e32 v23, 0, v26, vcc
	v_cmp_gt_u32_e32 vcc, s2, v24
	v_perm_b32 v23, v23, v22, s3
	v_lshrrev_b32_e32 v24, 16, v4
	v_cndmask_b32_e32 v22, 0, v4, vcc
	v_cmp_gt_u32_e32 vcc, s2, v25
	v_add_u32_e32 v25, 20, v17
	v_add_u32_e32 v26, 17, v17
	v_cndmask_b32_e32 v24, 0, v24, vcc
	v_perm_b32 v22, v24, v22, s3
	;; [unrolled: 18-line block ×3, first 2 shown]
	v_add_u32_e32 v26, 15, v17
	v_cmp_gt_u32_e32 vcc, s2, v26
	v_add_u32_e32 v36, 2, v17
	s_nop 0
	v_cndmask_b32_e32 v26, 0, v9, vcc
	v_cmp_gt_u32_e32 vcc, s2, v27
	s_nop 1
	v_cndmask_b32_e32 v27, 0, v30, vcc
	v_cmp_gt_u32_e32 vcc, s2, v28
	v_perm_b32 v27, v27, v26, s3
	v_lshrrev_b32_e32 v28, 16, v8
	v_cndmask_b32_e32 v26, 0, v8, vcc
	v_cmp_gt_u32_e32 vcc, s2, v29
	v_add_u32_e32 v29, 12, v17
	v_add_u32_e32 v30, 9, v17
	v_cndmask_b32_e32 v28, 0, v28, vcc
	v_perm_b32 v26, v28, v26, s3
	v_add_u32_e32 v28, 11, v17
	v_cmp_gt_u32_e32 vcc, s2, v28
	s_nop 1
	v_cndmask_b32_e32 v28, 0, v7, vcc
	v_cmp_gt_u32_e32 vcc, s2, v29
	s_nop 1
	v_cndmask_b32_e32 v29, 0, v32, vcc
	v_cmp_gt_u32_e32 vcc, s2, v30
	v_perm_b32 v29, v29, v28, s3
	v_lshrrev_b32_e32 v30, 16, v6
	v_cndmask_b32_e32 v28, 0, v6, vcc
	v_cmp_gt_u32_e32 vcc, s2, v31
	v_add_u32_e32 v31, 8, v17
	v_add_u32_e32 v32, 5, v17
	v_cndmask_b32_e32 v30, 0, v30, vcc
	v_perm_b32 v28, v30, v28, s3
	v_add_u32_e32 v30, 7, v17
	v_cmp_gt_u32_e32 vcc, s2, v30
	;; [unrolled: 16-line block ×3, first 2 shown]
	s_nop 1
	v_cndmask_b32_e32 v32, 0, v11, vcc
	v_cmp_gt_u32_e32 vcc, s2, v33
	s_nop 1
	v_cndmask_b32_e32 v33, 0, v37, vcc
	v_cmp_gt_u32_e32 vcc, s2, v35
	v_perm_b32 v33, v33, v32, s3
	v_lshrrev_b32_e32 v35, 16, v10
	v_cndmask_b32_e32 v32, 0, v10, vcc
	v_cmp_gt_u32_e32 vcc, s2, v36
	s_nop 1
	v_cndmask_b32_e32 v35, 0, v35, vcc
	v_cmp_gt_u32_e32 vcc, s2, v17
	v_perm_b32 v32, v35, v32, s3
	s_waitcnt vmcnt(0) lgkmcnt(0)
	v_cndmask_b32_e32 v17, 0, v34, vcc
	v_add_u16_e32 v17, v17, v10
.LBB560_77:
	s_cbranch_execnz .LBB560_87
.LBB560_78:
	s_cmp_eq_u64 s[16:17], 1
	v_cmp_ne_u32_e32 vcc, 0, v0
	s_cbranch_scc1 .LBB560_82
; %bb.79:
	v_mov_b32_e32 v17, v10
	ds_write_b16 v18, v1
	s_waitcnt lgkmcnt(0)
	; wave barrier
	s_waitcnt lgkmcnt(0)
	s_and_saveexec_b64 s[2:3], vcc
	s_cbranch_execz .LBB560_81
; %bb.80:
	v_add_u32_e32 v17, -2, v18
	ds_read_u16 v17, v17
	s_waitcnt lgkmcnt(0)
	v_add_u16_e32 v17, v17, v10
.LBB560_81:
	s_or_b64 exec, exec, s[2:3]
	s_mov_b64 s[2:3], 0
	s_branch .LBB560_83
.LBB560_82:
	s_mov_b64 s[2:3], -1
                                        ; implicit-def: $vgpr17
.LBB560_83:
	s_andn2_b64 vcc, exec, s[2:3]
	v_mov_b32_e32 v19, v16
	v_mov_b64_e32 v[20:21], v[14:15]
	v_mov_b64_e32 v[22:23], v[4:5]
	;; [unrolled: 1-line block ×7, first 2 shown]
	s_cbranch_vccnz .LBB560_87
; %bb.84:
	v_mad_u32_u24 v19, v0, 31, 29
	v_mad_u32_u24 v20, v0, 31, 30
	v_cmp_gt_u32_e32 vcc, s10, v19
	v_lshrrev_b32_e32 v21, 16, v16
	v_mad_u32_u24 v22, v0, 31, 25
	v_cndmask_b32_e32 v19, 0, v16, vcc
	v_cmp_gt_u32_e32 vcc, s10, v20
	v_mad_u32_u24 v20, v0, 31, 27
	v_lshrrev_b32_e32 v24, 16, v15
	s_waitcnt vmcnt(0)
	v_cndmask_b32_e32 v34, 0, v21, vcc
	v_mad_u32_u24 v21, v0, 31, 28
	v_cmp_gt_u32_e32 vcc, s10, v20
	s_mov_b32 s5, 0x5040100
	v_mad_u32_u24 v23, v0, 31, 26
	v_cndmask_b32_e32 v20, 0, v15, vcc
	v_cmp_gt_u32_e32 vcc, s10, v21
	v_lshrrev_b32_e32 v26, 16, v5
	v_mad_u32_u24 v25, v0, 31, 22
	v_cndmask_b32_e32 v21, 0, v24, vcc
	v_cmp_gt_u32_e32 vcc, s10, v22
	v_perm_b32 v21, v21, v20, s5
	v_lshrrev_b32_e32 v22, 16, v14
	v_cndmask_b32_e32 v20, 0, v14, vcc
	v_cmp_gt_u32_e32 vcc, s10, v23
	v_mad_u32_u24 v23, v0, 31, 24
	v_mad_u32_u24 v24, v0, 31, 21
	v_cndmask_b32_e32 v22, 0, v22, vcc
	v_perm_b32 v20, v22, v20, s5
	v_mad_u32_u24 v22, v0, 31, 23
	v_cmp_gt_u32_e32 vcc, s10, v22
	v_lshrrev_b32_e32 v28, 16, v3
	v_mad_u32_u24 v27, v0, 31, 18
	v_cndmask_b32_e32 v22, 0, v5, vcc
	v_cmp_gt_u32_e32 vcc, s10, v23
	v_lshrrev_b32_e32 v30, 16, v9
	v_mad_u32_u24 v29, v0, 31, 14
	v_cndmask_b32_e32 v23, 0, v26, vcc
	v_cmp_gt_u32_e32 vcc, s10, v24
	v_perm_b32 v23, v23, v22, s5
	v_lshrrev_b32_e32 v24, 16, v4
	v_cndmask_b32_e32 v22, 0, v4, vcc
	v_cmp_gt_u32_e32 vcc, s10, v25
	v_mad_u32_u24 v25, v0, 31, 20
	v_mad_u32_u24 v26, v0, 31, 17
	v_cndmask_b32_e32 v24, 0, v24, vcc
	v_perm_b32 v22, v24, v22, s5
	v_mad_u32_u24 v24, v0, 31, 19
	v_cmp_gt_u32_e32 vcc, s10, v24
	v_lshrrev_b32_e32 v32, 16, v7
	;; [unrolled: 18-line block ×3, first 2 shown]
	v_mad_u32_u24 v36, v0, 31, 2
	v_cndmask_b32_e32 v26, 0, v9, vcc
	v_cmp_gt_u32_e32 vcc, s10, v27
	v_mul_u32_u24_e32 v17, 31, v0
	v_cmp_gt_u32_e64 s[2:3], s10, v17
	v_cndmask_b32_e32 v27, 0, v30, vcc
	v_cmp_gt_u32_e32 vcc, s10, v28
	v_perm_b32 v27, v27, v26, s5
	v_lshrrev_b32_e32 v28, 16, v8
	v_cndmask_b32_e32 v26, 0, v8, vcc
	v_cmp_gt_u32_e32 vcc, s10, v29
	v_mad_u32_u24 v29, v0, 31, 12
	v_mad_u32_u24 v30, v0, 31, 9
	v_cndmask_b32_e32 v28, 0, v28, vcc
	v_perm_b32 v26, v28, v26, s5
	v_mad_u32_u24 v28, v0, 31, 11
	v_cmp_gt_u32_e32 vcc, s10, v28
	v_mov_b32_e32 v17, v10
	ds_write_b16 v18, v1
	v_cndmask_b32_e32 v28, 0, v7, vcc
	v_cmp_gt_u32_e32 vcc, s10, v29
	s_waitcnt lgkmcnt(0)
	; wave barrier
	s_waitcnt lgkmcnt(0)
	v_cndmask_b32_e32 v29, 0, v32, vcc
	v_cmp_gt_u32_e32 vcc, s10, v30
	v_perm_b32 v29, v29, v28, s5
	v_lshrrev_b32_e32 v30, 16, v6
	v_cndmask_b32_e32 v28, 0, v6, vcc
	v_cmp_gt_u32_e32 vcc, s10, v31
	v_mad_u32_u24 v31, v0, 31, 8
	v_mad_u32_u24 v32, v0, 31, 5
	v_cndmask_b32_e32 v30, 0, v30, vcc
	v_perm_b32 v28, v30, v28, s5
	v_mad_u32_u24 v30, v0, 31, 7
	v_cmp_gt_u32_e32 vcc, s10, v30
	s_nop 1
	v_cndmask_b32_e32 v30, 0, v13, vcc
	v_cmp_gt_u32_e32 vcc, s10, v31
	s_nop 1
	v_cndmask_b32_e32 v31, 0, v35, vcc
	v_cmp_gt_u32_e32 vcc, s10, v32
	v_perm_b32 v31, v31, v30, s5
	v_lshrrev_b32_e32 v32, 16, v12
	v_cndmask_b32_e32 v30, 0, v12, vcc
	v_cmp_gt_u32_e32 vcc, s10, v33
	v_mad_u32_u24 v33, v0, 31, 4
	v_mad_u32_u24 v35, v0, 31, 1
	v_cndmask_b32_e32 v32, 0, v32, vcc
	v_perm_b32 v30, v32, v30, s5
	v_mad_u32_u24 v32, v0, 31, 3
	v_cmp_gt_u32_e32 vcc, s10, v32
	s_nop 1
	v_cndmask_b32_e32 v32, 0, v11, vcc
	v_cmp_gt_u32_e32 vcc, s10, v33
	s_nop 1
	v_cndmask_b32_e32 v33, 0, v37, vcc
	v_cmp_gt_u32_e32 vcc, s10, v35
	v_perm_b32 v33, v33, v32, s5
	v_lshrrev_b32_e32 v35, 16, v10
	v_cndmask_b32_e32 v32, 0, v10, vcc
	v_cmp_gt_u32_e32 vcc, s10, v36
	s_nop 1
	v_cndmask_b32_e32 v35, 0, v35, vcc
	v_cmp_ne_u32_e32 vcc, 0, v0
	v_perm_b32 v32, v35, v32, s5
	s_and_b64 s[12:13], vcc, s[2:3]
	s_and_saveexec_b64 s[2:3], s[12:13]
	s_cbranch_execz .LBB560_86
; %bb.85:
	v_add_u32_e32 v17, -2, v18
	ds_read_u16 v17, v17
	s_waitcnt lgkmcnt(0)
	v_add_u16_e32 v17, v17, v10
.LBB560_86:
	s_or_b64 exec, exec, s[2:3]
	v_perm_b32 v19, v34, v19, s5
.LBB560_87:
	s_add_u32 s6, s8, s6
	v_alignbit_b32 v10, v11, v10, 16
	v_alignbit_b32 v11, v12, v11, 16
	;; [unrolled: 1-line block ×15, first 2 shown]
	s_addc_u32 s7, s9, s7
	v_pk_add_u16 v11, v33, v11
	v_pk_add_u16 v10, v32, v10
	;; [unrolled: 1-line block ×15, first 2 shown]
	s_and_b64 vcc, exec, s[0:1]
	v_mul_u32_u24_e32 v1, 62, v0
	s_waitcnt lgkmcnt(0)
	; wave barrier
	s_cbranch_vccz .LBB560_149
; %bb.88:
	v_mul_i32_i24_e32 v52, 0xffffffc4, v0
	v_mad_u32_u24 v19, v0, 62, v52
	ds_write_b16 v1, v17
	ds_write_b128 v1, v[10:13] offset:2
	ds_write_b128 v1, v[6:9] offset:18
	;; [unrolled: 1-line block ×3, first 2 shown]
	ds_write_b96 v1, v[14:16] offset:50
	s_waitcnt lgkmcnt(0)
	; wave barrier
	s_waitcnt lgkmcnt(0)
	ds_read_u16 v51, v19 offset:128
	ds_read_u16 v50, v19 offset:256
	;; [unrolled: 1-line block ×17, first 2 shown]
	s_waitcnt vmcnt(0)
	ds_read_u16 v34, v19 offset:2304
	ds_read_u16 v33, v19 offset:2432
	;; [unrolled: 1-line block ×13, first 2 shown]
	s_mov_b32 s5, 0
	s_add_i32 s11, s11, s10
	s_lshl_b64 s[0:1], s[4:5], 1
	s_add_u32 s0, s6, s0
	s_addc_u32 s1, s7, s1
	v_mov_b32_e32 v19, 0
	v_lshl_add_u64 v[20:21], s[0:1], 0, v[18:19]
	v_cmp_gt_u32_e32 vcc, s11, v0
	s_and_saveexec_b64 s[0:1], vcc
	s_cbranch_execz .LBB560_90
; %bb.89:
	v_add_u32_e32 v19, v1, v52
	ds_read_u16 v19, v19
	s_waitcnt lgkmcnt(0)
	global_store_short v[20:21], v19, off
.LBB560_90:
	s_or_b64 exec, exec, s[0:1]
	v_or_b32_e32 v19, 64, v0
	v_cmp_gt_u32_e32 vcc, s11, v19
	s_and_saveexec_b64 s[0:1], vcc
	s_cbranch_execz .LBB560_92
; %bb.91:
	s_waitcnt lgkmcnt(14)
	global_store_short v[20:21], v51, off offset:128
.LBB560_92:
	s_or_b64 exec, exec, s[0:1]
	v_or_b32_e32 v19, 0x80, v0
	v_cmp_gt_u32_e32 vcc, s11, v19
	s_and_saveexec_b64 s[0:1], vcc
	s_cbranch_execz .LBB560_94
; %bb.93:
	s_waitcnt lgkmcnt(14)
	global_store_short v[20:21], v50, off offset:256
.LBB560_94:
	;; [unrolled: 9-line block ×29, first 2 shown]
	s_or_b64 exec, exec, s[0:1]
	v_or_b32_e32 v19, 0x780, v0
	v_cmp_gt_u32_e64 s[0:1], s11, v19
	s_branch .LBB560_151
.LBB560_149:
	s_mov_b64 s[0:1], 0
                                        ; implicit-def: $vgpr22
                                        ; implicit-def: $vgpr20_vgpr21
	s_cbranch_execz .LBB560_151
; %bb.150:
	ds_write_b16 v1, v17
	ds_write_b128 v1, v[10:13] offset:2
	ds_write_b128 v1, v[6:9] offset:18
	;; [unrolled: 1-line block ×3, first 2 shown]
	ds_write_b96 v1, v[14:16] offset:50
	v_mul_i32_i24_e32 v1, 0xffffffc4, v0
	s_mov_b32 s5, 0
	v_mad_u32_u24 v0, v0, 62, v1
	s_lshl_b64 s[2:3], s[4:5], 1
	s_waitcnt lgkmcnt(0)
	; wave barrier
	s_waitcnt lgkmcnt(0)
	ds_read_u16 v1, v0
	ds_read_u16 v2, v0 offset:128
	ds_read_u16 v3, v0 offset:256
	;; [unrolled: 1-line block ×27, first 2 shown]
	s_waitcnt vmcnt(0)
	ds_read_u16 v34, v0 offset:3584
	ds_read_u16 v35, v0 offset:3712
	;; [unrolled: 1-line block ×3, first 2 shown]
	s_add_u32 s2, s6, s2
	s_addc_u32 s3, s7, s3
	v_mov_b32_e32 v19, 0
	v_lshl_add_u64 v[20:21], s[2:3], 0, v[18:19]
	s_or_b64 s[0:1], s[0:1], exec
	s_waitcnt lgkmcnt(14)
	global_store_short v18, v1, s[2:3]
	global_store_short v18, v2, s[2:3] offset:128
	global_store_short v18, v3, s[2:3] offset:256
	;; [unrolled: 1-line block ×16, first 2 shown]
	s_waitcnt lgkmcnt(13)
	global_store_short v18, v23, s[2:3] offset:2176
	s_waitcnt lgkmcnt(12)
	global_store_short v18, v24, s[2:3] offset:2304
	;; [unrolled: 2-line block ×13, first 2 shown]
.LBB560_151:
	s_and_saveexec_b64 s[2:3], s[0:1]
	s_cbranch_execnz .LBB560_153
; %bb.152:
	s_endpgm
.LBB560_153:
	s_waitcnt lgkmcnt(0)
	global_store_short v[20:21], v22, off offset:3840
	s_endpgm
	.section	.rodata,"a",@progbits
	.p2align	6, 0x0
	.amdhsa_kernel _ZN7rocprim17ROCPRIM_400000_NS6detail17trampoline_kernelINS0_14default_configENS1_35adjacent_difference_config_selectorILb1EtEEZNS1_24adjacent_difference_implIS3_Lb1ELb0EPKtPtN6thrust23THRUST_200600_302600_NS4plusItEEEE10hipError_tPvRmT2_T3_mT4_P12ihipStream_tbEUlT_E_NS1_11comp_targetILNS1_3genE5ELNS1_11target_archE942ELNS1_3gpuE9ELNS1_3repE0EEENS1_30default_config_static_selectorELNS0_4arch9wavefront6targetE1EEEvT1_
		.amdhsa_group_segment_fixed_size 3968
		.amdhsa_private_segment_fixed_size 0
		.amdhsa_kernarg_size 56
		.amdhsa_user_sgpr_count 2
		.amdhsa_user_sgpr_dispatch_ptr 0
		.amdhsa_user_sgpr_queue_ptr 0
		.amdhsa_user_sgpr_kernarg_segment_ptr 1
		.amdhsa_user_sgpr_dispatch_id 0
		.amdhsa_user_sgpr_kernarg_preload_length 0
		.amdhsa_user_sgpr_kernarg_preload_offset 0
		.amdhsa_user_sgpr_private_segment_size 0
		.amdhsa_uses_dynamic_stack 0
		.amdhsa_enable_private_segment 0
		.amdhsa_system_sgpr_workgroup_id_x 1
		.amdhsa_system_sgpr_workgroup_id_y 0
		.amdhsa_system_sgpr_workgroup_id_z 0
		.amdhsa_system_sgpr_workgroup_info 0
		.amdhsa_system_vgpr_workitem_id 0
		.amdhsa_next_free_vgpr 53
		.amdhsa_next_free_sgpr 29
		.amdhsa_accum_offset 56
		.amdhsa_reserve_vcc 1
		.amdhsa_float_round_mode_32 0
		.amdhsa_float_round_mode_16_64 0
		.amdhsa_float_denorm_mode_32 3
		.amdhsa_float_denorm_mode_16_64 3
		.amdhsa_dx10_clamp 1
		.amdhsa_ieee_mode 1
		.amdhsa_fp16_overflow 0
		.amdhsa_tg_split 0
		.amdhsa_exception_fp_ieee_invalid_op 0
		.amdhsa_exception_fp_denorm_src 0
		.amdhsa_exception_fp_ieee_div_zero 0
		.amdhsa_exception_fp_ieee_overflow 0
		.amdhsa_exception_fp_ieee_underflow 0
		.amdhsa_exception_fp_ieee_inexact 0
		.amdhsa_exception_int_div_zero 0
	.end_amdhsa_kernel
	.section	.text._ZN7rocprim17ROCPRIM_400000_NS6detail17trampoline_kernelINS0_14default_configENS1_35adjacent_difference_config_selectorILb1EtEEZNS1_24adjacent_difference_implIS3_Lb1ELb0EPKtPtN6thrust23THRUST_200600_302600_NS4plusItEEEE10hipError_tPvRmT2_T3_mT4_P12ihipStream_tbEUlT_E_NS1_11comp_targetILNS1_3genE5ELNS1_11target_archE942ELNS1_3gpuE9ELNS1_3repE0EEENS1_30default_config_static_selectorELNS0_4arch9wavefront6targetE1EEEvT1_,"axG",@progbits,_ZN7rocprim17ROCPRIM_400000_NS6detail17trampoline_kernelINS0_14default_configENS1_35adjacent_difference_config_selectorILb1EtEEZNS1_24adjacent_difference_implIS3_Lb1ELb0EPKtPtN6thrust23THRUST_200600_302600_NS4plusItEEEE10hipError_tPvRmT2_T3_mT4_P12ihipStream_tbEUlT_E_NS1_11comp_targetILNS1_3genE5ELNS1_11target_archE942ELNS1_3gpuE9ELNS1_3repE0EEENS1_30default_config_static_selectorELNS0_4arch9wavefront6targetE1EEEvT1_,comdat
.Lfunc_end560:
	.size	_ZN7rocprim17ROCPRIM_400000_NS6detail17trampoline_kernelINS0_14default_configENS1_35adjacent_difference_config_selectorILb1EtEEZNS1_24adjacent_difference_implIS3_Lb1ELb0EPKtPtN6thrust23THRUST_200600_302600_NS4plusItEEEE10hipError_tPvRmT2_T3_mT4_P12ihipStream_tbEUlT_E_NS1_11comp_targetILNS1_3genE5ELNS1_11target_archE942ELNS1_3gpuE9ELNS1_3repE0EEENS1_30default_config_static_selectorELNS0_4arch9wavefront6targetE1EEEvT1_, .Lfunc_end560-_ZN7rocprim17ROCPRIM_400000_NS6detail17trampoline_kernelINS0_14default_configENS1_35adjacent_difference_config_selectorILb1EtEEZNS1_24adjacent_difference_implIS3_Lb1ELb0EPKtPtN6thrust23THRUST_200600_302600_NS4plusItEEEE10hipError_tPvRmT2_T3_mT4_P12ihipStream_tbEUlT_E_NS1_11comp_targetILNS1_3genE5ELNS1_11target_archE942ELNS1_3gpuE9ELNS1_3repE0EEENS1_30default_config_static_selectorELNS0_4arch9wavefront6targetE1EEEvT1_
                                        ; -- End function
	.section	.AMDGPU.csdata,"",@progbits
; Kernel info:
; codeLenInByte = 6700
; NumSgprs: 35
; NumVgprs: 53
; NumAgprs: 0
; TotalNumVgprs: 53
; ScratchSize: 0
; MemoryBound: 0
; FloatMode: 240
; IeeeMode: 1
; LDSByteSize: 3968 bytes/workgroup (compile time only)
; SGPRBlocks: 4
; VGPRBlocks: 6
; NumSGPRsForWavesPerEU: 35
; NumVGPRsForWavesPerEU: 53
; AccumOffset: 56
; Occupancy: 4
; WaveLimiterHint : 1
; COMPUTE_PGM_RSRC2:SCRATCH_EN: 0
; COMPUTE_PGM_RSRC2:USER_SGPR: 2
; COMPUTE_PGM_RSRC2:TRAP_HANDLER: 0
; COMPUTE_PGM_RSRC2:TGID_X_EN: 1
; COMPUTE_PGM_RSRC2:TGID_Y_EN: 0
; COMPUTE_PGM_RSRC2:TGID_Z_EN: 0
; COMPUTE_PGM_RSRC2:TIDIG_COMP_CNT: 0
; COMPUTE_PGM_RSRC3_GFX90A:ACCUM_OFFSET: 13
; COMPUTE_PGM_RSRC3_GFX90A:TG_SPLIT: 0
	.section	.text._ZN7rocprim17ROCPRIM_400000_NS6detail17trampoline_kernelINS0_14default_configENS1_35adjacent_difference_config_selectorILb1EtEEZNS1_24adjacent_difference_implIS3_Lb1ELb0EPKtPtN6thrust23THRUST_200600_302600_NS4plusItEEEE10hipError_tPvRmT2_T3_mT4_P12ihipStream_tbEUlT_E_NS1_11comp_targetILNS1_3genE4ELNS1_11target_archE910ELNS1_3gpuE8ELNS1_3repE0EEENS1_30default_config_static_selectorELNS0_4arch9wavefront6targetE1EEEvT1_,"axG",@progbits,_ZN7rocprim17ROCPRIM_400000_NS6detail17trampoline_kernelINS0_14default_configENS1_35adjacent_difference_config_selectorILb1EtEEZNS1_24adjacent_difference_implIS3_Lb1ELb0EPKtPtN6thrust23THRUST_200600_302600_NS4plusItEEEE10hipError_tPvRmT2_T3_mT4_P12ihipStream_tbEUlT_E_NS1_11comp_targetILNS1_3genE4ELNS1_11target_archE910ELNS1_3gpuE8ELNS1_3repE0EEENS1_30default_config_static_selectorELNS0_4arch9wavefront6targetE1EEEvT1_,comdat
	.protected	_ZN7rocprim17ROCPRIM_400000_NS6detail17trampoline_kernelINS0_14default_configENS1_35adjacent_difference_config_selectorILb1EtEEZNS1_24adjacent_difference_implIS3_Lb1ELb0EPKtPtN6thrust23THRUST_200600_302600_NS4plusItEEEE10hipError_tPvRmT2_T3_mT4_P12ihipStream_tbEUlT_E_NS1_11comp_targetILNS1_3genE4ELNS1_11target_archE910ELNS1_3gpuE8ELNS1_3repE0EEENS1_30default_config_static_selectorELNS0_4arch9wavefront6targetE1EEEvT1_ ; -- Begin function _ZN7rocprim17ROCPRIM_400000_NS6detail17trampoline_kernelINS0_14default_configENS1_35adjacent_difference_config_selectorILb1EtEEZNS1_24adjacent_difference_implIS3_Lb1ELb0EPKtPtN6thrust23THRUST_200600_302600_NS4plusItEEEE10hipError_tPvRmT2_T3_mT4_P12ihipStream_tbEUlT_E_NS1_11comp_targetILNS1_3genE4ELNS1_11target_archE910ELNS1_3gpuE8ELNS1_3repE0EEENS1_30default_config_static_selectorELNS0_4arch9wavefront6targetE1EEEvT1_
	.globl	_ZN7rocprim17ROCPRIM_400000_NS6detail17trampoline_kernelINS0_14default_configENS1_35adjacent_difference_config_selectorILb1EtEEZNS1_24adjacent_difference_implIS3_Lb1ELb0EPKtPtN6thrust23THRUST_200600_302600_NS4plusItEEEE10hipError_tPvRmT2_T3_mT4_P12ihipStream_tbEUlT_E_NS1_11comp_targetILNS1_3genE4ELNS1_11target_archE910ELNS1_3gpuE8ELNS1_3repE0EEENS1_30default_config_static_selectorELNS0_4arch9wavefront6targetE1EEEvT1_
	.p2align	8
	.type	_ZN7rocprim17ROCPRIM_400000_NS6detail17trampoline_kernelINS0_14default_configENS1_35adjacent_difference_config_selectorILb1EtEEZNS1_24adjacent_difference_implIS3_Lb1ELb0EPKtPtN6thrust23THRUST_200600_302600_NS4plusItEEEE10hipError_tPvRmT2_T3_mT4_P12ihipStream_tbEUlT_E_NS1_11comp_targetILNS1_3genE4ELNS1_11target_archE910ELNS1_3gpuE8ELNS1_3repE0EEENS1_30default_config_static_selectorELNS0_4arch9wavefront6targetE1EEEvT1_,@function
_ZN7rocprim17ROCPRIM_400000_NS6detail17trampoline_kernelINS0_14default_configENS1_35adjacent_difference_config_selectorILb1EtEEZNS1_24adjacent_difference_implIS3_Lb1ELb0EPKtPtN6thrust23THRUST_200600_302600_NS4plusItEEEE10hipError_tPvRmT2_T3_mT4_P12ihipStream_tbEUlT_E_NS1_11comp_targetILNS1_3genE4ELNS1_11target_archE910ELNS1_3gpuE8ELNS1_3repE0EEENS1_30default_config_static_selectorELNS0_4arch9wavefront6targetE1EEEvT1_: ; @_ZN7rocprim17ROCPRIM_400000_NS6detail17trampoline_kernelINS0_14default_configENS1_35adjacent_difference_config_selectorILb1EtEEZNS1_24adjacent_difference_implIS3_Lb1ELb0EPKtPtN6thrust23THRUST_200600_302600_NS4plusItEEEE10hipError_tPvRmT2_T3_mT4_P12ihipStream_tbEUlT_E_NS1_11comp_targetILNS1_3genE4ELNS1_11target_archE910ELNS1_3gpuE8ELNS1_3repE0EEENS1_30default_config_static_selectorELNS0_4arch9wavefront6targetE1EEEvT1_
; %bb.0:
	.section	.rodata,"a",@progbits
	.p2align	6, 0x0
	.amdhsa_kernel _ZN7rocprim17ROCPRIM_400000_NS6detail17trampoline_kernelINS0_14default_configENS1_35adjacent_difference_config_selectorILb1EtEEZNS1_24adjacent_difference_implIS3_Lb1ELb0EPKtPtN6thrust23THRUST_200600_302600_NS4plusItEEEE10hipError_tPvRmT2_T3_mT4_P12ihipStream_tbEUlT_E_NS1_11comp_targetILNS1_3genE4ELNS1_11target_archE910ELNS1_3gpuE8ELNS1_3repE0EEENS1_30default_config_static_selectorELNS0_4arch9wavefront6targetE1EEEvT1_
		.amdhsa_group_segment_fixed_size 0
		.amdhsa_private_segment_fixed_size 0
		.amdhsa_kernarg_size 56
		.amdhsa_user_sgpr_count 2
		.amdhsa_user_sgpr_dispatch_ptr 0
		.amdhsa_user_sgpr_queue_ptr 0
		.amdhsa_user_sgpr_kernarg_segment_ptr 1
		.amdhsa_user_sgpr_dispatch_id 0
		.amdhsa_user_sgpr_kernarg_preload_length 0
		.amdhsa_user_sgpr_kernarg_preload_offset 0
		.amdhsa_user_sgpr_private_segment_size 0
		.amdhsa_uses_dynamic_stack 0
		.amdhsa_enable_private_segment 0
		.amdhsa_system_sgpr_workgroup_id_x 1
		.amdhsa_system_sgpr_workgroup_id_y 0
		.amdhsa_system_sgpr_workgroup_id_z 0
		.amdhsa_system_sgpr_workgroup_info 0
		.amdhsa_system_vgpr_workitem_id 0
		.amdhsa_next_free_vgpr 1
		.amdhsa_next_free_sgpr 0
		.amdhsa_accum_offset 4
		.amdhsa_reserve_vcc 0
		.amdhsa_float_round_mode_32 0
		.amdhsa_float_round_mode_16_64 0
		.amdhsa_float_denorm_mode_32 3
		.amdhsa_float_denorm_mode_16_64 3
		.amdhsa_dx10_clamp 1
		.amdhsa_ieee_mode 1
		.amdhsa_fp16_overflow 0
		.amdhsa_tg_split 0
		.amdhsa_exception_fp_ieee_invalid_op 0
		.amdhsa_exception_fp_denorm_src 0
		.amdhsa_exception_fp_ieee_div_zero 0
		.amdhsa_exception_fp_ieee_overflow 0
		.amdhsa_exception_fp_ieee_underflow 0
		.amdhsa_exception_fp_ieee_inexact 0
		.amdhsa_exception_int_div_zero 0
	.end_amdhsa_kernel
	.section	.text._ZN7rocprim17ROCPRIM_400000_NS6detail17trampoline_kernelINS0_14default_configENS1_35adjacent_difference_config_selectorILb1EtEEZNS1_24adjacent_difference_implIS3_Lb1ELb0EPKtPtN6thrust23THRUST_200600_302600_NS4plusItEEEE10hipError_tPvRmT2_T3_mT4_P12ihipStream_tbEUlT_E_NS1_11comp_targetILNS1_3genE4ELNS1_11target_archE910ELNS1_3gpuE8ELNS1_3repE0EEENS1_30default_config_static_selectorELNS0_4arch9wavefront6targetE1EEEvT1_,"axG",@progbits,_ZN7rocprim17ROCPRIM_400000_NS6detail17trampoline_kernelINS0_14default_configENS1_35adjacent_difference_config_selectorILb1EtEEZNS1_24adjacent_difference_implIS3_Lb1ELb0EPKtPtN6thrust23THRUST_200600_302600_NS4plusItEEEE10hipError_tPvRmT2_T3_mT4_P12ihipStream_tbEUlT_E_NS1_11comp_targetILNS1_3genE4ELNS1_11target_archE910ELNS1_3gpuE8ELNS1_3repE0EEENS1_30default_config_static_selectorELNS0_4arch9wavefront6targetE1EEEvT1_,comdat
.Lfunc_end561:
	.size	_ZN7rocprim17ROCPRIM_400000_NS6detail17trampoline_kernelINS0_14default_configENS1_35adjacent_difference_config_selectorILb1EtEEZNS1_24adjacent_difference_implIS3_Lb1ELb0EPKtPtN6thrust23THRUST_200600_302600_NS4plusItEEEE10hipError_tPvRmT2_T3_mT4_P12ihipStream_tbEUlT_E_NS1_11comp_targetILNS1_3genE4ELNS1_11target_archE910ELNS1_3gpuE8ELNS1_3repE0EEENS1_30default_config_static_selectorELNS0_4arch9wavefront6targetE1EEEvT1_, .Lfunc_end561-_ZN7rocprim17ROCPRIM_400000_NS6detail17trampoline_kernelINS0_14default_configENS1_35adjacent_difference_config_selectorILb1EtEEZNS1_24adjacent_difference_implIS3_Lb1ELb0EPKtPtN6thrust23THRUST_200600_302600_NS4plusItEEEE10hipError_tPvRmT2_T3_mT4_P12ihipStream_tbEUlT_E_NS1_11comp_targetILNS1_3genE4ELNS1_11target_archE910ELNS1_3gpuE8ELNS1_3repE0EEENS1_30default_config_static_selectorELNS0_4arch9wavefront6targetE1EEEvT1_
                                        ; -- End function
	.section	.AMDGPU.csdata,"",@progbits
; Kernel info:
; codeLenInByte = 0
; NumSgprs: 6
; NumVgprs: 0
; NumAgprs: 0
; TotalNumVgprs: 0
; ScratchSize: 0
; MemoryBound: 0
; FloatMode: 240
; IeeeMode: 1
; LDSByteSize: 0 bytes/workgroup (compile time only)
; SGPRBlocks: 0
; VGPRBlocks: 0
; NumSGPRsForWavesPerEU: 6
; NumVGPRsForWavesPerEU: 1
; AccumOffset: 4
; Occupancy: 8
; WaveLimiterHint : 0
; COMPUTE_PGM_RSRC2:SCRATCH_EN: 0
; COMPUTE_PGM_RSRC2:USER_SGPR: 2
; COMPUTE_PGM_RSRC2:TRAP_HANDLER: 0
; COMPUTE_PGM_RSRC2:TGID_X_EN: 1
; COMPUTE_PGM_RSRC2:TGID_Y_EN: 0
; COMPUTE_PGM_RSRC2:TGID_Z_EN: 0
; COMPUTE_PGM_RSRC2:TIDIG_COMP_CNT: 0
; COMPUTE_PGM_RSRC3_GFX90A:ACCUM_OFFSET: 0
; COMPUTE_PGM_RSRC3_GFX90A:TG_SPLIT: 0
	.section	.text._ZN7rocprim17ROCPRIM_400000_NS6detail17trampoline_kernelINS0_14default_configENS1_35adjacent_difference_config_selectorILb1EtEEZNS1_24adjacent_difference_implIS3_Lb1ELb0EPKtPtN6thrust23THRUST_200600_302600_NS4plusItEEEE10hipError_tPvRmT2_T3_mT4_P12ihipStream_tbEUlT_E_NS1_11comp_targetILNS1_3genE3ELNS1_11target_archE908ELNS1_3gpuE7ELNS1_3repE0EEENS1_30default_config_static_selectorELNS0_4arch9wavefront6targetE1EEEvT1_,"axG",@progbits,_ZN7rocprim17ROCPRIM_400000_NS6detail17trampoline_kernelINS0_14default_configENS1_35adjacent_difference_config_selectorILb1EtEEZNS1_24adjacent_difference_implIS3_Lb1ELb0EPKtPtN6thrust23THRUST_200600_302600_NS4plusItEEEE10hipError_tPvRmT2_T3_mT4_P12ihipStream_tbEUlT_E_NS1_11comp_targetILNS1_3genE3ELNS1_11target_archE908ELNS1_3gpuE7ELNS1_3repE0EEENS1_30default_config_static_selectorELNS0_4arch9wavefront6targetE1EEEvT1_,comdat
	.protected	_ZN7rocprim17ROCPRIM_400000_NS6detail17trampoline_kernelINS0_14default_configENS1_35adjacent_difference_config_selectorILb1EtEEZNS1_24adjacent_difference_implIS3_Lb1ELb0EPKtPtN6thrust23THRUST_200600_302600_NS4plusItEEEE10hipError_tPvRmT2_T3_mT4_P12ihipStream_tbEUlT_E_NS1_11comp_targetILNS1_3genE3ELNS1_11target_archE908ELNS1_3gpuE7ELNS1_3repE0EEENS1_30default_config_static_selectorELNS0_4arch9wavefront6targetE1EEEvT1_ ; -- Begin function _ZN7rocprim17ROCPRIM_400000_NS6detail17trampoline_kernelINS0_14default_configENS1_35adjacent_difference_config_selectorILb1EtEEZNS1_24adjacent_difference_implIS3_Lb1ELb0EPKtPtN6thrust23THRUST_200600_302600_NS4plusItEEEE10hipError_tPvRmT2_T3_mT4_P12ihipStream_tbEUlT_E_NS1_11comp_targetILNS1_3genE3ELNS1_11target_archE908ELNS1_3gpuE7ELNS1_3repE0EEENS1_30default_config_static_selectorELNS0_4arch9wavefront6targetE1EEEvT1_
	.globl	_ZN7rocprim17ROCPRIM_400000_NS6detail17trampoline_kernelINS0_14default_configENS1_35adjacent_difference_config_selectorILb1EtEEZNS1_24adjacent_difference_implIS3_Lb1ELb0EPKtPtN6thrust23THRUST_200600_302600_NS4plusItEEEE10hipError_tPvRmT2_T3_mT4_P12ihipStream_tbEUlT_E_NS1_11comp_targetILNS1_3genE3ELNS1_11target_archE908ELNS1_3gpuE7ELNS1_3repE0EEENS1_30default_config_static_selectorELNS0_4arch9wavefront6targetE1EEEvT1_
	.p2align	8
	.type	_ZN7rocprim17ROCPRIM_400000_NS6detail17trampoline_kernelINS0_14default_configENS1_35adjacent_difference_config_selectorILb1EtEEZNS1_24adjacent_difference_implIS3_Lb1ELb0EPKtPtN6thrust23THRUST_200600_302600_NS4plusItEEEE10hipError_tPvRmT2_T3_mT4_P12ihipStream_tbEUlT_E_NS1_11comp_targetILNS1_3genE3ELNS1_11target_archE908ELNS1_3gpuE7ELNS1_3repE0EEENS1_30default_config_static_selectorELNS0_4arch9wavefront6targetE1EEEvT1_,@function
_ZN7rocprim17ROCPRIM_400000_NS6detail17trampoline_kernelINS0_14default_configENS1_35adjacent_difference_config_selectorILb1EtEEZNS1_24adjacent_difference_implIS3_Lb1ELb0EPKtPtN6thrust23THRUST_200600_302600_NS4plusItEEEE10hipError_tPvRmT2_T3_mT4_P12ihipStream_tbEUlT_E_NS1_11comp_targetILNS1_3genE3ELNS1_11target_archE908ELNS1_3gpuE7ELNS1_3repE0EEENS1_30default_config_static_selectorELNS0_4arch9wavefront6targetE1EEEvT1_: ; @_ZN7rocprim17ROCPRIM_400000_NS6detail17trampoline_kernelINS0_14default_configENS1_35adjacent_difference_config_selectorILb1EtEEZNS1_24adjacent_difference_implIS3_Lb1ELb0EPKtPtN6thrust23THRUST_200600_302600_NS4plusItEEEE10hipError_tPvRmT2_T3_mT4_P12ihipStream_tbEUlT_E_NS1_11comp_targetILNS1_3genE3ELNS1_11target_archE908ELNS1_3gpuE7ELNS1_3repE0EEENS1_30default_config_static_selectorELNS0_4arch9wavefront6targetE1EEEvT1_
; %bb.0:
	.section	.rodata,"a",@progbits
	.p2align	6, 0x0
	.amdhsa_kernel _ZN7rocprim17ROCPRIM_400000_NS6detail17trampoline_kernelINS0_14default_configENS1_35adjacent_difference_config_selectorILb1EtEEZNS1_24adjacent_difference_implIS3_Lb1ELb0EPKtPtN6thrust23THRUST_200600_302600_NS4plusItEEEE10hipError_tPvRmT2_T3_mT4_P12ihipStream_tbEUlT_E_NS1_11comp_targetILNS1_3genE3ELNS1_11target_archE908ELNS1_3gpuE7ELNS1_3repE0EEENS1_30default_config_static_selectorELNS0_4arch9wavefront6targetE1EEEvT1_
		.amdhsa_group_segment_fixed_size 0
		.amdhsa_private_segment_fixed_size 0
		.amdhsa_kernarg_size 56
		.amdhsa_user_sgpr_count 2
		.amdhsa_user_sgpr_dispatch_ptr 0
		.amdhsa_user_sgpr_queue_ptr 0
		.amdhsa_user_sgpr_kernarg_segment_ptr 1
		.amdhsa_user_sgpr_dispatch_id 0
		.amdhsa_user_sgpr_kernarg_preload_length 0
		.amdhsa_user_sgpr_kernarg_preload_offset 0
		.amdhsa_user_sgpr_private_segment_size 0
		.amdhsa_uses_dynamic_stack 0
		.amdhsa_enable_private_segment 0
		.amdhsa_system_sgpr_workgroup_id_x 1
		.amdhsa_system_sgpr_workgroup_id_y 0
		.amdhsa_system_sgpr_workgroup_id_z 0
		.amdhsa_system_sgpr_workgroup_info 0
		.amdhsa_system_vgpr_workitem_id 0
		.amdhsa_next_free_vgpr 1
		.amdhsa_next_free_sgpr 0
		.amdhsa_accum_offset 4
		.amdhsa_reserve_vcc 0
		.amdhsa_float_round_mode_32 0
		.amdhsa_float_round_mode_16_64 0
		.amdhsa_float_denorm_mode_32 3
		.amdhsa_float_denorm_mode_16_64 3
		.amdhsa_dx10_clamp 1
		.amdhsa_ieee_mode 1
		.amdhsa_fp16_overflow 0
		.amdhsa_tg_split 0
		.amdhsa_exception_fp_ieee_invalid_op 0
		.amdhsa_exception_fp_denorm_src 0
		.amdhsa_exception_fp_ieee_div_zero 0
		.amdhsa_exception_fp_ieee_overflow 0
		.amdhsa_exception_fp_ieee_underflow 0
		.amdhsa_exception_fp_ieee_inexact 0
		.amdhsa_exception_int_div_zero 0
	.end_amdhsa_kernel
	.section	.text._ZN7rocprim17ROCPRIM_400000_NS6detail17trampoline_kernelINS0_14default_configENS1_35adjacent_difference_config_selectorILb1EtEEZNS1_24adjacent_difference_implIS3_Lb1ELb0EPKtPtN6thrust23THRUST_200600_302600_NS4plusItEEEE10hipError_tPvRmT2_T3_mT4_P12ihipStream_tbEUlT_E_NS1_11comp_targetILNS1_3genE3ELNS1_11target_archE908ELNS1_3gpuE7ELNS1_3repE0EEENS1_30default_config_static_selectorELNS0_4arch9wavefront6targetE1EEEvT1_,"axG",@progbits,_ZN7rocprim17ROCPRIM_400000_NS6detail17trampoline_kernelINS0_14default_configENS1_35adjacent_difference_config_selectorILb1EtEEZNS1_24adjacent_difference_implIS3_Lb1ELb0EPKtPtN6thrust23THRUST_200600_302600_NS4plusItEEEE10hipError_tPvRmT2_T3_mT4_P12ihipStream_tbEUlT_E_NS1_11comp_targetILNS1_3genE3ELNS1_11target_archE908ELNS1_3gpuE7ELNS1_3repE0EEENS1_30default_config_static_selectorELNS0_4arch9wavefront6targetE1EEEvT1_,comdat
.Lfunc_end562:
	.size	_ZN7rocprim17ROCPRIM_400000_NS6detail17trampoline_kernelINS0_14default_configENS1_35adjacent_difference_config_selectorILb1EtEEZNS1_24adjacent_difference_implIS3_Lb1ELb0EPKtPtN6thrust23THRUST_200600_302600_NS4plusItEEEE10hipError_tPvRmT2_T3_mT4_P12ihipStream_tbEUlT_E_NS1_11comp_targetILNS1_3genE3ELNS1_11target_archE908ELNS1_3gpuE7ELNS1_3repE0EEENS1_30default_config_static_selectorELNS0_4arch9wavefront6targetE1EEEvT1_, .Lfunc_end562-_ZN7rocprim17ROCPRIM_400000_NS6detail17trampoline_kernelINS0_14default_configENS1_35adjacent_difference_config_selectorILb1EtEEZNS1_24adjacent_difference_implIS3_Lb1ELb0EPKtPtN6thrust23THRUST_200600_302600_NS4plusItEEEE10hipError_tPvRmT2_T3_mT4_P12ihipStream_tbEUlT_E_NS1_11comp_targetILNS1_3genE3ELNS1_11target_archE908ELNS1_3gpuE7ELNS1_3repE0EEENS1_30default_config_static_selectorELNS0_4arch9wavefront6targetE1EEEvT1_
                                        ; -- End function
	.section	.AMDGPU.csdata,"",@progbits
; Kernel info:
; codeLenInByte = 0
; NumSgprs: 6
; NumVgprs: 0
; NumAgprs: 0
; TotalNumVgprs: 0
; ScratchSize: 0
; MemoryBound: 0
; FloatMode: 240
; IeeeMode: 1
; LDSByteSize: 0 bytes/workgroup (compile time only)
; SGPRBlocks: 0
; VGPRBlocks: 0
; NumSGPRsForWavesPerEU: 6
; NumVGPRsForWavesPerEU: 1
; AccumOffset: 4
; Occupancy: 8
; WaveLimiterHint : 0
; COMPUTE_PGM_RSRC2:SCRATCH_EN: 0
; COMPUTE_PGM_RSRC2:USER_SGPR: 2
; COMPUTE_PGM_RSRC2:TRAP_HANDLER: 0
; COMPUTE_PGM_RSRC2:TGID_X_EN: 1
; COMPUTE_PGM_RSRC2:TGID_Y_EN: 0
; COMPUTE_PGM_RSRC2:TGID_Z_EN: 0
; COMPUTE_PGM_RSRC2:TIDIG_COMP_CNT: 0
; COMPUTE_PGM_RSRC3_GFX90A:ACCUM_OFFSET: 0
; COMPUTE_PGM_RSRC3_GFX90A:TG_SPLIT: 0
	.section	.text._ZN7rocprim17ROCPRIM_400000_NS6detail17trampoline_kernelINS0_14default_configENS1_35adjacent_difference_config_selectorILb1EtEEZNS1_24adjacent_difference_implIS3_Lb1ELb0EPKtPtN6thrust23THRUST_200600_302600_NS4plusItEEEE10hipError_tPvRmT2_T3_mT4_P12ihipStream_tbEUlT_E_NS1_11comp_targetILNS1_3genE2ELNS1_11target_archE906ELNS1_3gpuE6ELNS1_3repE0EEENS1_30default_config_static_selectorELNS0_4arch9wavefront6targetE1EEEvT1_,"axG",@progbits,_ZN7rocprim17ROCPRIM_400000_NS6detail17trampoline_kernelINS0_14default_configENS1_35adjacent_difference_config_selectorILb1EtEEZNS1_24adjacent_difference_implIS3_Lb1ELb0EPKtPtN6thrust23THRUST_200600_302600_NS4plusItEEEE10hipError_tPvRmT2_T3_mT4_P12ihipStream_tbEUlT_E_NS1_11comp_targetILNS1_3genE2ELNS1_11target_archE906ELNS1_3gpuE6ELNS1_3repE0EEENS1_30default_config_static_selectorELNS0_4arch9wavefront6targetE1EEEvT1_,comdat
	.protected	_ZN7rocprim17ROCPRIM_400000_NS6detail17trampoline_kernelINS0_14default_configENS1_35adjacent_difference_config_selectorILb1EtEEZNS1_24adjacent_difference_implIS3_Lb1ELb0EPKtPtN6thrust23THRUST_200600_302600_NS4plusItEEEE10hipError_tPvRmT2_T3_mT4_P12ihipStream_tbEUlT_E_NS1_11comp_targetILNS1_3genE2ELNS1_11target_archE906ELNS1_3gpuE6ELNS1_3repE0EEENS1_30default_config_static_selectorELNS0_4arch9wavefront6targetE1EEEvT1_ ; -- Begin function _ZN7rocprim17ROCPRIM_400000_NS6detail17trampoline_kernelINS0_14default_configENS1_35adjacent_difference_config_selectorILb1EtEEZNS1_24adjacent_difference_implIS3_Lb1ELb0EPKtPtN6thrust23THRUST_200600_302600_NS4plusItEEEE10hipError_tPvRmT2_T3_mT4_P12ihipStream_tbEUlT_E_NS1_11comp_targetILNS1_3genE2ELNS1_11target_archE906ELNS1_3gpuE6ELNS1_3repE0EEENS1_30default_config_static_selectorELNS0_4arch9wavefront6targetE1EEEvT1_
	.globl	_ZN7rocprim17ROCPRIM_400000_NS6detail17trampoline_kernelINS0_14default_configENS1_35adjacent_difference_config_selectorILb1EtEEZNS1_24adjacent_difference_implIS3_Lb1ELb0EPKtPtN6thrust23THRUST_200600_302600_NS4plusItEEEE10hipError_tPvRmT2_T3_mT4_P12ihipStream_tbEUlT_E_NS1_11comp_targetILNS1_3genE2ELNS1_11target_archE906ELNS1_3gpuE6ELNS1_3repE0EEENS1_30default_config_static_selectorELNS0_4arch9wavefront6targetE1EEEvT1_
	.p2align	8
	.type	_ZN7rocprim17ROCPRIM_400000_NS6detail17trampoline_kernelINS0_14default_configENS1_35adjacent_difference_config_selectorILb1EtEEZNS1_24adjacent_difference_implIS3_Lb1ELb0EPKtPtN6thrust23THRUST_200600_302600_NS4plusItEEEE10hipError_tPvRmT2_T3_mT4_P12ihipStream_tbEUlT_E_NS1_11comp_targetILNS1_3genE2ELNS1_11target_archE906ELNS1_3gpuE6ELNS1_3repE0EEENS1_30default_config_static_selectorELNS0_4arch9wavefront6targetE1EEEvT1_,@function
_ZN7rocprim17ROCPRIM_400000_NS6detail17trampoline_kernelINS0_14default_configENS1_35adjacent_difference_config_selectorILb1EtEEZNS1_24adjacent_difference_implIS3_Lb1ELb0EPKtPtN6thrust23THRUST_200600_302600_NS4plusItEEEE10hipError_tPvRmT2_T3_mT4_P12ihipStream_tbEUlT_E_NS1_11comp_targetILNS1_3genE2ELNS1_11target_archE906ELNS1_3gpuE6ELNS1_3repE0EEENS1_30default_config_static_selectorELNS0_4arch9wavefront6targetE1EEEvT1_: ; @_ZN7rocprim17ROCPRIM_400000_NS6detail17trampoline_kernelINS0_14default_configENS1_35adjacent_difference_config_selectorILb1EtEEZNS1_24adjacent_difference_implIS3_Lb1ELb0EPKtPtN6thrust23THRUST_200600_302600_NS4plusItEEEE10hipError_tPvRmT2_T3_mT4_P12ihipStream_tbEUlT_E_NS1_11comp_targetILNS1_3genE2ELNS1_11target_archE906ELNS1_3gpuE6ELNS1_3repE0EEENS1_30default_config_static_selectorELNS0_4arch9wavefront6targetE1EEEvT1_
; %bb.0:
	.section	.rodata,"a",@progbits
	.p2align	6, 0x0
	.amdhsa_kernel _ZN7rocprim17ROCPRIM_400000_NS6detail17trampoline_kernelINS0_14default_configENS1_35adjacent_difference_config_selectorILb1EtEEZNS1_24adjacent_difference_implIS3_Lb1ELb0EPKtPtN6thrust23THRUST_200600_302600_NS4plusItEEEE10hipError_tPvRmT2_T3_mT4_P12ihipStream_tbEUlT_E_NS1_11comp_targetILNS1_3genE2ELNS1_11target_archE906ELNS1_3gpuE6ELNS1_3repE0EEENS1_30default_config_static_selectorELNS0_4arch9wavefront6targetE1EEEvT1_
		.amdhsa_group_segment_fixed_size 0
		.amdhsa_private_segment_fixed_size 0
		.amdhsa_kernarg_size 56
		.amdhsa_user_sgpr_count 2
		.amdhsa_user_sgpr_dispatch_ptr 0
		.amdhsa_user_sgpr_queue_ptr 0
		.amdhsa_user_sgpr_kernarg_segment_ptr 1
		.amdhsa_user_sgpr_dispatch_id 0
		.amdhsa_user_sgpr_kernarg_preload_length 0
		.amdhsa_user_sgpr_kernarg_preload_offset 0
		.amdhsa_user_sgpr_private_segment_size 0
		.amdhsa_uses_dynamic_stack 0
		.amdhsa_enable_private_segment 0
		.amdhsa_system_sgpr_workgroup_id_x 1
		.amdhsa_system_sgpr_workgroup_id_y 0
		.amdhsa_system_sgpr_workgroup_id_z 0
		.amdhsa_system_sgpr_workgroup_info 0
		.amdhsa_system_vgpr_workitem_id 0
		.amdhsa_next_free_vgpr 1
		.amdhsa_next_free_sgpr 0
		.amdhsa_accum_offset 4
		.amdhsa_reserve_vcc 0
		.amdhsa_float_round_mode_32 0
		.amdhsa_float_round_mode_16_64 0
		.amdhsa_float_denorm_mode_32 3
		.amdhsa_float_denorm_mode_16_64 3
		.amdhsa_dx10_clamp 1
		.amdhsa_ieee_mode 1
		.amdhsa_fp16_overflow 0
		.amdhsa_tg_split 0
		.amdhsa_exception_fp_ieee_invalid_op 0
		.amdhsa_exception_fp_denorm_src 0
		.amdhsa_exception_fp_ieee_div_zero 0
		.amdhsa_exception_fp_ieee_overflow 0
		.amdhsa_exception_fp_ieee_underflow 0
		.amdhsa_exception_fp_ieee_inexact 0
		.amdhsa_exception_int_div_zero 0
	.end_amdhsa_kernel
	.section	.text._ZN7rocprim17ROCPRIM_400000_NS6detail17trampoline_kernelINS0_14default_configENS1_35adjacent_difference_config_selectorILb1EtEEZNS1_24adjacent_difference_implIS3_Lb1ELb0EPKtPtN6thrust23THRUST_200600_302600_NS4plusItEEEE10hipError_tPvRmT2_T3_mT4_P12ihipStream_tbEUlT_E_NS1_11comp_targetILNS1_3genE2ELNS1_11target_archE906ELNS1_3gpuE6ELNS1_3repE0EEENS1_30default_config_static_selectorELNS0_4arch9wavefront6targetE1EEEvT1_,"axG",@progbits,_ZN7rocprim17ROCPRIM_400000_NS6detail17trampoline_kernelINS0_14default_configENS1_35adjacent_difference_config_selectorILb1EtEEZNS1_24adjacent_difference_implIS3_Lb1ELb0EPKtPtN6thrust23THRUST_200600_302600_NS4plusItEEEE10hipError_tPvRmT2_T3_mT4_P12ihipStream_tbEUlT_E_NS1_11comp_targetILNS1_3genE2ELNS1_11target_archE906ELNS1_3gpuE6ELNS1_3repE0EEENS1_30default_config_static_selectorELNS0_4arch9wavefront6targetE1EEEvT1_,comdat
.Lfunc_end563:
	.size	_ZN7rocprim17ROCPRIM_400000_NS6detail17trampoline_kernelINS0_14default_configENS1_35adjacent_difference_config_selectorILb1EtEEZNS1_24adjacent_difference_implIS3_Lb1ELb0EPKtPtN6thrust23THRUST_200600_302600_NS4plusItEEEE10hipError_tPvRmT2_T3_mT4_P12ihipStream_tbEUlT_E_NS1_11comp_targetILNS1_3genE2ELNS1_11target_archE906ELNS1_3gpuE6ELNS1_3repE0EEENS1_30default_config_static_selectorELNS0_4arch9wavefront6targetE1EEEvT1_, .Lfunc_end563-_ZN7rocprim17ROCPRIM_400000_NS6detail17trampoline_kernelINS0_14default_configENS1_35adjacent_difference_config_selectorILb1EtEEZNS1_24adjacent_difference_implIS3_Lb1ELb0EPKtPtN6thrust23THRUST_200600_302600_NS4plusItEEEE10hipError_tPvRmT2_T3_mT4_P12ihipStream_tbEUlT_E_NS1_11comp_targetILNS1_3genE2ELNS1_11target_archE906ELNS1_3gpuE6ELNS1_3repE0EEENS1_30default_config_static_selectorELNS0_4arch9wavefront6targetE1EEEvT1_
                                        ; -- End function
	.section	.AMDGPU.csdata,"",@progbits
; Kernel info:
; codeLenInByte = 0
; NumSgprs: 6
; NumVgprs: 0
; NumAgprs: 0
; TotalNumVgprs: 0
; ScratchSize: 0
; MemoryBound: 0
; FloatMode: 240
; IeeeMode: 1
; LDSByteSize: 0 bytes/workgroup (compile time only)
; SGPRBlocks: 0
; VGPRBlocks: 0
; NumSGPRsForWavesPerEU: 6
; NumVGPRsForWavesPerEU: 1
; AccumOffset: 4
; Occupancy: 8
; WaveLimiterHint : 0
; COMPUTE_PGM_RSRC2:SCRATCH_EN: 0
; COMPUTE_PGM_RSRC2:USER_SGPR: 2
; COMPUTE_PGM_RSRC2:TRAP_HANDLER: 0
; COMPUTE_PGM_RSRC2:TGID_X_EN: 1
; COMPUTE_PGM_RSRC2:TGID_Y_EN: 0
; COMPUTE_PGM_RSRC2:TGID_Z_EN: 0
; COMPUTE_PGM_RSRC2:TIDIG_COMP_CNT: 0
; COMPUTE_PGM_RSRC3_GFX90A:ACCUM_OFFSET: 0
; COMPUTE_PGM_RSRC3_GFX90A:TG_SPLIT: 0
	.section	.text._ZN7rocprim17ROCPRIM_400000_NS6detail17trampoline_kernelINS0_14default_configENS1_35adjacent_difference_config_selectorILb1EtEEZNS1_24adjacent_difference_implIS3_Lb1ELb0EPKtPtN6thrust23THRUST_200600_302600_NS4plusItEEEE10hipError_tPvRmT2_T3_mT4_P12ihipStream_tbEUlT_E_NS1_11comp_targetILNS1_3genE9ELNS1_11target_archE1100ELNS1_3gpuE3ELNS1_3repE0EEENS1_30default_config_static_selectorELNS0_4arch9wavefront6targetE1EEEvT1_,"axG",@progbits,_ZN7rocprim17ROCPRIM_400000_NS6detail17trampoline_kernelINS0_14default_configENS1_35adjacent_difference_config_selectorILb1EtEEZNS1_24adjacent_difference_implIS3_Lb1ELb0EPKtPtN6thrust23THRUST_200600_302600_NS4plusItEEEE10hipError_tPvRmT2_T3_mT4_P12ihipStream_tbEUlT_E_NS1_11comp_targetILNS1_3genE9ELNS1_11target_archE1100ELNS1_3gpuE3ELNS1_3repE0EEENS1_30default_config_static_selectorELNS0_4arch9wavefront6targetE1EEEvT1_,comdat
	.protected	_ZN7rocprim17ROCPRIM_400000_NS6detail17trampoline_kernelINS0_14default_configENS1_35adjacent_difference_config_selectorILb1EtEEZNS1_24adjacent_difference_implIS3_Lb1ELb0EPKtPtN6thrust23THRUST_200600_302600_NS4plusItEEEE10hipError_tPvRmT2_T3_mT4_P12ihipStream_tbEUlT_E_NS1_11comp_targetILNS1_3genE9ELNS1_11target_archE1100ELNS1_3gpuE3ELNS1_3repE0EEENS1_30default_config_static_selectorELNS0_4arch9wavefront6targetE1EEEvT1_ ; -- Begin function _ZN7rocprim17ROCPRIM_400000_NS6detail17trampoline_kernelINS0_14default_configENS1_35adjacent_difference_config_selectorILb1EtEEZNS1_24adjacent_difference_implIS3_Lb1ELb0EPKtPtN6thrust23THRUST_200600_302600_NS4plusItEEEE10hipError_tPvRmT2_T3_mT4_P12ihipStream_tbEUlT_E_NS1_11comp_targetILNS1_3genE9ELNS1_11target_archE1100ELNS1_3gpuE3ELNS1_3repE0EEENS1_30default_config_static_selectorELNS0_4arch9wavefront6targetE1EEEvT1_
	.globl	_ZN7rocprim17ROCPRIM_400000_NS6detail17trampoline_kernelINS0_14default_configENS1_35adjacent_difference_config_selectorILb1EtEEZNS1_24adjacent_difference_implIS3_Lb1ELb0EPKtPtN6thrust23THRUST_200600_302600_NS4plusItEEEE10hipError_tPvRmT2_T3_mT4_P12ihipStream_tbEUlT_E_NS1_11comp_targetILNS1_3genE9ELNS1_11target_archE1100ELNS1_3gpuE3ELNS1_3repE0EEENS1_30default_config_static_selectorELNS0_4arch9wavefront6targetE1EEEvT1_
	.p2align	8
	.type	_ZN7rocprim17ROCPRIM_400000_NS6detail17trampoline_kernelINS0_14default_configENS1_35adjacent_difference_config_selectorILb1EtEEZNS1_24adjacent_difference_implIS3_Lb1ELb0EPKtPtN6thrust23THRUST_200600_302600_NS4plusItEEEE10hipError_tPvRmT2_T3_mT4_P12ihipStream_tbEUlT_E_NS1_11comp_targetILNS1_3genE9ELNS1_11target_archE1100ELNS1_3gpuE3ELNS1_3repE0EEENS1_30default_config_static_selectorELNS0_4arch9wavefront6targetE1EEEvT1_,@function
_ZN7rocprim17ROCPRIM_400000_NS6detail17trampoline_kernelINS0_14default_configENS1_35adjacent_difference_config_selectorILb1EtEEZNS1_24adjacent_difference_implIS3_Lb1ELb0EPKtPtN6thrust23THRUST_200600_302600_NS4plusItEEEE10hipError_tPvRmT2_T3_mT4_P12ihipStream_tbEUlT_E_NS1_11comp_targetILNS1_3genE9ELNS1_11target_archE1100ELNS1_3gpuE3ELNS1_3repE0EEENS1_30default_config_static_selectorELNS0_4arch9wavefront6targetE1EEEvT1_: ; @_ZN7rocprim17ROCPRIM_400000_NS6detail17trampoline_kernelINS0_14default_configENS1_35adjacent_difference_config_selectorILb1EtEEZNS1_24adjacent_difference_implIS3_Lb1ELb0EPKtPtN6thrust23THRUST_200600_302600_NS4plusItEEEE10hipError_tPvRmT2_T3_mT4_P12ihipStream_tbEUlT_E_NS1_11comp_targetILNS1_3genE9ELNS1_11target_archE1100ELNS1_3gpuE3ELNS1_3repE0EEENS1_30default_config_static_selectorELNS0_4arch9wavefront6targetE1EEEvT1_
; %bb.0:
	.section	.rodata,"a",@progbits
	.p2align	6, 0x0
	.amdhsa_kernel _ZN7rocprim17ROCPRIM_400000_NS6detail17trampoline_kernelINS0_14default_configENS1_35adjacent_difference_config_selectorILb1EtEEZNS1_24adjacent_difference_implIS3_Lb1ELb0EPKtPtN6thrust23THRUST_200600_302600_NS4plusItEEEE10hipError_tPvRmT2_T3_mT4_P12ihipStream_tbEUlT_E_NS1_11comp_targetILNS1_3genE9ELNS1_11target_archE1100ELNS1_3gpuE3ELNS1_3repE0EEENS1_30default_config_static_selectorELNS0_4arch9wavefront6targetE1EEEvT1_
		.amdhsa_group_segment_fixed_size 0
		.amdhsa_private_segment_fixed_size 0
		.amdhsa_kernarg_size 56
		.amdhsa_user_sgpr_count 2
		.amdhsa_user_sgpr_dispatch_ptr 0
		.amdhsa_user_sgpr_queue_ptr 0
		.amdhsa_user_sgpr_kernarg_segment_ptr 1
		.amdhsa_user_sgpr_dispatch_id 0
		.amdhsa_user_sgpr_kernarg_preload_length 0
		.amdhsa_user_sgpr_kernarg_preload_offset 0
		.amdhsa_user_sgpr_private_segment_size 0
		.amdhsa_uses_dynamic_stack 0
		.amdhsa_enable_private_segment 0
		.amdhsa_system_sgpr_workgroup_id_x 1
		.amdhsa_system_sgpr_workgroup_id_y 0
		.amdhsa_system_sgpr_workgroup_id_z 0
		.amdhsa_system_sgpr_workgroup_info 0
		.amdhsa_system_vgpr_workitem_id 0
		.amdhsa_next_free_vgpr 1
		.amdhsa_next_free_sgpr 0
		.amdhsa_accum_offset 4
		.amdhsa_reserve_vcc 0
		.amdhsa_float_round_mode_32 0
		.amdhsa_float_round_mode_16_64 0
		.amdhsa_float_denorm_mode_32 3
		.amdhsa_float_denorm_mode_16_64 3
		.amdhsa_dx10_clamp 1
		.amdhsa_ieee_mode 1
		.amdhsa_fp16_overflow 0
		.amdhsa_tg_split 0
		.amdhsa_exception_fp_ieee_invalid_op 0
		.amdhsa_exception_fp_denorm_src 0
		.amdhsa_exception_fp_ieee_div_zero 0
		.amdhsa_exception_fp_ieee_overflow 0
		.amdhsa_exception_fp_ieee_underflow 0
		.amdhsa_exception_fp_ieee_inexact 0
		.amdhsa_exception_int_div_zero 0
	.end_amdhsa_kernel
	.section	.text._ZN7rocprim17ROCPRIM_400000_NS6detail17trampoline_kernelINS0_14default_configENS1_35adjacent_difference_config_selectorILb1EtEEZNS1_24adjacent_difference_implIS3_Lb1ELb0EPKtPtN6thrust23THRUST_200600_302600_NS4plusItEEEE10hipError_tPvRmT2_T3_mT4_P12ihipStream_tbEUlT_E_NS1_11comp_targetILNS1_3genE9ELNS1_11target_archE1100ELNS1_3gpuE3ELNS1_3repE0EEENS1_30default_config_static_selectorELNS0_4arch9wavefront6targetE1EEEvT1_,"axG",@progbits,_ZN7rocprim17ROCPRIM_400000_NS6detail17trampoline_kernelINS0_14default_configENS1_35adjacent_difference_config_selectorILb1EtEEZNS1_24adjacent_difference_implIS3_Lb1ELb0EPKtPtN6thrust23THRUST_200600_302600_NS4plusItEEEE10hipError_tPvRmT2_T3_mT4_P12ihipStream_tbEUlT_E_NS1_11comp_targetILNS1_3genE9ELNS1_11target_archE1100ELNS1_3gpuE3ELNS1_3repE0EEENS1_30default_config_static_selectorELNS0_4arch9wavefront6targetE1EEEvT1_,comdat
.Lfunc_end564:
	.size	_ZN7rocprim17ROCPRIM_400000_NS6detail17trampoline_kernelINS0_14default_configENS1_35adjacent_difference_config_selectorILb1EtEEZNS1_24adjacent_difference_implIS3_Lb1ELb0EPKtPtN6thrust23THRUST_200600_302600_NS4plusItEEEE10hipError_tPvRmT2_T3_mT4_P12ihipStream_tbEUlT_E_NS1_11comp_targetILNS1_3genE9ELNS1_11target_archE1100ELNS1_3gpuE3ELNS1_3repE0EEENS1_30default_config_static_selectorELNS0_4arch9wavefront6targetE1EEEvT1_, .Lfunc_end564-_ZN7rocprim17ROCPRIM_400000_NS6detail17trampoline_kernelINS0_14default_configENS1_35adjacent_difference_config_selectorILb1EtEEZNS1_24adjacent_difference_implIS3_Lb1ELb0EPKtPtN6thrust23THRUST_200600_302600_NS4plusItEEEE10hipError_tPvRmT2_T3_mT4_P12ihipStream_tbEUlT_E_NS1_11comp_targetILNS1_3genE9ELNS1_11target_archE1100ELNS1_3gpuE3ELNS1_3repE0EEENS1_30default_config_static_selectorELNS0_4arch9wavefront6targetE1EEEvT1_
                                        ; -- End function
	.section	.AMDGPU.csdata,"",@progbits
; Kernel info:
; codeLenInByte = 0
; NumSgprs: 6
; NumVgprs: 0
; NumAgprs: 0
; TotalNumVgprs: 0
; ScratchSize: 0
; MemoryBound: 0
; FloatMode: 240
; IeeeMode: 1
; LDSByteSize: 0 bytes/workgroup (compile time only)
; SGPRBlocks: 0
; VGPRBlocks: 0
; NumSGPRsForWavesPerEU: 6
; NumVGPRsForWavesPerEU: 1
; AccumOffset: 4
; Occupancy: 8
; WaveLimiterHint : 0
; COMPUTE_PGM_RSRC2:SCRATCH_EN: 0
; COMPUTE_PGM_RSRC2:USER_SGPR: 2
; COMPUTE_PGM_RSRC2:TRAP_HANDLER: 0
; COMPUTE_PGM_RSRC2:TGID_X_EN: 1
; COMPUTE_PGM_RSRC2:TGID_Y_EN: 0
; COMPUTE_PGM_RSRC2:TGID_Z_EN: 0
; COMPUTE_PGM_RSRC2:TIDIG_COMP_CNT: 0
; COMPUTE_PGM_RSRC3_GFX90A:ACCUM_OFFSET: 0
; COMPUTE_PGM_RSRC3_GFX90A:TG_SPLIT: 0
	.section	.text._ZN7rocprim17ROCPRIM_400000_NS6detail17trampoline_kernelINS0_14default_configENS1_35adjacent_difference_config_selectorILb1EtEEZNS1_24adjacent_difference_implIS3_Lb1ELb0EPKtPtN6thrust23THRUST_200600_302600_NS4plusItEEEE10hipError_tPvRmT2_T3_mT4_P12ihipStream_tbEUlT_E_NS1_11comp_targetILNS1_3genE8ELNS1_11target_archE1030ELNS1_3gpuE2ELNS1_3repE0EEENS1_30default_config_static_selectorELNS0_4arch9wavefront6targetE1EEEvT1_,"axG",@progbits,_ZN7rocprim17ROCPRIM_400000_NS6detail17trampoline_kernelINS0_14default_configENS1_35adjacent_difference_config_selectorILb1EtEEZNS1_24adjacent_difference_implIS3_Lb1ELb0EPKtPtN6thrust23THRUST_200600_302600_NS4plusItEEEE10hipError_tPvRmT2_T3_mT4_P12ihipStream_tbEUlT_E_NS1_11comp_targetILNS1_3genE8ELNS1_11target_archE1030ELNS1_3gpuE2ELNS1_3repE0EEENS1_30default_config_static_selectorELNS0_4arch9wavefront6targetE1EEEvT1_,comdat
	.protected	_ZN7rocprim17ROCPRIM_400000_NS6detail17trampoline_kernelINS0_14default_configENS1_35adjacent_difference_config_selectorILb1EtEEZNS1_24adjacent_difference_implIS3_Lb1ELb0EPKtPtN6thrust23THRUST_200600_302600_NS4plusItEEEE10hipError_tPvRmT2_T3_mT4_P12ihipStream_tbEUlT_E_NS1_11comp_targetILNS1_3genE8ELNS1_11target_archE1030ELNS1_3gpuE2ELNS1_3repE0EEENS1_30default_config_static_selectorELNS0_4arch9wavefront6targetE1EEEvT1_ ; -- Begin function _ZN7rocprim17ROCPRIM_400000_NS6detail17trampoline_kernelINS0_14default_configENS1_35adjacent_difference_config_selectorILb1EtEEZNS1_24adjacent_difference_implIS3_Lb1ELb0EPKtPtN6thrust23THRUST_200600_302600_NS4plusItEEEE10hipError_tPvRmT2_T3_mT4_P12ihipStream_tbEUlT_E_NS1_11comp_targetILNS1_3genE8ELNS1_11target_archE1030ELNS1_3gpuE2ELNS1_3repE0EEENS1_30default_config_static_selectorELNS0_4arch9wavefront6targetE1EEEvT1_
	.globl	_ZN7rocprim17ROCPRIM_400000_NS6detail17trampoline_kernelINS0_14default_configENS1_35adjacent_difference_config_selectorILb1EtEEZNS1_24adjacent_difference_implIS3_Lb1ELb0EPKtPtN6thrust23THRUST_200600_302600_NS4plusItEEEE10hipError_tPvRmT2_T3_mT4_P12ihipStream_tbEUlT_E_NS1_11comp_targetILNS1_3genE8ELNS1_11target_archE1030ELNS1_3gpuE2ELNS1_3repE0EEENS1_30default_config_static_selectorELNS0_4arch9wavefront6targetE1EEEvT1_
	.p2align	8
	.type	_ZN7rocprim17ROCPRIM_400000_NS6detail17trampoline_kernelINS0_14default_configENS1_35adjacent_difference_config_selectorILb1EtEEZNS1_24adjacent_difference_implIS3_Lb1ELb0EPKtPtN6thrust23THRUST_200600_302600_NS4plusItEEEE10hipError_tPvRmT2_T3_mT4_P12ihipStream_tbEUlT_E_NS1_11comp_targetILNS1_3genE8ELNS1_11target_archE1030ELNS1_3gpuE2ELNS1_3repE0EEENS1_30default_config_static_selectorELNS0_4arch9wavefront6targetE1EEEvT1_,@function
_ZN7rocprim17ROCPRIM_400000_NS6detail17trampoline_kernelINS0_14default_configENS1_35adjacent_difference_config_selectorILb1EtEEZNS1_24adjacent_difference_implIS3_Lb1ELb0EPKtPtN6thrust23THRUST_200600_302600_NS4plusItEEEE10hipError_tPvRmT2_T3_mT4_P12ihipStream_tbEUlT_E_NS1_11comp_targetILNS1_3genE8ELNS1_11target_archE1030ELNS1_3gpuE2ELNS1_3repE0EEENS1_30default_config_static_selectorELNS0_4arch9wavefront6targetE1EEEvT1_: ; @_ZN7rocprim17ROCPRIM_400000_NS6detail17trampoline_kernelINS0_14default_configENS1_35adjacent_difference_config_selectorILb1EtEEZNS1_24adjacent_difference_implIS3_Lb1ELb0EPKtPtN6thrust23THRUST_200600_302600_NS4plusItEEEE10hipError_tPvRmT2_T3_mT4_P12ihipStream_tbEUlT_E_NS1_11comp_targetILNS1_3genE8ELNS1_11target_archE1030ELNS1_3gpuE2ELNS1_3repE0EEENS1_30default_config_static_selectorELNS0_4arch9wavefront6targetE1EEEvT1_
; %bb.0:
	.section	.rodata,"a",@progbits
	.p2align	6, 0x0
	.amdhsa_kernel _ZN7rocprim17ROCPRIM_400000_NS6detail17trampoline_kernelINS0_14default_configENS1_35adjacent_difference_config_selectorILb1EtEEZNS1_24adjacent_difference_implIS3_Lb1ELb0EPKtPtN6thrust23THRUST_200600_302600_NS4plusItEEEE10hipError_tPvRmT2_T3_mT4_P12ihipStream_tbEUlT_E_NS1_11comp_targetILNS1_3genE8ELNS1_11target_archE1030ELNS1_3gpuE2ELNS1_3repE0EEENS1_30default_config_static_selectorELNS0_4arch9wavefront6targetE1EEEvT1_
		.amdhsa_group_segment_fixed_size 0
		.amdhsa_private_segment_fixed_size 0
		.amdhsa_kernarg_size 56
		.amdhsa_user_sgpr_count 2
		.amdhsa_user_sgpr_dispatch_ptr 0
		.amdhsa_user_sgpr_queue_ptr 0
		.amdhsa_user_sgpr_kernarg_segment_ptr 1
		.amdhsa_user_sgpr_dispatch_id 0
		.amdhsa_user_sgpr_kernarg_preload_length 0
		.amdhsa_user_sgpr_kernarg_preload_offset 0
		.amdhsa_user_sgpr_private_segment_size 0
		.amdhsa_uses_dynamic_stack 0
		.amdhsa_enable_private_segment 0
		.amdhsa_system_sgpr_workgroup_id_x 1
		.amdhsa_system_sgpr_workgroup_id_y 0
		.amdhsa_system_sgpr_workgroup_id_z 0
		.amdhsa_system_sgpr_workgroup_info 0
		.amdhsa_system_vgpr_workitem_id 0
		.amdhsa_next_free_vgpr 1
		.amdhsa_next_free_sgpr 0
		.amdhsa_accum_offset 4
		.amdhsa_reserve_vcc 0
		.amdhsa_float_round_mode_32 0
		.amdhsa_float_round_mode_16_64 0
		.amdhsa_float_denorm_mode_32 3
		.amdhsa_float_denorm_mode_16_64 3
		.amdhsa_dx10_clamp 1
		.amdhsa_ieee_mode 1
		.amdhsa_fp16_overflow 0
		.amdhsa_tg_split 0
		.amdhsa_exception_fp_ieee_invalid_op 0
		.amdhsa_exception_fp_denorm_src 0
		.amdhsa_exception_fp_ieee_div_zero 0
		.amdhsa_exception_fp_ieee_overflow 0
		.amdhsa_exception_fp_ieee_underflow 0
		.amdhsa_exception_fp_ieee_inexact 0
		.amdhsa_exception_int_div_zero 0
	.end_amdhsa_kernel
	.section	.text._ZN7rocprim17ROCPRIM_400000_NS6detail17trampoline_kernelINS0_14default_configENS1_35adjacent_difference_config_selectorILb1EtEEZNS1_24adjacent_difference_implIS3_Lb1ELb0EPKtPtN6thrust23THRUST_200600_302600_NS4plusItEEEE10hipError_tPvRmT2_T3_mT4_P12ihipStream_tbEUlT_E_NS1_11comp_targetILNS1_3genE8ELNS1_11target_archE1030ELNS1_3gpuE2ELNS1_3repE0EEENS1_30default_config_static_selectorELNS0_4arch9wavefront6targetE1EEEvT1_,"axG",@progbits,_ZN7rocprim17ROCPRIM_400000_NS6detail17trampoline_kernelINS0_14default_configENS1_35adjacent_difference_config_selectorILb1EtEEZNS1_24adjacent_difference_implIS3_Lb1ELb0EPKtPtN6thrust23THRUST_200600_302600_NS4plusItEEEE10hipError_tPvRmT2_T3_mT4_P12ihipStream_tbEUlT_E_NS1_11comp_targetILNS1_3genE8ELNS1_11target_archE1030ELNS1_3gpuE2ELNS1_3repE0EEENS1_30default_config_static_selectorELNS0_4arch9wavefront6targetE1EEEvT1_,comdat
.Lfunc_end565:
	.size	_ZN7rocprim17ROCPRIM_400000_NS6detail17trampoline_kernelINS0_14default_configENS1_35adjacent_difference_config_selectorILb1EtEEZNS1_24adjacent_difference_implIS3_Lb1ELb0EPKtPtN6thrust23THRUST_200600_302600_NS4plusItEEEE10hipError_tPvRmT2_T3_mT4_P12ihipStream_tbEUlT_E_NS1_11comp_targetILNS1_3genE8ELNS1_11target_archE1030ELNS1_3gpuE2ELNS1_3repE0EEENS1_30default_config_static_selectorELNS0_4arch9wavefront6targetE1EEEvT1_, .Lfunc_end565-_ZN7rocprim17ROCPRIM_400000_NS6detail17trampoline_kernelINS0_14default_configENS1_35adjacent_difference_config_selectorILb1EtEEZNS1_24adjacent_difference_implIS3_Lb1ELb0EPKtPtN6thrust23THRUST_200600_302600_NS4plusItEEEE10hipError_tPvRmT2_T3_mT4_P12ihipStream_tbEUlT_E_NS1_11comp_targetILNS1_3genE8ELNS1_11target_archE1030ELNS1_3gpuE2ELNS1_3repE0EEENS1_30default_config_static_selectorELNS0_4arch9wavefront6targetE1EEEvT1_
                                        ; -- End function
	.section	.AMDGPU.csdata,"",@progbits
; Kernel info:
; codeLenInByte = 0
; NumSgprs: 6
; NumVgprs: 0
; NumAgprs: 0
; TotalNumVgprs: 0
; ScratchSize: 0
; MemoryBound: 0
; FloatMode: 240
; IeeeMode: 1
; LDSByteSize: 0 bytes/workgroup (compile time only)
; SGPRBlocks: 0
; VGPRBlocks: 0
; NumSGPRsForWavesPerEU: 6
; NumVGPRsForWavesPerEU: 1
; AccumOffset: 4
; Occupancy: 8
; WaveLimiterHint : 0
; COMPUTE_PGM_RSRC2:SCRATCH_EN: 0
; COMPUTE_PGM_RSRC2:USER_SGPR: 2
; COMPUTE_PGM_RSRC2:TRAP_HANDLER: 0
; COMPUTE_PGM_RSRC2:TGID_X_EN: 1
; COMPUTE_PGM_RSRC2:TGID_Y_EN: 0
; COMPUTE_PGM_RSRC2:TGID_Z_EN: 0
; COMPUTE_PGM_RSRC2:TIDIG_COMP_CNT: 0
; COMPUTE_PGM_RSRC3_GFX90A:ACCUM_OFFSET: 0
; COMPUTE_PGM_RSRC3_GFX90A:TG_SPLIT: 0
	.section	.text._ZN7rocprim17ROCPRIM_400000_NS6detail17trampoline_kernelINS0_14default_configENS1_35adjacent_difference_config_selectorILb0EiEEZNS1_24adjacent_difference_implIS3_Lb0ELb0EPKiPiN6thrust23THRUST_200600_302600_NS4plusIiEEEE10hipError_tPvRmT2_T3_mT4_P12ihipStream_tbEUlT_E_NS1_11comp_targetILNS1_3genE0ELNS1_11target_archE4294967295ELNS1_3gpuE0ELNS1_3repE0EEENS1_30default_config_static_selectorELNS0_4arch9wavefront6targetE1EEEvT1_,"axG",@progbits,_ZN7rocprim17ROCPRIM_400000_NS6detail17trampoline_kernelINS0_14default_configENS1_35adjacent_difference_config_selectorILb0EiEEZNS1_24adjacent_difference_implIS3_Lb0ELb0EPKiPiN6thrust23THRUST_200600_302600_NS4plusIiEEEE10hipError_tPvRmT2_T3_mT4_P12ihipStream_tbEUlT_E_NS1_11comp_targetILNS1_3genE0ELNS1_11target_archE4294967295ELNS1_3gpuE0ELNS1_3repE0EEENS1_30default_config_static_selectorELNS0_4arch9wavefront6targetE1EEEvT1_,comdat
	.protected	_ZN7rocprim17ROCPRIM_400000_NS6detail17trampoline_kernelINS0_14default_configENS1_35adjacent_difference_config_selectorILb0EiEEZNS1_24adjacent_difference_implIS3_Lb0ELb0EPKiPiN6thrust23THRUST_200600_302600_NS4plusIiEEEE10hipError_tPvRmT2_T3_mT4_P12ihipStream_tbEUlT_E_NS1_11comp_targetILNS1_3genE0ELNS1_11target_archE4294967295ELNS1_3gpuE0ELNS1_3repE0EEENS1_30default_config_static_selectorELNS0_4arch9wavefront6targetE1EEEvT1_ ; -- Begin function _ZN7rocprim17ROCPRIM_400000_NS6detail17trampoline_kernelINS0_14default_configENS1_35adjacent_difference_config_selectorILb0EiEEZNS1_24adjacent_difference_implIS3_Lb0ELb0EPKiPiN6thrust23THRUST_200600_302600_NS4plusIiEEEE10hipError_tPvRmT2_T3_mT4_P12ihipStream_tbEUlT_E_NS1_11comp_targetILNS1_3genE0ELNS1_11target_archE4294967295ELNS1_3gpuE0ELNS1_3repE0EEENS1_30default_config_static_selectorELNS0_4arch9wavefront6targetE1EEEvT1_
	.globl	_ZN7rocprim17ROCPRIM_400000_NS6detail17trampoline_kernelINS0_14default_configENS1_35adjacent_difference_config_selectorILb0EiEEZNS1_24adjacent_difference_implIS3_Lb0ELb0EPKiPiN6thrust23THRUST_200600_302600_NS4plusIiEEEE10hipError_tPvRmT2_T3_mT4_P12ihipStream_tbEUlT_E_NS1_11comp_targetILNS1_3genE0ELNS1_11target_archE4294967295ELNS1_3gpuE0ELNS1_3repE0EEENS1_30default_config_static_selectorELNS0_4arch9wavefront6targetE1EEEvT1_
	.p2align	8
	.type	_ZN7rocprim17ROCPRIM_400000_NS6detail17trampoline_kernelINS0_14default_configENS1_35adjacent_difference_config_selectorILb0EiEEZNS1_24adjacent_difference_implIS3_Lb0ELb0EPKiPiN6thrust23THRUST_200600_302600_NS4plusIiEEEE10hipError_tPvRmT2_T3_mT4_P12ihipStream_tbEUlT_E_NS1_11comp_targetILNS1_3genE0ELNS1_11target_archE4294967295ELNS1_3gpuE0ELNS1_3repE0EEENS1_30default_config_static_selectorELNS0_4arch9wavefront6targetE1EEEvT1_,@function
_ZN7rocprim17ROCPRIM_400000_NS6detail17trampoline_kernelINS0_14default_configENS1_35adjacent_difference_config_selectorILb0EiEEZNS1_24adjacent_difference_implIS3_Lb0ELb0EPKiPiN6thrust23THRUST_200600_302600_NS4plusIiEEEE10hipError_tPvRmT2_T3_mT4_P12ihipStream_tbEUlT_E_NS1_11comp_targetILNS1_3genE0ELNS1_11target_archE4294967295ELNS1_3gpuE0ELNS1_3repE0EEENS1_30default_config_static_selectorELNS0_4arch9wavefront6targetE1EEEvT1_: ; @_ZN7rocprim17ROCPRIM_400000_NS6detail17trampoline_kernelINS0_14default_configENS1_35adjacent_difference_config_selectorILb0EiEEZNS1_24adjacent_difference_implIS3_Lb0ELb0EPKiPiN6thrust23THRUST_200600_302600_NS4plusIiEEEE10hipError_tPvRmT2_T3_mT4_P12ihipStream_tbEUlT_E_NS1_11comp_targetILNS1_3genE0ELNS1_11target_archE4294967295ELNS1_3gpuE0ELNS1_3repE0EEENS1_30default_config_static_selectorELNS0_4arch9wavefront6targetE1EEEvT1_
; %bb.0:
	.section	.rodata,"a",@progbits
	.p2align	6, 0x0
	.amdhsa_kernel _ZN7rocprim17ROCPRIM_400000_NS6detail17trampoline_kernelINS0_14default_configENS1_35adjacent_difference_config_selectorILb0EiEEZNS1_24adjacent_difference_implIS3_Lb0ELb0EPKiPiN6thrust23THRUST_200600_302600_NS4plusIiEEEE10hipError_tPvRmT2_T3_mT4_P12ihipStream_tbEUlT_E_NS1_11comp_targetILNS1_3genE0ELNS1_11target_archE4294967295ELNS1_3gpuE0ELNS1_3repE0EEENS1_30default_config_static_selectorELNS0_4arch9wavefront6targetE1EEEvT1_
		.amdhsa_group_segment_fixed_size 0
		.amdhsa_private_segment_fixed_size 0
		.amdhsa_kernarg_size 56
		.amdhsa_user_sgpr_count 2
		.amdhsa_user_sgpr_dispatch_ptr 0
		.amdhsa_user_sgpr_queue_ptr 0
		.amdhsa_user_sgpr_kernarg_segment_ptr 1
		.amdhsa_user_sgpr_dispatch_id 0
		.amdhsa_user_sgpr_kernarg_preload_length 0
		.amdhsa_user_sgpr_kernarg_preload_offset 0
		.amdhsa_user_sgpr_private_segment_size 0
		.amdhsa_uses_dynamic_stack 0
		.amdhsa_enable_private_segment 0
		.amdhsa_system_sgpr_workgroup_id_x 1
		.amdhsa_system_sgpr_workgroup_id_y 0
		.amdhsa_system_sgpr_workgroup_id_z 0
		.amdhsa_system_sgpr_workgroup_info 0
		.amdhsa_system_vgpr_workitem_id 0
		.amdhsa_next_free_vgpr 1
		.amdhsa_next_free_sgpr 0
		.amdhsa_accum_offset 4
		.amdhsa_reserve_vcc 0
		.amdhsa_float_round_mode_32 0
		.amdhsa_float_round_mode_16_64 0
		.amdhsa_float_denorm_mode_32 3
		.amdhsa_float_denorm_mode_16_64 3
		.amdhsa_dx10_clamp 1
		.amdhsa_ieee_mode 1
		.amdhsa_fp16_overflow 0
		.amdhsa_tg_split 0
		.amdhsa_exception_fp_ieee_invalid_op 0
		.amdhsa_exception_fp_denorm_src 0
		.amdhsa_exception_fp_ieee_div_zero 0
		.amdhsa_exception_fp_ieee_overflow 0
		.amdhsa_exception_fp_ieee_underflow 0
		.amdhsa_exception_fp_ieee_inexact 0
		.amdhsa_exception_int_div_zero 0
	.end_amdhsa_kernel
	.section	.text._ZN7rocprim17ROCPRIM_400000_NS6detail17trampoline_kernelINS0_14default_configENS1_35adjacent_difference_config_selectorILb0EiEEZNS1_24adjacent_difference_implIS3_Lb0ELb0EPKiPiN6thrust23THRUST_200600_302600_NS4plusIiEEEE10hipError_tPvRmT2_T3_mT4_P12ihipStream_tbEUlT_E_NS1_11comp_targetILNS1_3genE0ELNS1_11target_archE4294967295ELNS1_3gpuE0ELNS1_3repE0EEENS1_30default_config_static_selectorELNS0_4arch9wavefront6targetE1EEEvT1_,"axG",@progbits,_ZN7rocprim17ROCPRIM_400000_NS6detail17trampoline_kernelINS0_14default_configENS1_35adjacent_difference_config_selectorILb0EiEEZNS1_24adjacent_difference_implIS3_Lb0ELb0EPKiPiN6thrust23THRUST_200600_302600_NS4plusIiEEEE10hipError_tPvRmT2_T3_mT4_P12ihipStream_tbEUlT_E_NS1_11comp_targetILNS1_3genE0ELNS1_11target_archE4294967295ELNS1_3gpuE0ELNS1_3repE0EEENS1_30default_config_static_selectorELNS0_4arch9wavefront6targetE1EEEvT1_,comdat
.Lfunc_end566:
	.size	_ZN7rocprim17ROCPRIM_400000_NS6detail17trampoline_kernelINS0_14default_configENS1_35adjacent_difference_config_selectorILb0EiEEZNS1_24adjacent_difference_implIS3_Lb0ELb0EPKiPiN6thrust23THRUST_200600_302600_NS4plusIiEEEE10hipError_tPvRmT2_T3_mT4_P12ihipStream_tbEUlT_E_NS1_11comp_targetILNS1_3genE0ELNS1_11target_archE4294967295ELNS1_3gpuE0ELNS1_3repE0EEENS1_30default_config_static_selectorELNS0_4arch9wavefront6targetE1EEEvT1_, .Lfunc_end566-_ZN7rocprim17ROCPRIM_400000_NS6detail17trampoline_kernelINS0_14default_configENS1_35adjacent_difference_config_selectorILb0EiEEZNS1_24adjacent_difference_implIS3_Lb0ELb0EPKiPiN6thrust23THRUST_200600_302600_NS4plusIiEEEE10hipError_tPvRmT2_T3_mT4_P12ihipStream_tbEUlT_E_NS1_11comp_targetILNS1_3genE0ELNS1_11target_archE4294967295ELNS1_3gpuE0ELNS1_3repE0EEENS1_30default_config_static_selectorELNS0_4arch9wavefront6targetE1EEEvT1_
                                        ; -- End function
	.section	.AMDGPU.csdata,"",@progbits
; Kernel info:
; codeLenInByte = 0
; NumSgprs: 6
; NumVgprs: 0
; NumAgprs: 0
; TotalNumVgprs: 0
; ScratchSize: 0
; MemoryBound: 0
; FloatMode: 240
; IeeeMode: 1
; LDSByteSize: 0 bytes/workgroup (compile time only)
; SGPRBlocks: 0
; VGPRBlocks: 0
; NumSGPRsForWavesPerEU: 6
; NumVGPRsForWavesPerEU: 1
; AccumOffset: 4
; Occupancy: 8
; WaveLimiterHint : 0
; COMPUTE_PGM_RSRC2:SCRATCH_EN: 0
; COMPUTE_PGM_RSRC2:USER_SGPR: 2
; COMPUTE_PGM_RSRC2:TRAP_HANDLER: 0
; COMPUTE_PGM_RSRC2:TGID_X_EN: 1
; COMPUTE_PGM_RSRC2:TGID_Y_EN: 0
; COMPUTE_PGM_RSRC2:TGID_Z_EN: 0
; COMPUTE_PGM_RSRC2:TIDIG_COMP_CNT: 0
; COMPUTE_PGM_RSRC3_GFX90A:ACCUM_OFFSET: 0
; COMPUTE_PGM_RSRC3_GFX90A:TG_SPLIT: 0
	.section	.text._ZN7rocprim17ROCPRIM_400000_NS6detail17trampoline_kernelINS0_14default_configENS1_35adjacent_difference_config_selectorILb0EiEEZNS1_24adjacent_difference_implIS3_Lb0ELb0EPKiPiN6thrust23THRUST_200600_302600_NS4plusIiEEEE10hipError_tPvRmT2_T3_mT4_P12ihipStream_tbEUlT_E_NS1_11comp_targetILNS1_3genE10ELNS1_11target_archE1201ELNS1_3gpuE5ELNS1_3repE0EEENS1_30default_config_static_selectorELNS0_4arch9wavefront6targetE1EEEvT1_,"axG",@progbits,_ZN7rocprim17ROCPRIM_400000_NS6detail17trampoline_kernelINS0_14default_configENS1_35adjacent_difference_config_selectorILb0EiEEZNS1_24adjacent_difference_implIS3_Lb0ELb0EPKiPiN6thrust23THRUST_200600_302600_NS4plusIiEEEE10hipError_tPvRmT2_T3_mT4_P12ihipStream_tbEUlT_E_NS1_11comp_targetILNS1_3genE10ELNS1_11target_archE1201ELNS1_3gpuE5ELNS1_3repE0EEENS1_30default_config_static_selectorELNS0_4arch9wavefront6targetE1EEEvT1_,comdat
	.protected	_ZN7rocprim17ROCPRIM_400000_NS6detail17trampoline_kernelINS0_14default_configENS1_35adjacent_difference_config_selectorILb0EiEEZNS1_24adjacent_difference_implIS3_Lb0ELb0EPKiPiN6thrust23THRUST_200600_302600_NS4plusIiEEEE10hipError_tPvRmT2_T3_mT4_P12ihipStream_tbEUlT_E_NS1_11comp_targetILNS1_3genE10ELNS1_11target_archE1201ELNS1_3gpuE5ELNS1_3repE0EEENS1_30default_config_static_selectorELNS0_4arch9wavefront6targetE1EEEvT1_ ; -- Begin function _ZN7rocprim17ROCPRIM_400000_NS6detail17trampoline_kernelINS0_14default_configENS1_35adjacent_difference_config_selectorILb0EiEEZNS1_24adjacent_difference_implIS3_Lb0ELb0EPKiPiN6thrust23THRUST_200600_302600_NS4plusIiEEEE10hipError_tPvRmT2_T3_mT4_P12ihipStream_tbEUlT_E_NS1_11comp_targetILNS1_3genE10ELNS1_11target_archE1201ELNS1_3gpuE5ELNS1_3repE0EEENS1_30default_config_static_selectorELNS0_4arch9wavefront6targetE1EEEvT1_
	.globl	_ZN7rocprim17ROCPRIM_400000_NS6detail17trampoline_kernelINS0_14default_configENS1_35adjacent_difference_config_selectorILb0EiEEZNS1_24adjacent_difference_implIS3_Lb0ELb0EPKiPiN6thrust23THRUST_200600_302600_NS4plusIiEEEE10hipError_tPvRmT2_T3_mT4_P12ihipStream_tbEUlT_E_NS1_11comp_targetILNS1_3genE10ELNS1_11target_archE1201ELNS1_3gpuE5ELNS1_3repE0EEENS1_30default_config_static_selectorELNS0_4arch9wavefront6targetE1EEEvT1_
	.p2align	8
	.type	_ZN7rocprim17ROCPRIM_400000_NS6detail17trampoline_kernelINS0_14default_configENS1_35adjacent_difference_config_selectorILb0EiEEZNS1_24adjacent_difference_implIS3_Lb0ELb0EPKiPiN6thrust23THRUST_200600_302600_NS4plusIiEEEE10hipError_tPvRmT2_T3_mT4_P12ihipStream_tbEUlT_E_NS1_11comp_targetILNS1_3genE10ELNS1_11target_archE1201ELNS1_3gpuE5ELNS1_3repE0EEENS1_30default_config_static_selectorELNS0_4arch9wavefront6targetE1EEEvT1_,@function
_ZN7rocprim17ROCPRIM_400000_NS6detail17trampoline_kernelINS0_14default_configENS1_35adjacent_difference_config_selectorILb0EiEEZNS1_24adjacent_difference_implIS3_Lb0ELb0EPKiPiN6thrust23THRUST_200600_302600_NS4plusIiEEEE10hipError_tPvRmT2_T3_mT4_P12ihipStream_tbEUlT_E_NS1_11comp_targetILNS1_3genE10ELNS1_11target_archE1201ELNS1_3gpuE5ELNS1_3repE0EEENS1_30default_config_static_selectorELNS0_4arch9wavefront6targetE1EEEvT1_: ; @_ZN7rocprim17ROCPRIM_400000_NS6detail17trampoline_kernelINS0_14default_configENS1_35adjacent_difference_config_selectorILb0EiEEZNS1_24adjacent_difference_implIS3_Lb0ELb0EPKiPiN6thrust23THRUST_200600_302600_NS4plusIiEEEE10hipError_tPvRmT2_T3_mT4_P12ihipStream_tbEUlT_E_NS1_11comp_targetILNS1_3genE10ELNS1_11target_archE1201ELNS1_3gpuE5ELNS1_3repE0EEENS1_30default_config_static_selectorELNS0_4arch9wavefront6targetE1EEEvT1_
; %bb.0:
	.section	.rodata,"a",@progbits
	.p2align	6, 0x0
	.amdhsa_kernel _ZN7rocprim17ROCPRIM_400000_NS6detail17trampoline_kernelINS0_14default_configENS1_35adjacent_difference_config_selectorILb0EiEEZNS1_24adjacent_difference_implIS3_Lb0ELb0EPKiPiN6thrust23THRUST_200600_302600_NS4plusIiEEEE10hipError_tPvRmT2_T3_mT4_P12ihipStream_tbEUlT_E_NS1_11comp_targetILNS1_3genE10ELNS1_11target_archE1201ELNS1_3gpuE5ELNS1_3repE0EEENS1_30default_config_static_selectorELNS0_4arch9wavefront6targetE1EEEvT1_
		.amdhsa_group_segment_fixed_size 0
		.amdhsa_private_segment_fixed_size 0
		.amdhsa_kernarg_size 56
		.amdhsa_user_sgpr_count 2
		.amdhsa_user_sgpr_dispatch_ptr 0
		.amdhsa_user_sgpr_queue_ptr 0
		.amdhsa_user_sgpr_kernarg_segment_ptr 1
		.amdhsa_user_sgpr_dispatch_id 0
		.amdhsa_user_sgpr_kernarg_preload_length 0
		.amdhsa_user_sgpr_kernarg_preload_offset 0
		.amdhsa_user_sgpr_private_segment_size 0
		.amdhsa_uses_dynamic_stack 0
		.amdhsa_enable_private_segment 0
		.amdhsa_system_sgpr_workgroup_id_x 1
		.amdhsa_system_sgpr_workgroup_id_y 0
		.amdhsa_system_sgpr_workgroup_id_z 0
		.amdhsa_system_sgpr_workgroup_info 0
		.amdhsa_system_vgpr_workitem_id 0
		.amdhsa_next_free_vgpr 1
		.amdhsa_next_free_sgpr 0
		.amdhsa_accum_offset 4
		.amdhsa_reserve_vcc 0
		.amdhsa_float_round_mode_32 0
		.amdhsa_float_round_mode_16_64 0
		.amdhsa_float_denorm_mode_32 3
		.amdhsa_float_denorm_mode_16_64 3
		.amdhsa_dx10_clamp 1
		.amdhsa_ieee_mode 1
		.amdhsa_fp16_overflow 0
		.amdhsa_tg_split 0
		.amdhsa_exception_fp_ieee_invalid_op 0
		.amdhsa_exception_fp_denorm_src 0
		.amdhsa_exception_fp_ieee_div_zero 0
		.amdhsa_exception_fp_ieee_overflow 0
		.amdhsa_exception_fp_ieee_underflow 0
		.amdhsa_exception_fp_ieee_inexact 0
		.amdhsa_exception_int_div_zero 0
	.end_amdhsa_kernel
	.section	.text._ZN7rocprim17ROCPRIM_400000_NS6detail17trampoline_kernelINS0_14default_configENS1_35adjacent_difference_config_selectorILb0EiEEZNS1_24adjacent_difference_implIS3_Lb0ELb0EPKiPiN6thrust23THRUST_200600_302600_NS4plusIiEEEE10hipError_tPvRmT2_T3_mT4_P12ihipStream_tbEUlT_E_NS1_11comp_targetILNS1_3genE10ELNS1_11target_archE1201ELNS1_3gpuE5ELNS1_3repE0EEENS1_30default_config_static_selectorELNS0_4arch9wavefront6targetE1EEEvT1_,"axG",@progbits,_ZN7rocprim17ROCPRIM_400000_NS6detail17trampoline_kernelINS0_14default_configENS1_35adjacent_difference_config_selectorILb0EiEEZNS1_24adjacent_difference_implIS3_Lb0ELb0EPKiPiN6thrust23THRUST_200600_302600_NS4plusIiEEEE10hipError_tPvRmT2_T3_mT4_P12ihipStream_tbEUlT_E_NS1_11comp_targetILNS1_3genE10ELNS1_11target_archE1201ELNS1_3gpuE5ELNS1_3repE0EEENS1_30default_config_static_selectorELNS0_4arch9wavefront6targetE1EEEvT1_,comdat
.Lfunc_end567:
	.size	_ZN7rocprim17ROCPRIM_400000_NS6detail17trampoline_kernelINS0_14default_configENS1_35adjacent_difference_config_selectorILb0EiEEZNS1_24adjacent_difference_implIS3_Lb0ELb0EPKiPiN6thrust23THRUST_200600_302600_NS4plusIiEEEE10hipError_tPvRmT2_T3_mT4_P12ihipStream_tbEUlT_E_NS1_11comp_targetILNS1_3genE10ELNS1_11target_archE1201ELNS1_3gpuE5ELNS1_3repE0EEENS1_30default_config_static_selectorELNS0_4arch9wavefront6targetE1EEEvT1_, .Lfunc_end567-_ZN7rocprim17ROCPRIM_400000_NS6detail17trampoline_kernelINS0_14default_configENS1_35adjacent_difference_config_selectorILb0EiEEZNS1_24adjacent_difference_implIS3_Lb0ELb0EPKiPiN6thrust23THRUST_200600_302600_NS4plusIiEEEE10hipError_tPvRmT2_T3_mT4_P12ihipStream_tbEUlT_E_NS1_11comp_targetILNS1_3genE10ELNS1_11target_archE1201ELNS1_3gpuE5ELNS1_3repE0EEENS1_30default_config_static_selectorELNS0_4arch9wavefront6targetE1EEEvT1_
                                        ; -- End function
	.section	.AMDGPU.csdata,"",@progbits
; Kernel info:
; codeLenInByte = 0
; NumSgprs: 6
; NumVgprs: 0
; NumAgprs: 0
; TotalNumVgprs: 0
; ScratchSize: 0
; MemoryBound: 0
; FloatMode: 240
; IeeeMode: 1
; LDSByteSize: 0 bytes/workgroup (compile time only)
; SGPRBlocks: 0
; VGPRBlocks: 0
; NumSGPRsForWavesPerEU: 6
; NumVGPRsForWavesPerEU: 1
; AccumOffset: 4
; Occupancy: 8
; WaveLimiterHint : 0
; COMPUTE_PGM_RSRC2:SCRATCH_EN: 0
; COMPUTE_PGM_RSRC2:USER_SGPR: 2
; COMPUTE_PGM_RSRC2:TRAP_HANDLER: 0
; COMPUTE_PGM_RSRC2:TGID_X_EN: 1
; COMPUTE_PGM_RSRC2:TGID_Y_EN: 0
; COMPUTE_PGM_RSRC2:TGID_Z_EN: 0
; COMPUTE_PGM_RSRC2:TIDIG_COMP_CNT: 0
; COMPUTE_PGM_RSRC3_GFX90A:ACCUM_OFFSET: 0
; COMPUTE_PGM_RSRC3_GFX90A:TG_SPLIT: 0
	.section	.text._ZN7rocprim17ROCPRIM_400000_NS6detail17trampoline_kernelINS0_14default_configENS1_35adjacent_difference_config_selectorILb0EiEEZNS1_24adjacent_difference_implIS3_Lb0ELb0EPKiPiN6thrust23THRUST_200600_302600_NS4plusIiEEEE10hipError_tPvRmT2_T3_mT4_P12ihipStream_tbEUlT_E_NS1_11comp_targetILNS1_3genE5ELNS1_11target_archE942ELNS1_3gpuE9ELNS1_3repE0EEENS1_30default_config_static_selectorELNS0_4arch9wavefront6targetE1EEEvT1_,"axG",@progbits,_ZN7rocprim17ROCPRIM_400000_NS6detail17trampoline_kernelINS0_14default_configENS1_35adjacent_difference_config_selectorILb0EiEEZNS1_24adjacent_difference_implIS3_Lb0ELb0EPKiPiN6thrust23THRUST_200600_302600_NS4plusIiEEEE10hipError_tPvRmT2_T3_mT4_P12ihipStream_tbEUlT_E_NS1_11comp_targetILNS1_3genE5ELNS1_11target_archE942ELNS1_3gpuE9ELNS1_3repE0EEENS1_30default_config_static_selectorELNS0_4arch9wavefront6targetE1EEEvT1_,comdat
	.protected	_ZN7rocprim17ROCPRIM_400000_NS6detail17trampoline_kernelINS0_14default_configENS1_35adjacent_difference_config_selectorILb0EiEEZNS1_24adjacent_difference_implIS3_Lb0ELb0EPKiPiN6thrust23THRUST_200600_302600_NS4plusIiEEEE10hipError_tPvRmT2_T3_mT4_P12ihipStream_tbEUlT_E_NS1_11comp_targetILNS1_3genE5ELNS1_11target_archE942ELNS1_3gpuE9ELNS1_3repE0EEENS1_30default_config_static_selectorELNS0_4arch9wavefront6targetE1EEEvT1_ ; -- Begin function _ZN7rocprim17ROCPRIM_400000_NS6detail17trampoline_kernelINS0_14default_configENS1_35adjacent_difference_config_selectorILb0EiEEZNS1_24adjacent_difference_implIS3_Lb0ELb0EPKiPiN6thrust23THRUST_200600_302600_NS4plusIiEEEE10hipError_tPvRmT2_T3_mT4_P12ihipStream_tbEUlT_E_NS1_11comp_targetILNS1_3genE5ELNS1_11target_archE942ELNS1_3gpuE9ELNS1_3repE0EEENS1_30default_config_static_selectorELNS0_4arch9wavefront6targetE1EEEvT1_
	.globl	_ZN7rocprim17ROCPRIM_400000_NS6detail17trampoline_kernelINS0_14default_configENS1_35adjacent_difference_config_selectorILb0EiEEZNS1_24adjacent_difference_implIS3_Lb0ELb0EPKiPiN6thrust23THRUST_200600_302600_NS4plusIiEEEE10hipError_tPvRmT2_T3_mT4_P12ihipStream_tbEUlT_E_NS1_11comp_targetILNS1_3genE5ELNS1_11target_archE942ELNS1_3gpuE9ELNS1_3repE0EEENS1_30default_config_static_selectorELNS0_4arch9wavefront6targetE1EEEvT1_
	.p2align	8
	.type	_ZN7rocprim17ROCPRIM_400000_NS6detail17trampoline_kernelINS0_14default_configENS1_35adjacent_difference_config_selectorILb0EiEEZNS1_24adjacent_difference_implIS3_Lb0ELb0EPKiPiN6thrust23THRUST_200600_302600_NS4plusIiEEEE10hipError_tPvRmT2_T3_mT4_P12ihipStream_tbEUlT_E_NS1_11comp_targetILNS1_3genE5ELNS1_11target_archE942ELNS1_3gpuE9ELNS1_3repE0EEENS1_30default_config_static_selectorELNS0_4arch9wavefront6targetE1EEEvT1_,@function
_ZN7rocprim17ROCPRIM_400000_NS6detail17trampoline_kernelINS0_14default_configENS1_35adjacent_difference_config_selectorILb0EiEEZNS1_24adjacent_difference_implIS3_Lb0ELb0EPKiPiN6thrust23THRUST_200600_302600_NS4plusIiEEEE10hipError_tPvRmT2_T3_mT4_P12ihipStream_tbEUlT_E_NS1_11comp_targetILNS1_3genE5ELNS1_11target_archE942ELNS1_3gpuE9ELNS1_3repE0EEENS1_30default_config_static_selectorELNS0_4arch9wavefront6targetE1EEEvT1_: ; @_ZN7rocprim17ROCPRIM_400000_NS6detail17trampoline_kernelINS0_14default_configENS1_35adjacent_difference_config_selectorILb0EiEEZNS1_24adjacent_difference_implIS3_Lb0ELb0EPKiPiN6thrust23THRUST_200600_302600_NS4plusIiEEEE10hipError_tPvRmT2_T3_mT4_P12ihipStream_tbEUlT_E_NS1_11comp_targetILNS1_3genE5ELNS1_11target_archE942ELNS1_3gpuE9ELNS1_3repE0EEENS1_30default_config_static_selectorELNS0_4arch9wavefront6targetE1EEEvT1_
; %bb.0:
	s_load_dwordx8 s[4:11], s[0:1], 0x0
	s_mov_b32 s12, 0x8234f460
	s_movk_i32 s3, 0x740
	s_load_dwordx2 s[0:1], s[0:1], 0x30
	s_waitcnt lgkmcnt(0)
	s_lshl_b64 s[6:7], s[6:7], 2
	s_add_u32 s20, s4, s6
	s_addc_u32 s21, s5, s7
	s_add_u32 s12, 0xec, s12
	s_addc_u32 s14, 0, 0
	v_add_co_u32_e64 v1, s[12:13], s12, 2.0
	s_cmp_lg_u64 s[12:13], 0
	s_addc_u32 s12, s14, 0x234f72
	v_readfirstlane_b32 s14, v1
	s_mul_hi_u32 s15, s14, 0xfffff8c0
	s_mul_i32 s13, s12, 0xfffff8c0
	s_sub_i32 s15, s15, s14
	s_add_i32 s15, s15, s13
	s_mul_i32 s17, s14, 0xfffff8c0
	s_mul_hi_u32 s13, s14, s15
	s_mul_i32 s16, s14, s15
	s_mul_hi_u32 s14, s14, s17
	s_add_u32 s14, s14, s16
	s_addc_u32 s13, 0, s13
	s_mul_hi_u32 s18, s12, s17
	s_mul_i32 s17, s12, s17
	s_add_u32 s14, s14, s17
	s_mul_hi_u32 s16, s12, s15
	s_addc_u32 s13, s13, s18
	s_addc_u32 s14, s16, 0
	s_mul_i32 s15, s12, s15
	s_add_u32 s13, s13, s15
	s_addc_u32 s14, 0, s14
	v_add_co_u32_e32 v1, vcc, s13, v1
	s_cmp_lg_u64 vcc, 0
	s_addc_u32 s12, s12, s14
	v_readfirstlane_b32 s15, v1
	s_mul_i32 s14, s10, s12
	s_mul_hi_u32 s16, s10, s15
	s_mul_hi_u32 s13, s10, s12
	s_add_u32 s14, s16, s14
	s_addc_u32 s13, 0, s13
	s_mul_hi_u32 s17, s11, s15
	s_mul_i32 s15, s11, s15
	s_add_u32 s14, s14, s15
	s_mul_hi_u32 s16, s11, s12
	s_addc_u32 s13, s13, s17
	s_addc_u32 s14, s16, 0
	s_mul_i32 s12, s11, s12
	s_add_u32 s12, s13, s12
	s_addc_u32 s13, 0, s14
	s_add_u32 s14, s12, 1
	s_addc_u32 s15, s13, 0
	s_add_u32 s16, s12, 2
	s_mul_i32 s18, s13, 0x740
	s_mul_hi_u32 s19, s12, 0x740
	s_addc_u32 s17, s13, 0
	s_add_i32 s19, s19, s18
	s_mul_i32 s18, s12, 0x740
	v_mov_b32_e32 v1, s18
	v_sub_co_u32_e32 v1, vcc, s10, v1
	s_cmp_lg_u64 vcc, 0
	s_subb_u32 s18, s11, s19
	v_subrev_co_u32_e32 v2, vcc, s3, v1
	s_cmp_lg_u64 vcc, 0
	s_subb_u32 s3, s18, 0
	v_readfirstlane_b32 s19, v2
	s_cmpk_gt_u32 s19, 0x73f
	s_cselect_b32 s19, -1, 0
	s_cmp_eq_u32 s3, 0
	s_cselect_b32 s3, s19, -1
	s_cmp_lg_u32 s3, 0
	s_cselect_b32 s3, s16, s14
	s_cselect_b32 s14, s17, s15
	v_readfirstlane_b32 s15, v1
	s_cmpk_gt_u32 s15, 0x73f
	s_cselect_b32 s15, -1, 0
	s_cmp_eq_u32 s18, 0
	s_cselect_b32 s15, s15, -1
	s_cmp_lg_u32 s15, 0
	s_cselect_b32 s14, s14, s13
	s_cselect_b32 s3, s3, s12
	s_mul_i32 s12, s14, 0x740
	s_mul_hi_u32 s13, s3, 0x740
	s_add_i32 s13, s13, s12
	s_mul_i32 s12, s3, 0x740
	s_sub_u32 s12, s10, s12
	s_subb_u32 s13, s11, s13
	s_cmp_lg_u64 s[12:13], 0
	s_cselect_b64 s[12:13], -1, 0
	v_cndmask_b32_e64 v1, 0, 1, s[12:13]
	s_mul_i32 s4, s2, 0x740
	v_readfirstlane_b32 s11, v1
	s_add_u32 s12, s3, s11
	s_addc_u32 s13, s14, 0
	s_add_u32 s2, s0, s2
	s_addc_u32 s3, s1, 0
	s_add_u32 s14, s12, -1
	s_addc_u32 s15, s13, -1
	v_mov_b64_e32 v[2:3], s[14:15]
	v_cmp_ge_u64_e64 s[0:1], s[2:3], v[2:3]
	s_mov_b32 s5, 0
	s_mov_b64 s[16:17], -1
	s_and_b64 vcc, exec, s[0:1]
	s_mul_i32 s11, s14, 0xfffff8c0
	s_cbranch_vccz .LBB568_60
; %bb.1:
	s_add_i32 s22, s11, s10
	s_lshl_b64 s[16:17], s[4:5], 2
	s_add_u32 s16, s20, s16
	s_addc_u32 s17, s21, s17
	v_cmp_gt_u32_e32 vcc, s22, v0
                                        ; implicit-def: $vgpr1
	s_and_saveexec_b64 s[18:19], vcc
	s_cbranch_execz .LBB568_3
; %bb.2:
	v_lshlrev_b32_e32 v1, 2, v0
	global_load_dword v1, v1, s[16:17]
.LBB568_3:
	s_or_b64 exec, exec, s[18:19]
	v_or_b32_e32 v2, 64, v0
	v_cmp_gt_u32_e32 vcc, s22, v2
                                        ; implicit-def: $vgpr2
	s_and_saveexec_b64 s[18:19], vcc
	s_cbranch_execz .LBB568_5
; %bb.4:
	v_lshlrev_b32_e32 v2, 2, v0
	global_load_dword v2, v2, s[16:17] offset:256
.LBB568_5:
	s_or_b64 exec, exec, s[18:19]
	v_or_b32_e32 v3, 0x80, v0
	v_cmp_gt_u32_e32 vcc, s22, v3
                                        ; implicit-def: $vgpr3
	s_and_saveexec_b64 s[18:19], vcc
	s_cbranch_execz .LBB568_7
; %bb.6:
	v_lshlrev_b32_e32 v3, 2, v0
	global_load_dword v3, v3, s[16:17] offset:512
.LBB568_7:
	s_or_b64 exec, exec, s[18:19]
	v_or_b32_e32 v4, 0xc0, v0
	v_cmp_gt_u32_e32 vcc, s22, v4
                                        ; implicit-def: $vgpr4
	s_and_saveexec_b64 s[18:19], vcc
	s_cbranch_execz .LBB568_9
; %bb.8:
	v_lshlrev_b32_e32 v4, 2, v0
	global_load_dword v4, v4, s[16:17] offset:768
.LBB568_9:
	s_or_b64 exec, exec, s[18:19]
	v_or_b32_e32 v5, 0x100, v0
	v_cmp_gt_u32_e32 vcc, s22, v5
                                        ; implicit-def: $vgpr5
	s_and_saveexec_b64 s[18:19], vcc
	s_cbranch_execz .LBB568_11
; %bb.10:
	v_lshlrev_b32_e32 v5, 2, v0
	global_load_dword v5, v5, s[16:17] offset:1024
.LBB568_11:
	s_or_b64 exec, exec, s[18:19]
	v_or_b32_e32 v6, 0x140, v0
	v_cmp_gt_u32_e32 vcc, s22, v6
                                        ; implicit-def: $vgpr6
	s_and_saveexec_b64 s[18:19], vcc
	s_cbranch_execz .LBB568_13
; %bb.12:
	v_lshlrev_b32_e32 v6, 2, v0
	global_load_dword v6, v6, s[16:17] offset:1280
.LBB568_13:
	s_or_b64 exec, exec, s[18:19]
	v_or_b32_e32 v7, 0x180, v0
	v_cmp_gt_u32_e32 vcc, s22, v7
                                        ; implicit-def: $vgpr7
	s_and_saveexec_b64 s[18:19], vcc
	s_cbranch_execz .LBB568_15
; %bb.14:
	v_lshlrev_b32_e32 v7, 2, v0
	global_load_dword v7, v7, s[16:17] offset:1536
.LBB568_15:
	s_or_b64 exec, exec, s[18:19]
	v_or_b32_e32 v8, 0x1c0, v0
	v_cmp_gt_u32_e32 vcc, s22, v8
                                        ; implicit-def: $vgpr8
	s_and_saveexec_b64 s[18:19], vcc
	s_cbranch_execz .LBB568_17
; %bb.16:
	v_lshlrev_b32_e32 v8, 2, v0
	global_load_dword v8, v8, s[16:17] offset:1792
.LBB568_17:
	s_or_b64 exec, exec, s[18:19]
	v_or_b32_e32 v9, 0x200, v0
	v_cmp_gt_u32_e32 vcc, s22, v9
                                        ; implicit-def: $vgpr9
	s_and_saveexec_b64 s[18:19], vcc
	s_cbranch_execz .LBB568_19
; %bb.18:
	v_lshlrev_b32_e32 v9, 2, v0
	global_load_dword v9, v9, s[16:17] offset:2048
.LBB568_19:
	s_or_b64 exec, exec, s[18:19]
	v_or_b32_e32 v10, 0x240, v0
	v_cmp_gt_u32_e32 vcc, s22, v10
                                        ; implicit-def: $vgpr10
	s_and_saveexec_b64 s[18:19], vcc
	s_cbranch_execz .LBB568_21
; %bb.20:
	v_lshlrev_b32_e32 v10, 2, v0
	global_load_dword v10, v10, s[16:17] offset:2304
.LBB568_21:
	s_or_b64 exec, exec, s[18:19]
	v_or_b32_e32 v11, 0x280, v0
	v_cmp_gt_u32_e32 vcc, s22, v11
                                        ; implicit-def: $vgpr11
	s_and_saveexec_b64 s[18:19], vcc
	s_cbranch_execz .LBB568_23
; %bb.22:
	v_lshlrev_b32_e32 v11, 2, v0
	global_load_dword v11, v11, s[16:17] offset:2560
.LBB568_23:
	s_or_b64 exec, exec, s[18:19]
	v_or_b32_e32 v12, 0x2c0, v0
	v_cmp_gt_u32_e32 vcc, s22, v12
                                        ; implicit-def: $vgpr12
	s_and_saveexec_b64 s[18:19], vcc
	s_cbranch_execz .LBB568_25
; %bb.24:
	v_lshlrev_b32_e32 v12, 2, v0
	global_load_dword v12, v12, s[16:17] offset:2816
.LBB568_25:
	s_or_b64 exec, exec, s[18:19]
	v_or_b32_e32 v13, 0x300, v0
	v_cmp_gt_u32_e32 vcc, s22, v13
                                        ; implicit-def: $vgpr13
	s_and_saveexec_b64 s[18:19], vcc
	s_cbranch_execz .LBB568_27
; %bb.26:
	v_lshlrev_b32_e32 v13, 2, v0
	global_load_dword v13, v13, s[16:17] offset:3072
.LBB568_27:
	s_or_b64 exec, exec, s[18:19]
	v_or_b32_e32 v14, 0x340, v0
	v_cmp_gt_u32_e32 vcc, s22, v14
                                        ; implicit-def: $vgpr14
	s_and_saveexec_b64 s[18:19], vcc
	s_cbranch_execz .LBB568_29
; %bb.28:
	v_lshlrev_b32_e32 v14, 2, v0
	global_load_dword v14, v14, s[16:17] offset:3328
.LBB568_29:
	s_or_b64 exec, exec, s[18:19]
	v_or_b32_e32 v15, 0x380, v0
	v_cmp_gt_u32_e32 vcc, s22, v15
                                        ; implicit-def: $vgpr15
	s_and_saveexec_b64 s[18:19], vcc
	s_cbranch_execz .LBB568_31
; %bb.30:
	v_lshlrev_b32_e32 v15, 2, v0
	global_load_dword v15, v15, s[16:17] offset:3584
.LBB568_31:
	s_or_b64 exec, exec, s[18:19]
	v_or_b32_e32 v16, 0x3c0, v0
	v_cmp_gt_u32_e32 vcc, s22, v16
                                        ; implicit-def: $vgpr16
	s_and_saveexec_b64 s[18:19], vcc
	s_cbranch_execz .LBB568_33
; %bb.32:
	v_lshlrev_b32_e32 v16, 2, v0
	global_load_dword v16, v16, s[16:17] offset:3840
.LBB568_33:
	s_or_b64 exec, exec, s[18:19]
	v_or_b32_e32 v18, 0x400, v0
	v_cmp_gt_u32_e32 vcc, s22, v18
                                        ; implicit-def: $vgpr17
	s_and_saveexec_b64 s[18:19], vcc
	s_cbranch_execz .LBB568_35
; %bb.34:
	v_lshlrev_b32_e32 v17, 2, v18
	global_load_dword v17, v17, s[16:17]
.LBB568_35:
	s_or_b64 exec, exec, s[18:19]
	v_or_b32_e32 v19, 0x440, v0
	v_cmp_gt_u32_e32 vcc, s22, v19
                                        ; implicit-def: $vgpr18
	s_and_saveexec_b64 s[18:19], vcc
	s_cbranch_execz .LBB568_37
; %bb.36:
	v_lshlrev_b32_e32 v18, 2, v19
	global_load_dword v18, v18, s[16:17]
.LBB568_37:
	s_or_b64 exec, exec, s[18:19]
	v_or_b32_e32 v20, 0x480, v0
	v_cmp_gt_u32_e32 vcc, s22, v20
                                        ; implicit-def: $vgpr19
	s_and_saveexec_b64 s[18:19], vcc
	s_cbranch_execz .LBB568_39
; %bb.38:
	v_lshlrev_b32_e32 v19, 2, v20
	global_load_dword v19, v19, s[16:17]
.LBB568_39:
	s_or_b64 exec, exec, s[18:19]
	v_or_b32_e32 v21, 0x4c0, v0
	v_cmp_gt_u32_e32 vcc, s22, v21
                                        ; implicit-def: $vgpr20
	s_and_saveexec_b64 s[18:19], vcc
	s_cbranch_execz .LBB568_41
; %bb.40:
	v_lshlrev_b32_e32 v20, 2, v21
	global_load_dword v20, v20, s[16:17]
.LBB568_41:
	s_or_b64 exec, exec, s[18:19]
	v_or_b32_e32 v22, 0x500, v0
	v_cmp_gt_u32_e32 vcc, s22, v22
                                        ; implicit-def: $vgpr21
	s_and_saveexec_b64 s[18:19], vcc
	s_cbranch_execz .LBB568_43
; %bb.42:
	v_lshlrev_b32_e32 v21, 2, v22
	global_load_dword v21, v21, s[16:17]
.LBB568_43:
	s_or_b64 exec, exec, s[18:19]
	v_or_b32_e32 v23, 0x540, v0
	v_cmp_gt_u32_e32 vcc, s22, v23
                                        ; implicit-def: $vgpr22
	s_and_saveexec_b64 s[18:19], vcc
	s_cbranch_execz .LBB568_45
; %bb.44:
	v_lshlrev_b32_e32 v22, 2, v23
	global_load_dword v22, v22, s[16:17]
.LBB568_45:
	s_or_b64 exec, exec, s[18:19]
	v_or_b32_e32 v24, 0x580, v0
	v_cmp_gt_u32_e32 vcc, s22, v24
                                        ; implicit-def: $vgpr23
	s_and_saveexec_b64 s[18:19], vcc
	s_cbranch_execz .LBB568_47
; %bb.46:
	v_lshlrev_b32_e32 v23, 2, v24
	global_load_dword v23, v23, s[16:17]
.LBB568_47:
	s_or_b64 exec, exec, s[18:19]
	v_or_b32_e32 v25, 0x5c0, v0
	v_cmp_gt_u32_e32 vcc, s22, v25
                                        ; implicit-def: $vgpr24
	s_and_saveexec_b64 s[18:19], vcc
	s_cbranch_execz .LBB568_49
; %bb.48:
	v_lshlrev_b32_e32 v24, 2, v25
	global_load_dword v24, v24, s[16:17]
.LBB568_49:
	s_or_b64 exec, exec, s[18:19]
	v_or_b32_e32 v26, 0x600, v0
	v_cmp_gt_u32_e32 vcc, s22, v26
                                        ; implicit-def: $vgpr25
	s_and_saveexec_b64 s[18:19], vcc
	s_cbranch_execz .LBB568_51
; %bb.50:
	v_lshlrev_b32_e32 v25, 2, v26
	global_load_dword v25, v25, s[16:17]
.LBB568_51:
	s_or_b64 exec, exec, s[18:19]
	v_or_b32_e32 v27, 0x640, v0
	v_cmp_gt_u32_e32 vcc, s22, v27
                                        ; implicit-def: $vgpr26
	s_and_saveexec_b64 s[18:19], vcc
	s_cbranch_execz .LBB568_53
; %bb.52:
	v_lshlrev_b32_e32 v26, 2, v27
	global_load_dword v26, v26, s[16:17]
.LBB568_53:
	s_or_b64 exec, exec, s[18:19]
	v_or_b32_e32 v28, 0x680, v0
	v_cmp_gt_u32_e32 vcc, s22, v28
                                        ; implicit-def: $vgpr27
	s_and_saveexec_b64 s[18:19], vcc
	s_cbranch_execz .LBB568_55
; %bb.54:
	v_lshlrev_b32_e32 v27, 2, v28
	global_load_dword v27, v27, s[16:17]
.LBB568_55:
	s_or_b64 exec, exec, s[18:19]
	v_or_b32_e32 v29, 0x6c0, v0
	v_cmp_gt_u32_e32 vcc, s22, v29
                                        ; implicit-def: $vgpr28
	s_and_saveexec_b64 s[18:19], vcc
	s_cbranch_execz .LBB568_57
; %bb.56:
	v_lshlrev_b32_e32 v28, 2, v29
	global_load_dword v28, v28, s[16:17]
.LBB568_57:
	s_or_b64 exec, exec, s[18:19]
	v_or_b32_e32 v30, 0x700, v0
	v_cmp_gt_u32_e32 vcc, s22, v30
                                        ; implicit-def: $vgpr29
	s_and_saveexec_b64 s[18:19], vcc
	s_cbranch_execz .LBB568_59
; %bb.58:
	v_lshlrev_b32_e32 v29, 2, v30
	global_load_dword v29, v29, s[16:17]
.LBB568_59:
	s_or_b64 exec, exec, s[18:19]
	v_lshlrev_b32_e32 v30, 2, v0
	s_mov_b64 s[16:17], 0
	s_waitcnt vmcnt(0)
	ds_write2st64_b32 v30, v1, v2 offset1:1
	ds_write2st64_b32 v30, v3, v4 offset0:2 offset1:3
	ds_write2st64_b32 v30, v5, v6 offset0:4 offset1:5
	;; [unrolled: 1-line block ×13, first 2 shown]
	ds_write_b32 v30, v29 offset:7168
	s_waitcnt lgkmcnt(0)
	; wave barrier
.LBB568_60:
	s_and_b64 vcc, exec, s[16:17]
	v_lshlrev_b32_e32 v2, 2, v0
	s_cbranch_vccz .LBB568_62
; %bb.61:
	s_lshl_b64 s[16:17], s[4:5], 2
	s_add_u32 s16, s20, s16
	s_addc_u32 s17, s21, s17
	v_mov_b32_e32 v3, 0
	v_lshl_add_u64 v[4:5], s[16:17], 0, v[2:3]
	s_movk_i32 s5, 0x1000
	v_add_co_u32_e32 v4, vcc, s5, v4
	global_load_dword v1, v2, s[16:17]
	global_load_dword v3, v2, s[16:17] offset:256
	global_load_dword v6, v2, s[16:17] offset:512
	;; [unrolled: 1-line block ×15, first 2 shown]
	v_addc_co_u32_e32 v5, vcc, 0, v5, vcc
	global_load_dword v20, v[4:5], off
	global_load_dword v21, v[4:5], off offset:256
	global_load_dword v22, v[4:5], off offset:512
	;; [unrolled: 1-line block ×12, first 2 shown]
	s_waitcnt vmcnt(27)
	ds_write2st64_b32 v2, v1, v3 offset1:1
	s_waitcnt vmcnt(25)
	ds_write2st64_b32 v2, v6, v7 offset0:2 offset1:3
	s_waitcnt vmcnt(23)
	ds_write2st64_b32 v2, v8, v9 offset0:4 offset1:5
	;; [unrolled: 2-line block ×13, first 2 shown]
	s_waitcnt vmcnt(0)
	ds_write_b32 v2, v32 offset:7168
	s_waitcnt lgkmcnt(0)
	; wave barrier
.LBB568_62:
	v_mul_u32_u24_e32 v1, 29, v0
	v_lshlrev_b32_e32 v1, 2, v1
	s_waitcnt lgkmcnt(0)
	ds_read_b32 v3, v1 offset:112
	ds_read2_b32 v[4:5], v1 offset0:26 offset1:27
	ds_read2_b32 v[6:7], v1 offset0:24 offset1:25
	ds_read2_b32 v[30:31], v1 offset1:1
	ds_read2_b32 v[28:29], v1 offset0:2 offset1:3
	ds_read2_b32 v[26:27], v1 offset0:4 offset1:5
	;; [unrolled: 1-line block ×11, first 2 shown]
	s_cmp_eq_u64 s[2:3], 0
	s_waitcnt lgkmcnt(0)
	; wave barrier
	s_waitcnt lgkmcnt(0)
	s_cbranch_scc1 .LBB568_67
; %bb.63:
	s_mov_b32 s5, 0
	s_lshl_b64 s[16:17], s[4:5], 2
	s_add_u32 s5, s20, s16
	s_addc_u32 s17, s21, s17
	s_add_u32 s16, s5, -4
	s_addc_u32 s17, s17, -1
	s_load_dword s5, s[16:17], 0x0
	s_cmp_eq_u64 s[2:3], s[14:15]
	s_cbranch_scc1 .LBB568_68
; %bb.64:
	v_cmp_ne_u32_e32 vcc, 0, v0
	s_waitcnt lgkmcnt(0)
	v_mov_b32_e32 v1, s5
	ds_write_b32 v2, v3
	s_waitcnt lgkmcnt(0)
	; wave barrier
	s_waitcnt lgkmcnt(0)
	s_and_saveexec_b64 s[14:15], vcc
	s_cbranch_execz .LBB568_66
; %bb.65:
	v_add_u32_e32 v1, -4, v2
	ds_read_b32 v1, v1
.LBB568_66:
	s_or_b64 exec, exec, s[14:15]
	s_waitcnt lgkmcnt(0)
	v_add_u32_e32 v1, v1, v30
	s_mov_b64 s[14:15], 0
	s_branch .LBB568_69
.LBB568_67:
                                        ; implicit-def: $vgpr32_vgpr33
                                        ; implicit-def: $vgpr34_vgpr35
                                        ; implicit-def: $vgpr36_vgpr37
                                        ; implicit-def: $vgpr38_vgpr39
                                        ; implicit-def: $vgpr40_vgpr41
                                        ; implicit-def: $vgpr42_vgpr43
                                        ; implicit-def: $vgpr44_vgpr45
                                        ; implicit-def: $vgpr46_vgpr47
                                        ; implicit-def: $vgpr48_vgpr49
                                        ; implicit-def: $vgpr50_vgpr51
                                        ; implicit-def: $vgpr52_vgpr53
                                        ; implicit-def: $vgpr54_vgpr55
                                        ; implicit-def: $vgpr56_vgpr57
                                        ; implicit-def: $vgpr58_vgpr59
                                        ; implicit-def: $vgpr1
	s_branch .LBB568_74
.LBB568_68:
	s_mov_b64 s[14:15], -1
                                        ; implicit-def: $vgpr1
.LBB568_69:
	s_and_b64 vcc, exec, s[14:15]
	v_mov_b64_e32 v[32:33], v[4:5]
	v_mov_b64_e32 v[34:35], v[6:7]
	;; [unrolled: 1-line block ×14, first 2 shown]
	s_cbranch_vccz .LBB568_73
; %bb.70:
	v_mul_u32_u24_e32 v1, 29, v0
	v_cmp_ne_u32_e32 vcc, 0, v0
	s_waitcnt lgkmcnt(0)
	v_mov_b32_e32 v60, s5
	ds_write_b32 v2, v3
	s_waitcnt lgkmcnt(0)
	; wave barrier
	s_waitcnt lgkmcnt(0)
	s_and_saveexec_b64 s[14:15], vcc
	s_cbranch_execz .LBB568_72
; %bb.71:
	v_add_u32_e32 v32, -4, v2
	ds_read_b32 v60, v32
.LBB568_72:
	s_or_b64 exec, exec, s[14:15]
	s_mulk_i32 s2, 0xf8c0
	s_add_i32 s2, s2, s10
	v_add_u32_e32 v32, 28, v1
	v_add_u32_e32 v34, 27, v1
	v_cmp_gt_u32_e32 vcc, s2, v32
	v_add_u32_e32 v36, 25, v1
	v_add_u32_e32 v38, 23, v1
	v_cndmask_b32_e32 v33, 0, v5, vcc
	v_cmp_gt_u32_e32 vcc, s2, v34
	v_add_u32_e32 v34, 26, v1
	v_add_u32_e32 v40, 21, v1
	v_cndmask_b32_e32 v32, 0, v4, vcc
	;; [unrolled: 4-line block ×8, first 2 shown]
	v_cmp_gt_u32_e32 vcc, s2, v40
	v_add_u32_e32 v61, 1, v1
	s_nop 0
	v_cndmask_b32_e32 v41, 0, v13, vcc
	v_cmp_gt_u32_e32 vcc, s2, v42
	v_add_u32_e32 v42, 18, v1
	s_nop 0
	v_cndmask_b32_e32 v40, 0, v12, vcc
	v_cmp_gt_u32_e32 vcc, s2, v42
	s_nop 1
	v_cndmask_b32_e32 v43, 0, v15, vcc
	v_cmp_gt_u32_e32 vcc, s2, v44
	v_add_u32_e32 v44, 16, v1
	s_nop 0
	v_cndmask_b32_e32 v42, 0, v14, vcc
	v_cmp_gt_u32_e32 vcc, s2, v44
	;; [unrolled: 7-line block ×9, first 2 shown]
	s_nop 1
	v_cndmask_b32_e32 v59, 0, v31, vcc
	v_cmp_gt_u32_e32 vcc, s2, v61
	s_nop 1
	v_cndmask_b32_e32 v58, 0, v30, vcc
	v_cmp_gt_u32_e32 vcc, s2, v1
	s_waitcnt lgkmcnt(0)
	s_nop 0
	v_cndmask_b32_e32 v1, 0, v60, vcc
	v_add_u32_e32 v1, v1, v30
.LBB568_73:
	s_cbranch_execnz .LBB568_83
.LBB568_74:
	s_cmp_eq_u64 s[12:13], 1
	v_cmp_ne_u32_e32 vcc, 0, v0
	s_cbranch_scc1 .LBB568_78
; %bb.75:
	v_mov_b32_e32 v1, v30
	ds_write_b32 v2, v3
	s_waitcnt lgkmcnt(0)
	; wave barrier
	s_waitcnt lgkmcnt(0)
	s_and_saveexec_b64 s[2:3], vcc
	s_cbranch_execz .LBB568_77
; %bb.76:
	v_add_u32_e32 v1, -4, v2
	ds_read_b32 v1, v1
	s_waitcnt lgkmcnt(0)
	v_add_u32_e32 v1, v1, v30
.LBB568_77:
	s_or_b64 exec, exec, s[2:3]
	s_mov_b64 s[2:3], 0
	s_branch .LBB568_79
.LBB568_78:
	s_mov_b64 s[2:3], -1
                                        ; implicit-def: $vgpr1
.LBB568_79:
	s_andn2_b64 vcc, exec, s[2:3]
	v_mov_b64_e32 v[32:33], v[4:5]
	v_mov_b64_e32 v[34:35], v[6:7]
	;; [unrolled: 1-line block ×14, first 2 shown]
	s_cbranch_vccnz .LBB568_83
; %bb.80:
	v_mad_u32_u24 v32, v0, 29, 28
	v_mad_u32_u24 v34, v0, 29, 27
	v_cmp_gt_u32_e32 vcc, s10, v32
	v_mad_u32_u24 v36, v0, 29, 25
	v_mad_u32_u24 v38, v0, 29, 23
	v_cndmask_b32_e32 v33, 0, v5, vcc
	v_cmp_gt_u32_e32 vcc, s10, v34
	v_mad_u32_u24 v34, v0, 29, 26
	v_mad_u32_u24 v40, v0, 29, 21
	v_cndmask_b32_e32 v32, 0, v4, vcc
	;; [unrolled: 4-line block ×8, first 2 shown]
	v_cmp_gt_u32_e32 vcc, s10, v40
	v_mad_u32_u24 v60, v0, 29, 1
	v_mul_u32_u24_e32 v1, 29, v0
	v_cndmask_b32_e32 v41, 0, v13, vcc
	v_cmp_gt_u32_e32 vcc, s10, v42
	v_mad_u32_u24 v42, v0, 29, 18
	v_cmp_gt_u32_e64 s[2:3], s10, v1
	v_cndmask_b32_e32 v40, 0, v12, vcc
	v_cmp_gt_u32_e32 vcc, s10, v42
	ds_write_b32 v2, v3
	s_waitcnt lgkmcnt(0)
	v_cndmask_b32_e32 v43, 0, v15, vcc
	v_cmp_gt_u32_e32 vcc, s10, v44
	v_mad_u32_u24 v44, v0, 29, 16
	; wave barrier
	s_nop 0
	v_cndmask_b32_e32 v42, 0, v14, vcc
	v_cmp_gt_u32_e32 vcc, s10, v44
	s_nop 1
	v_cndmask_b32_e32 v45, 0, v17, vcc
	v_cmp_gt_u32_e32 vcc, s10, v46
	v_mad_u32_u24 v46, v0, 29, 14
	s_nop 0
	v_cndmask_b32_e32 v44, 0, v16, vcc
	v_cmp_gt_u32_e32 vcc, s10, v46
	s_nop 1
	v_cndmask_b32_e32 v47, 0, v19, vcc
	v_cmp_gt_u32_e32 vcc, s10, v48
	v_mad_u32_u24 v48, v0, 29, 12
	s_nop 0
	v_cndmask_b32_e32 v46, 0, v18, vcc
	v_cmp_gt_u32_e32 vcc, s10, v48
	s_nop 1
	v_cndmask_b32_e32 v49, 0, v21, vcc
	v_cmp_gt_u32_e32 vcc, s10, v50
	v_mad_u32_u24 v50, v0, 29, 10
	s_nop 0
	v_cndmask_b32_e32 v48, 0, v20, vcc
	v_cmp_gt_u32_e32 vcc, s10, v50
	s_nop 1
	v_cndmask_b32_e32 v51, 0, v23, vcc
	v_cmp_gt_u32_e32 vcc, s10, v52
	v_mad_u32_u24 v52, v0, 29, 8
	s_nop 0
	v_cndmask_b32_e32 v50, 0, v22, vcc
	v_cmp_gt_u32_e32 vcc, s10, v52
	s_nop 1
	v_cndmask_b32_e32 v53, 0, v25, vcc
	v_cmp_gt_u32_e32 vcc, s10, v54
	v_mad_u32_u24 v54, v0, 29, 6
	s_nop 0
	v_cndmask_b32_e32 v52, 0, v24, vcc
	v_cmp_gt_u32_e32 vcc, s10, v54
	s_nop 1
	v_cndmask_b32_e32 v55, 0, v27, vcc
	v_cmp_gt_u32_e32 vcc, s10, v56
	v_mad_u32_u24 v56, v0, 29, 4
	s_nop 0
	v_cndmask_b32_e32 v54, 0, v26, vcc
	v_cmp_gt_u32_e32 vcc, s10, v56
	s_nop 1
	v_cndmask_b32_e32 v57, 0, v29, vcc
	v_cmp_gt_u32_e32 vcc, s10, v58
	v_mad_u32_u24 v58, v0, 29, 2
	s_nop 0
	v_cndmask_b32_e32 v56, 0, v28, vcc
	v_cmp_gt_u32_e32 vcc, s10, v58
	s_nop 1
	v_cndmask_b32_e32 v59, 0, v31, vcc
	v_cmp_gt_u32_e32 vcc, s10, v60
	s_nop 1
	v_cndmask_b32_e32 v58, 0, v30, vcc
	v_cmp_ne_u32_e32 vcc, 0, v0
	s_and_b64 s[12:13], vcc, s[2:3]
	s_and_saveexec_b64 s[2:3], s[12:13]
	s_cbranch_execz .LBB568_82
; %bb.81:
	v_add_u32_e32 v1, -4, v2
	ds_read_b32 v1, v1
	s_waitcnt lgkmcnt(0)
	v_add_u32_e32 v30, v1, v30
.LBB568_82:
	s_or_b64 exec, exec, s[2:3]
	v_mov_b32_e32 v1, v30
.LBB568_83:
	s_add_u32 s6, s8, s6
	s_addc_u32 s7, s9, s7
	v_add_u32_e32 v59, v59, v28
	v_add_u32_e32 v58, v58, v31
	;; [unrolled: 1-line block ×28, first 2 shown]
	s_and_b64 vcc, exec, s[0:1]
	s_waitcnt lgkmcnt(0)
	; wave barrier
	s_waitcnt lgkmcnt(0)
	s_cbranch_vccz .LBB568_141
; %bb.84:
	s_movk_i32 s2, 0x74
	v_mul_i32_i24_e32 v63, 0xffffff90, v0
	v_mul_u32_u24_e32 v62, 0x74, v0
	v_mad_u32_u24 v3, v0, s2, v63
	ds_write_b32 v62, v1
	ds_write2_b32 v62, v58, v59 offset0:1 offset1:2
	ds_write2_b32 v62, v56, v57 offset0:3 offset1:4
	;; [unrolled: 1-line block ×14, first 2 shown]
	s_waitcnt lgkmcnt(0)
	; wave barrier
	s_waitcnt lgkmcnt(0)
	ds_read2st64_b32 v[32:33], v3 offset0:1 offset1:2
	ds_read2st64_b32 v[30:31], v3 offset0:3 offset1:4
	;; [unrolled: 1-line block ×14, first 2 shown]
	s_mov_b32 s5, 0
	s_add_i32 s11, s11, s10
	s_lshl_b64 s[0:1], s[4:5], 2
	s_add_u32 s0, s6, s0
	s_addc_u32 s1, s7, s1
	v_mov_b32_e32 v3, 0
	v_lshl_add_u64 v[6:7], s[0:1], 0, v[2:3]
	v_cmp_gt_u32_e32 vcc, s11, v0
	s_and_saveexec_b64 s[0:1], vcc
	s_cbranch_execz .LBB568_86
; %bb.85:
	v_add_u32_e32 v3, v62, v63
	ds_read_b32 v3, v3
	s_waitcnt lgkmcnt(0)
	global_store_dword v[6:7], v3, off
.LBB568_86:
	s_or_b64 exec, exec, s[0:1]
	v_or_b32_e32 v3, 64, v0
	v_cmp_gt_u32_e32 vcc, s11, v3
	s_and_saveexec_b64 s[0:1], vcc
	s_cbranch_execz .LBB568_88
; %bb.87:
	s_waitcnt lgkmcnt(13)
	global_store_dword v[6:7], v32, off offset:256
.LBB568_88:
	s_or_b64 exec, exec, s[0:1]
	v_or_b32_e32 v3, 0x80, v0
	v_cmp_gt_u32_e32 vcc, s11, v3
	s_and_saveexec_b64 s[0:1], vcc
	s_cbranch_execz .LBB568_90
; %bb.89:
	s_waitcnt lgkmcnt(13)
	global_store_dword v[6:7], v33, off offset:512
.LBB568_90:
	;; [unrolled: 9-line block ×15, first 2 shown]
	s_or_b64 exec, exec, s[0:1]
	v_or_b32_e32 v3, 0x400, v0
	v_cmp_gt_u32_e32 vcc, s11, v3
	s_and_saveexec_b64 s[0:1], vcc
	s_cbranch_execz .LBB568_118
; %bb.117:
	s_waitcnt lgkmcnt(7)
	v_add_co_u32_e32 v20, vcc, 0x1000, v6
	s_nop 1
	v_addc_co_u32_e32 v21, vcc, 0, v7, vcc
	s_waitcnt lgkmcnt(6)
	global_store_dword v[20:21], v19, off
.LBB568_118:
	s_or_b64 exec, exec, s[0:1]
	v_or_b32_e32 v3, 0x440, v0
	v_cmp_gt_u32_e32 vcc, s11, v3
	s_and_saveexec_b64 s[0:1], vcc
	s_cbranch_execz .LBB568_120
; %bb.119:
	s_waitcnt lgkmcnt(6)
	v_add_co_u32_e32 v18, vcc, 0x1000, v6
	s_nop 1
	v_addc_co_u32_e32 v19, vcc, 0, v7, vcc
	s_waitcnt lgkmcnt(5)
	global_store_dword v[18:19], v16, off offset:256
.LBB568_120:
	s_or_b64 exec, exec, s[0:1]
	v_or_b32_e32 v3, 0x480, v0
	v_cmp_gt_u32_e32 vcc, s11, v3
	s_and_saveexec_b64 s[0:1], vcc
	s_cbranch_execz .LBB568_122
; %bb.121:
	s_waitcnt lgkmcnt(6)
	v_add_co_u32_e32 v18, vcc, 0x1000, v6
	s_nop 1
	v_addc_co_u32_e32 v19, vcc, 0, v7, vcc
	s_waitcnt lgkmcnt(5)
	global_store_dword v[18:19], v17, off offset:512
.LBB568_122:
	;; [unrolled: 13-line block ×11, first 2 shown]
	s_or_b64 exec, exec, s[0:1]
	v_or_b32_e32 v3, 0x700, v0
	v_cmp_gt_u32_e64 s[0:1], s11, v3
	s_branch .LBB568_143
.LBB568_141:
	s_mov_b64 s[0:1], 0
                                        ; implicit-def: $vgpr5
                                        ; implicit-def: $vgpr6_vgpr7
	s_cbranch_execz .LBB568_143
; %bb.142:
	s_mov_b32 s5, 0
	v_mul_u32_u24_e32 v3, 0x74, v0
	s_lshl_b64 s[2:3], s[4:5], 2
	s_movk_i32 s4, 0x74
	ds_write_b32 v3, v1
	ds_write2_b32 v3, v58, v59 offset0:1 offset1:2
	ds_write2_b32 v3, v56, v57 offset0:3 offset1:4
	;; [unrolled: 1-line block ×14, first 2 shown]
	v_mul_i32_i24_e32 v1, 0xffffff90, v0
	s_add_u32 s2, s6, s2
	v_mad_u32_u24 v3, v0, s4, v1
	s_addc_u32 s3, s7, s3
	s_waitcnt lgkmcnt(0)
	; wave barrier
	s_waitcnt lgkmcnt(0)
	ds_read2st64_b32 v[0:1], v3 offset1:1
	ds_read2st64_b32 v[8:9], v3 offset0:2 offset1:3
	ds_read2st64_b32 v[10:11], v3 offset0:4 offset1:5
	;; [unrolled: 1-line block ×13, first 2 shown]
	ds_read_b32 v5, v3 offset:7168
	v_mov_b32_e32 v3, 0
	v_lshl_add_u64 v[6:7], s[2:3], 0, v[2:3]
	s_waitcnt lgkmcnt(14)
	global_store_dword v2, v0, s[2:3]
	global_store_dword v2, v1, s[2:3] offset:256
	s_waitcnt lgkmcnt(13)
	global_store_dword v2, v8, s[2:3] offset:512
	global_store_dword v2, v9, s[2:3] offset:768
	s_waitcnt lgkmcnt(12)
	global_store_dword v2, v10, s[2:3] offset:1024
	;; [unrolled: 3-line block ×7, first 2 shown]
	global_store_dword v2, v21, s[2:3] offset:3840
	s_movk_i32 s2, 0x1000
	v_add_co_u32_e32 v0, vcc, s2, v6
	s_or_b64 s[0:1], s[0:1], exec
	s_nop 0
	v_addc_co_u32_e32 v1, vcc, 0, v7, vcc
	s_waitcnt lgkmcnt(6)
	global_store_dword v[0:1], v22, off
	global_store_dword v[0:1], v23, off offset:256
	s_waitcnt lgkmcnt(5)
	global_store_dword v[0:1], v24, off offset:512
	global_store_dword v[0:1], v25, off offset:768
	s_waitcnt lgkmcnt(4)
	global_store_dword v[0:1], v26, off offset:1024
	;; [unrolled: 3-line block ×5, first 2 shown]
	global_store_dword v[0:1], v33, off offset:2816
.LBB568_143:
	s_and_saveexec_b64 s[2:3], s[0:1]
	s_cbranch_execnz .LBB568_145
; %bb.144:
	s_endpgm
.LBB568_145:
	v_add_co_u32_e32 v0, vcc, 0x1000, v6
	s_nop 1
	v_addc_co_u32_e32 v1, vcc, 0, v7, vcc
	s_waitcnt lgkmcnt(0)
	global_store_dword v[0:1], v5, off offset:3072
	s_endpgm
	.section	.rodata,"a",@progbits
	.p2align	6, 0x0
	.amdhsa_kernel _ZN7rocprim17ROCPRIM_400000_NS6detail17trampoline_kernelINS0_14default_configENS1_35adjacent_difference_config_selectorILb0EiEEZNS1_24adjacent_difference_implIS3_Lb0ELb0EPKiPiN6thrust23THRUST_200600_302600_NS4plusIiEEEE10hipError_tPvRmT2_T3_mT4_P12ihipStream_tbEUlT_E_NS1_11comp_targetILNS1_3genE5ELNS1_11target_archE942ELNS1_3gpuE9ELNS1_3repE0EEENS1_30default_config_static_selectorELNS0_4arch9wavefront6targetE1EEEvT1_
		.amdhsa_group_segment_fixed_size 7424
		.amdhsa_private_segment_fixed_size 0
		.amdhsa_kernarg_size 56
		.amdhsa_user_sgpr_count 2
		.amdhsa_user_sgpr_dispatch_ptr 0
		.amdhsa_user_sgpr_queue_ptr 0
		.amdhsa_user_sgpr_kernarg_segment_ptr 1
		.amdhsa_user_sgpr_dispatch_id 0
		.amdhsa_user_sgpr_kernarg_preload_length 0
		.amdhsa_user_sgpr_kernarg_preload_offset 0
		.amdhsa_user_sgpr_private_segment_size 0
		.amdhsa_uses_dynamic_stack 0
		.amdhsa_enable_private_segment 0
		.amdhsa_system_sgpr_workgroup_id_x 1
		.amdhsa_system_sgpr_workgroup_id_y 0
		.amdhsa_system_sgpr_workgroup_id_z 0
		.amdhsa_system_sgpr_workgroup_info 0
		.amdhsa_system_vgpr_workitem_id 0
		.amdhsa_next_free_vgpr 64
		.amdhsa_next_free_sgpr 23
		.amdhsa_accum_offset 64
		.amdhsa_reserve_vcc 1
		.amdhsa_float_round_mode_32 0
		.amdhsa_float_round_mode_16_64 0
		.amdhsa_float_denorm_mode_32 3
		.amdhsa_float_denorm_mode_16_64 3
		.amdhsa_dx10_clamp 1
		.amdhsa_ieee_mode 1
		.amdhsa_fp16_overflow 0
		.amdhsa_tg_split 0
		.amdhsa_exception_fp_ieee_invalid_op 0
		.amdhsa_exception_fp_denorm_src 0
		.amdhsa_exception_fp_ieee_div_zero 0
		.amdhsa_exception_fp_ieee_overflow 0
		.amdhsa_exception_fp_ieee_underflow 0
		.amdhsa_exception_fp_ieee_inexact 0
		.amdhsa_exception_int_div_zero 0
	.end_amdhsa_kernel
	.section	.text._ZN7rocprim17ROCPRIM_400000_NS6detail17trampoline_kernelINS0_14default_configENS1_35adjacent_difference_config_selectorILb0EiEEZNS1_24adjacent_difference_implIS3_Lb0ELb0EPKiPiN6thrust23THRUST_200600_302600_NS4plusIiEEEE10hipError_tPvRmT2_T3_mT4_P12ihipStream_tbEUlT_E_NS1_11comp_targetILNS1_3genE5ELNS1_11target_archE942ELNS1_3gpuE9ELNS1_3repE0EEENS1_30default_config_static_selectorELNS0_4arch9wavefront6targetE1EEEvT1_,"axG",@progbits,_ZN7rocprim17ROCPRIM_400000_NS6detail17trampoline_kernelINS0_14default_configENS1_35adjacent_difference_config_selectorILb0EiEEZNS1_24adjacent_difference_implIS3_Lb0ELb0EPKiPiN6thrust23THRUST_200600_302600_NS4plusIiEEEE10hipError_tPvRmT2_T3_mT4_P12ihipStream_tbEUlT_E_NS1_11comp_targetILNS1_3genE5ELNS1_11target_archE942ELNS1_3gpuE9ELNS1_3repE0EEENS1_30default_config_static_selectorELNS0_4arch9wavefront6targetE1EEEvT1_,comdat
.Lfunc_end568:
	.size	_ZN7rocprim17ROCPRIM_400000_NS6detail17trampoline_kernelINS0_14default_configENS1_35adjacent_difference_config_selectorILb0EiEEZNS1_24adjacent_difference_implIS3_Lb0ELb0EPKiPiN6thrust23THRUST_200600_302600_NS4plusIiEEEE10hipError_tPvRmT2_T3_mT4_P12ihipStream_tbEUlT_E_NS1_11comp_targetILNS1_3genE5ELNS1_11target_archE942ELNS1_3gpuE9ELNS1_3repE0EEENS1_30default_config_static_selectorELNS0_4arch9wavefront6targetE1EEEvT1_, .Lfunc_end568-_ZN7rocprim17ROCPRIM_400000_NS6detail17trampoline_kernelINS0_14default_configENS1_35adjacent_difference_config_selectorILb0EiEEZNS1_24adjacent_difference_implIS3_Lb0ELb0EPKiPiN6thrust23THRUST_200600_302600_NS4plusIiEEEE10hipError_tPvRmT2_T3_mT4_P12ihipStream_tbEUlT_E_NS1_11comp_targetILNS1_3genE5ELNS1_11target_archE942ELNS1_3gpuE9ELNS1_3repE0EEENS1_30default_config_static_selectorELNS0_4arch9wavefront6targetE1EEEvT1_
                                        ; -- End function
	.section	.AMDGPU.csdata,"",@progbits
; Kernel info:
; codeLenInByte = 6064
; NumSgprs: 29
; NumVgprs: 64
; NumAgprs: 0
; TotalNumVgprs: 64
; ScratchSize: 0
; MemoryBound: 0
; FloatMode: 240
; IeeeMode: 1
; LDSByteSize: 7424 bytes/workgroup (compile time only)
; SGPRBlocks: 3
; VGPRBlocks: 7
; NumSGPRsForWavesPerEU: 29
; NumVGPRsForWavesPerEU: 64
; AccumOffset: 64
; Occupancy: 2
; WaveLimiterHint : 1
; COMPUTE_PGM_RSRC2:SCRATCH_EN: 0
; COMPUTE_PGM_RSRC2:USER_SGPR: 2
; COMPUTE_PGM_RSRC2:TRAP_HANDLER: 0
; COMPUTE_PGM_RSRC2:TGID_X_EN: 1
; COMPUTE_PGM_RSRC2:TGID_Y_EN: 0
; COMPUTE_PGM_RSRC2:TGID_Z_EN: 0
; COMPUTE_PGM_RSRC2:TIDIG_COMP_CNT: 0
; COMPUTE_PGM_RSRC3_GFX90A:ACCUM_OFFSET: 15
; COMPUTE_PGM_RSRC3_GFX90A:TG_SPLIT: 0
	.section	.text._ZN7rocprim17ROCPRIM_400000_NS6detail17trampoline_kernelINS0_14default_configENS1_35adjacent_difference_config_selectorILb0EiEEZNS1_24adjacent_difference_implIS3_Lb0ELb0EPKiPiN6thrust23THRUST_200600_302600_NS4plusIiEEEE10hipError_tPvRmT2_T3_mT4_P12ihipStream_tbEUlT_E_NS1_11comp_targetILNS1_3genE4ELNS1_11target_archE910ELNS1_3gpuE8ELNS1_3repE0EEENS1_30default_config_static_selectorELNS0_4arch9wavefront6targetE1EEEvT1_,"axG",@progbits,_ZN7rocprim17ROCPRIM_400000_NS6detail17trampoline_kernelINS0_14default_configENS1_35adjacent_difference_config_selectorILb0EiEEZNS1_24adjacent_difference_implIS3_Lb0ELb0EPKiPiN6thrust23THRUST_200600_302600_NS4plusIiEEEE10hipError_tPvRmT2_T3_mT4_P12ihipStream_tbEUlT_E_NS1_11comp_targetILNS1_3genE4ELNS1_11target_archE910ELNS1_3gpuE8ELNS1_3repE0EEENS1_30default_config_static_selectorELNS0_4arch9wavefront6targetE1EEEvT1_,comdat
	.protected	_ZN7rocprim17ROCPRIM_400000_NS6detail17trampoline_kernelINS0_14default_configENS1_35adjacent_difference_config_selectorILb0EiEEZNS1_24adjacent_difference_implIS3_Lb0ELb0EPKiPiN6thrust23THRUST_200600_302600_NS4plusIiEEEE10hipError_tPvRmT2_T3_mT4_P12ihipStream_tbEUlT_E_NS1_11comp_targetILNS1_3genE4ELNS1_11target_archE910ELNS1_3gpuE8ELNS1_3repE0EEENS1_30default_config_static_selectorELNS0_4arch9wavefront6targetE1EEEvT1_ ; -- Begin function _ZN7rocprim17ROCPRIM_400000_NS6detail17trampoline_kernelINS0_14default_configENS1_35adjacent_difference_config_selectorILb0EiEEZNS1_24adjacent_difference_implIS3_Lb0ELb0EPKiPiN6thrust23THRUST_200600_302600_NS4plusIiEEEE10hipError_tPvRmT2_T3_mT4_P12ihipStream_tbEUlT_E_NS1_11comp_targetILNS1_3genE4ELNS1_11target_archE910ELNS1_3gpuE8ELNS1_3repE0EEENS1_30default_config_static_selectorELNS0_4arch9wavefront6targetE1EEEvT1_
	.globl	_ZN7rocprim17ROCPRIM_400000_NS6detail17trampoline_kernelINS0_14default_configENS1_35adjacent_difference_config_selectorILb0EiEEZNS1_24adjacent_difference_implIS3_Lb0ELb0EPKiPiN6thrust23THRUST_200600_302600_NS4plusIiEEEE10hipError_tPvRmT2_T3_mT4_P12ihipStream_tbEUlT_E_NS1_11comp_targetILNS1_3genE4ELNS1_11target_archE910ELNS1_3gpuE8ELNS1_3repE0EEENS1_30default_config_static_selectorELNS0_4arch9wavefront6targetE1EEEvT1_
	.p2align	8
	.type	_ZN7rocprim17ROCPRIM_400000_NS6detail17trampoline_kernelINS0_14default_configENS1_35adjacent_difference_config_selectorILb0EiEEZNS1_24adjacent_difference_implIS3_Lb0ELb0EPKiPiN6thrust23THRUST_200600_302600_NS4plusIiEEEE10hipError_tPvRmT2_T3_mT4_P12ihipStream_tbEUlT_E_NS1_11comp_targetILNS1_3genE4ELNS1_11target_archE910ELNS1_3gpuE8ELNS1_3repE0EEENS1_30default_config_static_selectorELNS0_4arch9wavefront6targetE1EEEvT1_,@function
_ZN7rocprim17ROCPRIM_400000_NS6detail17trampoline_kernelINS0_14default_configENS1_35adjacent_difference_config_selectorILb0EiEEZNS1_24adjacent_difference_implIS3_Lb0ELb0EPKiPiN6thrust23THRUST_200600_302600_NS4plusIiEEEE10hipError_tPvRmT2_T3_mT4_P12ihipStream_tbEUlT_E_NS1_11comp_targetILNS1_3genE4ELNS1_11target_archE910ELNS1_3gpuE8ELNS1_3repE0EEENS1_30default_config_static_selectorELNS0_4arch9wavefront6targetE1EEEvT1_: ; @_ZN7rocprim17ROCPRIM_400000_NS6detail17trampoline_kernelINS0_14default_configENS1_35adjacent_difference_config_selectorILb0EiEEZNS1_24adjacent_difference_implIS3_Lb0ELb0EPKiPiN6thrust23THRUST_200600_302600_NS4plusIiEEEE10hipError_tPvRmT2_T3_mT4_P12ihipStream_tbEUlT_E_NS1_11comp_targetILNS1_3genE4ELNS1_11target_archE910ELNS1_3gpuE8ELNS1_3repE0EEENS1_30default_config_static_selectorELNS0_4arch9wavefront6targetE1EEEvT1_
; %bb.0:
	.section	.rodata,"a",@progbits
	.p2align	6, 0x0
	.amdhsa_kernel _ZN7rocprim17ROCPRIM_400000_NS6detail17trampoline_kernelINS0_14default_configENS1_35adjacent_difference_config_selectorILb0EiEEZNS1_24adjacent_difference_implIS3_Lb0ELb0EPKiPiN6thrust23THRUST_200600_302600_NS4plusIiEEEE10hipError_tPvRmT2_T3_mT4_P12ihipStream_tbEUlT_E_NS1_11comp_targetILNS1_3genE4ELNS1_11target_archE910ELNS1_3gpuE8ELNS1_3repE0EEENS1_30default_config_static_selectorELNS0_4arch9wavefront6targetE1EEEvT1_
		.amdhsa_group_segment_fixed_size 0
		.amdhsa_private_segment_fixed_size 0
		.amdhsa_kernarg_size 56
		.amdhsa_user_sgpr_count 2
		.amdhsa_user_sgpr_dispatch_ptr 0
		.amdhsa_user_sgpr_queue_ptr 0
		.amdhsa_user_sgpr_kernarg_segment_ptr 1
		.amdhsa_user_sgpr_dispatch_id 0
		.amdhsa_user_sgpr_kernarg_preload_length 0
		.amdhsa_user_sgpr_kernarg_preload_offset 0
		.amdhsa_user_sgpr_private_segment_size 0
		.amdhsa_uses_dynamic_stack 0
		.amdhsa_enable_private_segment 0
		.amdhsa_system_sgpr_workgroup_id_x 1
		.amdhsa_system_sgpr_workgroup_id_y 0
		.amdhsa_system_sgpr_workgroup_id_z 0
		.amdhsa_system_sgpr_workgroup_info 0
		.amdhsa_system_vgpr_workitem_id 0
		.amdhsa_next_free_vgpr 1
		.amdhsa_next_free_sgpr 0
		.amdhsa_accum_offset 4
		.amdhsa_reserve_vcc 0
		.amdhsa_float_round_mode_32 0
		.amdhsa_float_round_mode_16_64 0
		.amdhsa_float_denorm_mode_32 3
		.amdhsa_float_denorm_mode_16_64 3
		.amdhsa_dx10_clamp 1
		.amdhsa_ieee_mode 1
		.amdhsa_fp16_overflow 0
		.amdhsa_tg_split 0
		.amdhsa_exception_fp_ieee_invalid_op 0
		.amdhsa_exception_fp_denorm_src 0
		.amdhsa_exception_fp_ieee_div_zero 0
		.amdhsa_exception_fp_ieee_overflow 0
		.amdhsa_exception_fp_ieee_underflow 0
		.amdhsa_exception_fp_ieee_inexact 0
		.amdhsa_exception_int_div_zero 0
	.end_amdhsa_kernel
	.section	.text._ZN7rocprim17ROCPRIM_400000_NS6detail17trampoline_kernelINS0_14default_configENS1_35adjacent_difference_config_selectorILb0EiEEZNS1_24adjacent_difference_implIS3_Lb0ELb0EPKiPiN6thrust23THRUST_200600_302600_NS4plusIiEEEE10hipError_tPvRmT2_T3_mT4_P12ihipStream_tbEUlT_E_NS1_11comp_targetILNS1_3genE4ELNS1_11target_archE910ELNS1_3gpuE8ELNS1_3repE0EEENS1_30default_config_static_selectorELNS0_4arch9wavefront6targetE1EEEvT1_,"axG",@progbits,_ZN7rocprim17ROCPRIM_400000_NS6detail17trampoline_kernelINS0_14default_configENS1_35adjacent_difference_config_selectorILb0EiEEZNS1_24adjacent_difference_implIS3_Lb0ELb0EPKiPiN6thrust23THRUST_200600_302600_NS4plusIiEEEE10hipError_tPvRmT2_T3_mT4_P12ihipStream_tbEUlT_E_NS1_11comp_targetILNS1_3genE4ELNS1_11target_archE910ELNS1_3gpuE8ELNS1_3repE0EEENS1_30default_config_static_selectorELNS0_4arch9wavefront6targetE1EEEvT1_,comdat
.Lfunc_end569:
	.size	_ZN7rocprim17ROCPRIM_400000_NS6detail17trampoline_kernelINS0_14default_configENS1_35adjacent_difference_config_selectorILb0EiEEZNS1_24adjacent_difference_implIS3_Lb0ELb0EPKiPiN6thrust23THRUST_200600_302600_NS4plusIiEEEE10hipError_tPvRmT2_T3_mT4_P12ihipStream_tbEUlT_E_NS1_11comp_targetILNS1_3genE4ELNS1_11target_archE910ELNS1_3gpuE8ELNS1_3repE0EEENS1_30default_config_static_selectorELNS0_4arch9wavefront6targetE1EEEvT1_, .Lfunc_end569-_ZN7rocprim17ROCPRIM_400000_NS6detail17trampoline_kernelINS0_14default_configENS1_35adjacent_difference_config_selectorILb0EiEEZNS1_24adjacent_difference_implIS3_Lb0ELb0EPKiPiN6thrust23THRUST_200600_302600_NS4plusIiEEEE10hipError_tPvRmT2_T3_mT4_P12ihipStream_tbEUlT_E_NS1_11comp_targetILNS1_3genE4ELNS1_11target_archE910ELNS1_3gpuE8ELNS1_3repE0EEENS1_30default_config_static_selectorELNS0_4arch9wavefront6targetE1EEEvT1_
                                        ; -- End function
	.section	.AMDGPU.csdata,"",@progbits
; Kernel info:
; codeLenInByte = 0
; NumSgprs: 6
; NumVgprs: 0
; NumAgprs: 0
; TotalNumVgprs: 0
; ScratchSize: 0
; MemoryBound: 0
; FloatMode: 240
; IeeeMode: 1
; LDSByteSize: 0 bytes/workgroup (compile time only)
; SGPRBlocks: 0
; VGPRBlocks: 0
; NumSGPRsForWavesPerEU: 6
; NumVGPRsForWavesPerEU: 1
; AccumOffset: 4
; Occupancy: 8
; WaveLimiterHint : 0
; COMPUTE_PGM_RSRC2:SCRATCH_EN: 0
; COMPUTE_PGM_RSRC2:USER_SGPR: 2
; COMPUTE_PGM_RSRC2:TRAP_HANDLER: 0
; COMPUTE_PGM_RSRC2:TGID_X_EN: 1
; COMPUTE_PGM_RSRC2:TGID_Y_EN: 0
; COMPUTE_PGM_RSRC2:TGID_Z_EN: 0
; COMPUTE_PGM_RSRC2:TIDIG_COMP_CNT: 0
; COMPUTE_PGM_RSRC3_GFX90A:ACCUM_OFFSET: 0
; COMPUTE_PGM_RSRC3_GFX90A:TG_SPLIT: 0
	.section	.text._ZN7rocprim17ROCPRIM_400000_NS6detail17trampoline_kernelINS0_14default_configENS1_35adjacent_difference_config_selectorILb0EiEEZNS1_24adjacent_difference_implIS3_Lb0ELb0EPKiPiN6thrust23THRUST_200600_302600_NS4plusIiEEEE10hipError_tPvRmT2_T3_mT4_P12ihipStream_tbEUlT_E_NS1_11comp_targetILNS1_3genE3ELNS1_11target_archE908ELNS1_3gpuE7ELNS1_3repE0EEENS1_30default_config_static_selectorELNS0_4arch9wavefront6targetE1EEEvT1_,"axG",@progbits,_ZN7rocprim17ROCPRIM_400000_NS6detail17trampoline_kernelINS0_14default_configENS1_35adjacent_difference_config_selectorILb0EiEEZNS1_24adjacent_difference_implIS3_Lb0ELb0EPKiPiN6thrust23THRUST_200600_302600_NS4plusIiEEEE10hipError_tPvRmT2_T3_mT4_P12ihipStream_tbEUlT_E_NS1_11comp_targetILNS1_3genE3ELNS1_11target_archE908ELNS1_3gpuE7ELNS1_3repE0EEENS1_30default_config_static_selectorELNS0_4arch9wavefront6targetE1EEEvT1_,comdat
	.protected	_ZN7rocprim17ROCPRIM_400000_NS6detail17trampoline_kernelINS0_14default_configENS1_35adjacent_difference_config_selectorILb0EiEEZNS1_24adjacent_difference_implIS3_Lb0ELb0EPKiPiN6thrust23THRUST_200600_302600_NS4plusIiEEEE10hipError_tPvRmT2_T3_mT4_P12ihipStream_tbEUlT_E_NS1_11comp_targetILNS1_3genE3ELNS1_11target_archE908ELNS1_3gpuE7ELNS1_3repE0EEENS1_30default_config_static_selectorELNS0_4arch9wavefront6targetE1EEEvT1_ ; -- Begin function _ZN7rocprim17ROCPRIM_400000_NS6detail17trampoline_kernelINS0_14default_configENS1_35adjacent_difference_config_selectorILb0EiEEZNS1_24adjacent_difference_implIS3_Lb0ELb0EPKiPiN6thrust23THRUST_200600_302600_NS4plusIiEEEE10hipError_tPvRmT2_T3_mT4_P12ihipStream_tbEUlT_E_NS1_11comp_targetILNS1_3genE3ELNS1_11target_archE908ELNS1_3gpuE7ELNS1_3repE0EEENS1_30default_config_static_selectorELNS0_4arch9wavefront6targetE1EEEvT1_
	.globl	_ZN7rocprim17ROCPRIM_400000_NS6detail17trampoline_kernelINS0_14default_configENS1_35adjacent_difference_config_selectorILb0EiEEZNS1_24adjacent_difference_implIS3_Lb0ELb0EPKiPiN6thrust23THRUST_200600_302600_NS4plusIiEEEE10hipError_tPvRmT2_T3_mT4_P12ihipStream_tbEUlT_E_NS1_11comp_targetILNS1_3genE3ELNS1_11target_archE908ELNS1_3gpuE7ELNS1_3repE0EEENS1_30default_config_static_selectorELNS0_4arch9wavefront6targetE1EEEvT1_
	.p2align	8
	.type	_ZN7rocprim17ROCPRIM_400000_NS6detail17trampoline_kernelINS0_14default_configENS1_35adjacent_difference_config_selectorILb0EiEEZNS1_24adjacent_difference_implIS3_Lb0ELb0EPKiPiN6thrust23THRUST_200600_302600_NS4plusIiEEEE10hipError_tPvRmT2_T3_mT4_P12ihipStream_tbEUlT_E_NS1_11comp_targetILNS1_3genE3ELNS1_11target_archE908ELNS1_3gpuE7ELNS1_3repE0EEENS1_30default_config_static_selectorELNS0_4arch9wavefront6targetE1EEEvT1_,@function
_ZN7rocprim17ROCPRIM_400000_NS6detail17trampoline_kernelINS0_14default_configENS1_35adjacent_difference_config_selectorILb0EiEEZNS1_24adjacent_difference_implIS3_Lb0ELb0EPKiPiN6thrust23THRUST_200600_302600_NS4plusIiEEEE10hipError_tPvRmT2_T3_mT4_P12ihipStream_tbEUlT_E_NS1_11comp_targetILNS1_3genE3ELNS1_11target_archE908ELNS1_3gpuE7ELNS1_3repE0EEENS1_30default_config_static_selectorELNS0_4arch9wavefront6targetE1EEEvT1_: ; @_ZN7rocprim17ROCPRIM_400000_NS6detail17trampoline_kernelINS0_14default_configENS1_35adjacent_difference_config_selectorILb0EiEEZNS1_24adjacent_difference_implIS3_Lb0ELb0EPKiPiN6thrust23THRUST_200600_302600_NS4plusIiEEEE10hipError_tPvRmT2_T3_mT4_P12ihipStream_tbEUlT_E_NS1_11comp_targetILNS1_3genE3ELNS1_11target_archE908ELNS1_3gpuE7ELNS1_3repE0EEENS1_30default_config_static_selectorELNS0_4arch9wavefront6targetE1EEEvT1_
; %bb.0:
	.section	.rodata,"a",@progbits
	.p2align	6, 0x0
	.amdhsa_kernel _ZN7rocprim17ROCPRIM_400000_NS6detail17trampoline_kernelINS0_14default_configENS1_35adjacent_difference_config_selectorILb0EiEEZNS1_24adjacent_difference_implIS3_Lb0ELb0EPKiPiN6thrust23THRUST_200600_302600_NS4plusIiEEEE10hipError_tPvRmT2_T3_mT4_P12ihipStream_tbEUlT_E_NS1_11comp_targetILNS1_3genE3ELNS1_11target_archE908ELNS1_3gpuE7ELNS1_3repE0EEENS1_30default_config_static_selectorELNS0_4arch9wavefront6targetE1EEEvT1_
		.amdhsa_group_segment_fixed_size 0
		.amdhsa_private_segment_fixed_size 0
		.amdhsa_kernarg_size 56
		.amdhsa_user_sgpr_count 2
		.amdhsa_user_sgpr_dispatch_ptr 0
		.amdhsa_user_sgpr_queue_ptr 0
		.amdhsa_user_sgpr_kernarg_segment_ptr 1
		.amdhsa_user_sgpr_dispatch_id 0
		.amdhsa_user_sgpr_kernarg_preload_length 0
		.amdhsa_user_sgpr_kernarg_preload_offset 0
		.amdhsa_user_sgpr_private_segment_size 0
		.amdhsa_uses_dynamic_stack 0
		.amdhsa_enable_private_segment 0
		.amdhsa_system_sgpr_workgroup_id_x 1
		.amdhsa_system_sgpr_workgroup_id_y 0
		.amdhsa_system_sgpr_workgroup_id_z 0
		.amdhsa_system_sgpr_workgroup_info 0
		.amdhsa_system_vgpr_workitem_id 0
		.amdhsa_next_free_vgpr 1
		.amdhsa_next_free_sgpr 0
		.amdhsa_accum_offset 4
		.amdhsa_reserve_vcc 0
		.amdhsa_float_round_mode_32 0
		.amdhsa_float_round_mode_16_64 0
		.amdhsa_float_denorm_mode_32 3
		.amdhsa_float_denorm_mode_16_64 3
		.amdhsa_dx10_clamp 1
		.amdhsa_ieee_mode 1
		.amdhsa_fp16_overflow 0
		.amdhsa_tg_split 0
		.amdhsa_exception_fp_ieee_invalid_op 0
		.amdhsa_exception_fp_denorm_src 0
		.amdhsa_exception_fp_ieee_div_zero 0
		.amdhsa_exception_fp_ieee_overflow 0
		.amdhsa_exception_fp_ieee_underflow 0
		.amdhsa_exception_fp_ieee_inexact 0
		.amdhsa_exception_int_div_zero 0
	.end_amdhsa_kernel
	.section	.text._ZN7rocprim17ROCPRIM_400000_NS6detail17trampoline_kernelINS0_14default_configENS1_35adjacent_difference_config_selectorILb0EiEEZNS1_24adjacent_difference_implIS3_Lb0ELb0EPKiPiN6thrust23THRUST_200600_302600_NS4plusIiEEEE10hipError_tPvRmT2_T3_mT4_P12ihipStream_tbEUlT_E_NS1_11comp_targetILNS1_3genE3ELNS1_11target_archE908ELNS1_3gpuE7ELNS1_3repE0EEENS1_30default_config_static_selectorELNS0_4arch9wavefront6targetE1EEEvT1_,"axG",@progbits,_ZN7rocprim17ROCPRIM_400000_NS6detail17trampoline_kernelINS0_14default_configENS1_35adjacent_difference_config_selectorILb0EiEEZNS1_24adjacent_difference_implIS3_Lb0ELb0EPKiPiN6thrust23THRUST_200600_302600_NS4plusIiEEEE10hipError_tPvRmT2_T3_mT4_P12ihipStream_tbEUlT_E_NS1_11comp_targetILNS1_3genE3ELNS1_11target_archE908ELNS1_3gpuE7ELNS1_3repE0EEENS1_30default_config_static_selectorELNS0_4arch9wavefront6targetE1EEEvT1_,comdat
.Lfunc_end570:
	.size	_ZN7rocprim17ROCPRIM_400000_NS6detail17trampoline_kernelINS0_14default_configENS1_35adjacent_difference_config_selectorILb0EiEEZNS1_24adjacent_difference_implIS3_Lb0ELb0EPKiPiN6thrust23THRUST_200600_302600_NS4plusIiEEEE10hipError_tPvRmT2_T3_mT4_P12ihipStream_tbEUlT_E_NS1_11comp_targetILNS1_3genE3ELNS1_11target_archE908ELNS1_3gpuE7ELNS1_3repE0EEENS1_30default_config_static_selectorELNS0_4arch9wavefront6targetE1EEEvT1_, .Lfunc_end570-_ZN7rocprim17ROCPRIM_400000_NS6detail17trampoline_kernelINS0_14default_configENS1_35adjacent_difference_config_selectorILb0EiEEZNS1_24adjacent_difference_implIS3_Lb0ELb0EPKiPiN6thrust23THRUST_200600_302600_NS4plusIiEEEE10hipError_tPvRmT2_T3_mT4_P12ihipStream_tbEUlT_E_NS1_11comp_targetILNS1_3genE3ELNS1_11target_archE908ELNS1_3gpuE7ELNS1_3repE0EEENS1_30default_config_static_selectorELNS0_4arch9wavefront6targetE1EEEvT1_
                                        ; -- End function
	.section	.AMDGPU.csdata,"",@progbits
; Kernel info:
; codeLenInByte = 0
; NumSgprs: 6
; NumVgprs: 0
; NumAgprs: 0
; TotalNumVgprs: 0
; ScratchSize: 0
; MemoryBound: 0
; FloatMode: 240
; IeeeMode: 1
; LDSByteSize: 0 bytes/workgroup (compile time only)
; SGPRBlocks: 0
; VGPRBlocks: 0
; NumSGPRsForWavesPerEU: 6
; NumVGPRsForWavesPerEU: 1
; AccumOffset: 4
; Occupancy: 8
; WaveLimiterHint : 0
; COMPUTE_PGM_RSRC2:SCRATCH_EN: 0
; COMPUTE_PGM_RSRC2:USER_SGPR: 2
; COMPUTE_PGM_RSRC2:TRAP_HANDLER: 0
; COMPUTE_PGM_RSRC2:TGID_X_EN: 1
; COMPUTE_PGM_RSRC2:TGID_Y_EN: 0
; COMPUTE_PGM_RSRC2:TGID_Z_EN: 0
; COMPUTE_PGM_RSRC2:TIDIG_COMP_CNT: 0
; COMPUTE_PGM_RSRC3_GFX90A:ACCUM_OFFSET: 0
; COMPUTE_PGM_RSRC3_GFX90A:TG_SPLIT: 0
	.section	.text._ZN7rocprim17ROCPRIM_400000_NS6detail17trampoline_kernelINS0_14default_configENS1_35adjacent_difference_config_selectorILb0EiEEZNS1_24adjacent_difference_implIS3_Lb0ELb0EPKiPiN6thrust23THRUST_200600_302600_NS4plusIiEEEE10hipError_tPvRmT2_T3_mT4_P12ihipStream_tbEUlT_E_NS1_11comp_targetILNS1_3genE2ELNS1_11target_archE906ELNS1_3gpuE6ELNS1_3repE0EEENS1_30default_config_static_selectorELNS0_4arch9wavefront6targetE1EEEvT1_,"axG",@progbits,_ZN7rocprim17ROCPRIM_400000_NS6detail17trampoline_kernelINS0_14default_configENS1_35adjacent_difference_config_selectorILb0EiEEZNS1_24adjacent_difference_implIS3_Lb0ELb0EPKiPiN6thrust23THRUST_200600_302600_NS4plusIiEEEE10hipError_tPvRmT2_T3_mT4_P12ihipStream_tbEUlT_E_NS1_11comp_targetILNS1_3genE2ELNS1_11target_archE906ELNS1_3gpuE6ELNS1_3repE0EEENS1_30default_config_static_selectorELNS0_4arch9wavefront6targetE1EEEvT1_,comdat
	.protected	_ZN7rocprim17ROCPRIM_400000_NS6detail17trampoline_kernelINS0_14default_configENS1_35adjacent_difference_config_selectorILb0EiEEZNS1_24adjacent_difference_implIS3_Lb0ELb0EPKiPiN6thrust23THRUST_200600_302600_NS4plusIiEEEE10hipError_tPvRmT2_T3_mT4_P12ihipStream_tbEUlT_E_NS1_11comp_targetILNS1_3genE2ELNS1_11target_archE906ELNS1_3gpuE6ELNS1_3repE0EEENS1_30default_config_static_selectorELNS0_4arch9wavefront6targetE1EEEvT1_ ; -- Begin function _ZN7rocprim17ROCPRIM_400000_NS6detail17trampoline_kernelINS0_14default_configENS1_35adjacent_difference_config_selectorILb0EiEEZNS1_24adjacent_difference_implIS3_Lb0ELb0EPKiPiN6thrust23THRUST_200600_302600_NS4plusIiEEEE10hipError_tPvRmT2_T3_mT4_P12ihipStream_tbEUlT_E_NS1_11comp_targetILNS1_3genE2ELNS1_11target_archE906ELNS1_3gpuE6ELNS1_3repE0EEENS1_30default_config_static_selectorELNS0_4arch9wavefront6targetE1EEEvT1_
	.globl	_ZN7rocprim17ROCPRIM_400000_NS6detail17trampoline_kernelINS0_14default_configENS1_35adjacent_difference_config_selectorILb0EiEEZNS1_24adjacent_difference_implIS3_Lb0ELb0EPKiPiN6thrust23THRUST_200600_302600_NS4plusIiEEEE10hipError_tPvRmT2_T3_mT4_P12ihipStream_tbEUlT_E_NS1_11comp_targetILNS1_3genE2ELNS1_11target_archE906ELNS1_3gpuE6ELNS1_3repE0EEENS1_30default_config_static_selectorELNS0_4arch9wavefront6targetE1EEEvT1_
	.p2align	8
	.type	_ZN7rocprim17ROCPRIM_400000_NS6detail17trampoline_kernelINS0_14default_configENS1_35adjacent_difference_config_selectorILb0EiEEZNS1_24adjacent_difference_implIS3_Lb0ELb0EPKiPiN6thrust23THRUST_200600_302600_NS4plusIiEEEE10hipError_tPvRmT2_T3_mT4_P12ihipStream_tbEUlT_E_NS1_11comp_targetILNS1_3genE2ELNS1_11target_archE906ELNS1_3gpuE6ELNS1_3repE0EEENS1_30default_config_static_selectorELNS0_4arch9wavefront6targetE1EEEvT1_,@function
_ZN7rocprim17ROCPRIM_400000_NS6detail17trampoline_kernelINS0_14default_configENS1_35adjacent_difference_config_selectorILb0EiEEZNS1_24adjacent_difference_implIS3_Lb0ELb0EPKiPiN6thrust23THRUST_200600_302600_NS4plusIiEEEE10hipError_tPvRmT2_T3_mT4_P12ihipStream_tbEUlT_E_NS1_11comp_targetILNS1_3genE2ELNS1_11target_archE906ELNS1_3gpuE6ELNS1_3repE0EEENS1_30default_config_static_selectorELNS0_4arch9wavefront6targetE1EEEvT1_: ; @_ZN7rocprim17ROCPRIM_400000_NS6detail17trampoline_kernelINS0_14default_configENS1_35adjacent_difference_config_selectorILb0EiEEZNS1_24adjacent_difference_implIS3_Lb0ELb0EPKiPiN6thrust23THRUST_200600_302600_NS4plusIiEEEE10hipError_tPvRmT2_T3_mT4_P12ihipStream_tbEUlT_E_NS1_11comp_targetILNS1_3genE2ELNS1_11target_archE906ELNS1_3gpuE6ELNS1_3repE0EEENS1_30default_config_static_selectorELNS0_4arch9wavefront6targetE1EEEvT1_
; %bb.0:
	.section	.rodata,"a",@progbits
	.p2align	6, 0x0
	.amdhsa_kernel _ZN7rocprim17ROCPRIM_400000_NS6detail17trampoline_kernelINS0_14default_configENS1_35adjacent_difference_config_selectorILb0EiEEZNS1_24adjacent_difference_implIS3_Lb0ELb0EPKiPiN6thrust23THRUST_200600_302600_NS4plusIiEEEE10hipError_tPvRmT2_T3_mT4_P12ihipStream_tbEUlT_E_NS1_11comp_targetILNS1_3genE2ELNS1_11target_archE906ELNS1_3gpuE6ELNS1_3repE0EEENS1_30default_config_static_selectorELNS0_4arch9wavefront6targetE1EEEvT1_
		.amdhsa_group_segment_fixed_size 0
		.amdhsa_private_segment_fixed_size 0
		.amdhsa_kernarg_size 56
		.amdhsa_user_sgpr_count 2
		.amdhsa_user_sgpr_dispatch_ptr 0
		.amdhsa_user_sgpr_queue_ptr 0
		.amdhsa_user_sgpr_kernarg_segment_ptr 1
		.amdhsa_user_sgpr_dispatch_id 0
		.amdhsa_user_sgpr_kernarg_preload_length 0
		.amdhsa_user_sgpr_kernarg_preload_offset 0
		.amdhsa_user_sgpr_private_segment_size 0
		.amdhsa_uses_dynamic_stack 0
		.amdhsa_enable_private_segment 0
		.amdhsa_system_sgpr_workgroup_id_x 1
		.amdhsa_system_sgpr_workgroup_id_y 0
		.amdhsa_system_sgpr_workgroup_id_z 0
		.amdhsa_system_sgpr_workgroup_info 0
		.amdhsa_system_vgpr_workitem_id 0
		.amdhsa_next_free_vgpr 1
		.amdhsa_next_free_sgpr 0
		.amdhsa_accum_offset 4
		.amdhsa_reserve_vcc 0
		.amdhsa_float_round_mode_32 0
		.amdhsa_float_round_mode_16_64 0
		.amdhsa_float_denorm_mode_32 3
		.amdhsa_float_denorm_mode_16_64 3
		.amdhsa_dx10_clamp 1
		.amdhsa_ieee_mode 1
		.amdhsa_fp16_overflow 0
		.amdhsa_tg_split 0
		.amdhsa_exception_fp_ieee_invalid_op 0
		.amdhsa_exception_fp_denorm_src 0
		.amdhsa_exception_fp_ieee_div_zero 0
		.amdhsa_exception_fp_ieee_overflow 0
		.amdhsa_exception_fp_ieee_underflow 0
		.amdhsa_exception_fp_ieee_inexact 0
		.amdhsa_exception_int_div_zero 0
	.end_amdhsa_kernel
	.section	.text._ZN7rocprim17ROCPRIM_400000_NS6detail17trampoline_kernelINS0_14default_configENS1_35adjacent_difference_config_selectorILb0EiEEZNS1_24adjacent_difference_implIS3_Lb0ELb0EPKiPiN6thrust23THRUST_200600_302600_NS4plusIiEEEE10hipError_tPvRmT2_T3_mT4_P12ihipStream_tbEUlT_E_NS1_11comp_targetILNS1_3genE2ELNS1_11target_archE906ELNS1_3gpuE6ELNS1_3repE0EEENS1_30default_config_static_selectorELNS0_4arch9wavefront6targetE1EEEvT1_,"axG",@progbits,_ZN7rocprim17ROCPRIM_400000_NS6detail17trampoline_kernelINS0_14default_configENS1_35adjacent_difference_config_selectorILb0EiEEZNS1_24adjacent_difference_implIS3_Lb0ELb0EPKiPiN6thrust23THRUST_200600_302600_NS4plusIiEEEE10hipError_tPvRmT2_T3_mT4_P12ihipStream_tbEUlT_E_NS1_11comp_targetILNS1_3genE2ELNS1_11target_archE906ELNS1_3gpuE6ELNS1_3repE0EEENS1_30default_config_static_selectorELNS0_4arch9wavefront6targetE1EEEvT1_,comdat
.Lfunc_end571:
	.size	_ZN7rocprim17ROCPRIM_400000_NS6detail17trampoline_kernelINS0_14default_configENS1_35adjacent_difference_config_selectorILb0EiEEZNS1_24adjacent_difference_implIS3_Lb0ELb0EPKiPiN6thrust23THRUST_200600_302600_NS4plusIiEEEE10hipError_tPvRmT2_T3_mT4_P12ihipStream_tbEUlT_E_NS1_11comp_targetILNS1_3genE2ELNS1_11target_archE906ELNS1_3gpuE6ELNS1_3repE0EEENS1_30default_config_static_selectorELNS0_4arch9wavefront6targetE1EEEvT1_, .Lfunc_end571-_ZN7rocprim17ROCPRIM_400000_NS6detail17trampoline_kernelINS0_14default_configENS1_35adjacent_difference_config_selectorILb0EiEEZNS1_24adjacent_difference_implIS3_Lb0ELb0EPKiPiN6thrust23THRUST_200600_302600_NS4plusIiEEEE10hipError_tPvRmT2_T3_mT4_P12ihipStream_tbEUlT_E_NS1_11comp_targetILNS1_3genE2ELNS1_11target_archE906ELNS1_3gpuE6ELNS1_3repE0EEENS1_30default_config_static_selectorELNS0_4arch9wavefront6targetE1EEEvT1_
                                        ; -- End function
	.section	.AMDGPU.csdata,"",@progbits
; Kernel info:
; codeLenInByte = 0
; NumSgprs: 6
; NumVgprs: 0
; NumAgprs: 0
; TotalNumVgprs: 0
; ScratchSize: 0
; MemoryBound: 0
; FloatMode: 240
; IeeeMode: 1
; LDSByteSize: 0 bytes/workgroup (compile time only)
; SGPRBlocks: 0
; VGPRBlocks: 0
; NumSGPRsForWavesPerEU: 6
; NumVGPRsForWavesPerEU: 1
; AccumOffset: 4
; Occupancy: 8
; WaveLimiterHint : 0
; COMPUTE_PGM_RSRC2:SCRATCH_EN: 0
; COMPUTE_PGM_RSRC2:USER_SGPR: 2
; COMPUTE_PGM_RSRC2:TRAP_HANDLER: 0
; COMPUTE_PGM_RSRC2:TGID_X_EN: 1
; COMPUTE_PGM_RSRC2:TGID_Y_EN: 0
; COMPUTE_PGM_RSRC2:TGID_Z_EN: 0
; COMPUTE_PGM_RSRC2:TIDIG_COMP_CNT: 0
; COMPUTE_PGM_RSRC3_GFX90A:ACCUM_OFFSET: 0
; COMPUTE_PGM_RSRC3_GFX90A:TG_SPLIT: 0
	.section	.text._ZN7rocprim17ROCPRIM_400000_NS6detail17trampoline_kernelINS0_14default_configENS1_35adjacent_difference_config_selectorILb0EiEEZNS1_24adjacent_difference_implIS3_Lb0ELb0EPKiPiN6thrust23THRUST_200600_302600_NS4plusIiEEEE10hipError_tPvRmT2_T3_mT4_P12ihipStream_tbEUlT_E_NS1_11comp_targetILNS1_3genE9ELNS1_11target_archE1100ELNS1_3gpuE3ELNS1_3repE0EEENS1_30default_config_static_selectorELNS0_4arch9wavefront6targetE1EEEvT1_,"axG",@progbits,_ZN7rocprim17ROCPRIM_400000_NS6detail17trampoline_kernelINS0_14default_configENS1_35adjacent_difference_config_selectorILb0EiEEZNS1_24adjacent_difference_implIS3_Lb0ELb0EPKiPiN6thrust23THRUST_200600_302600_NS4plusIiEEEE10hipError_tPvRmT2_T3_mT4_P12ihipStream_tbEUlT_E_NS1_11comp_targetILNS1_3genE9ELNS1_11target_archE1100ELNS1_3gpuE3ELNS1_3repE0EEENS1_30default_config_static_selectorELNS0_4arch9wavefront6targetE1EEEvT1_,comdat
	.protected	_ZN7rocprim17ROCPRIM_400000_NS6detail17trampoline_kernelINS0_14default_configENS1_35adjacent_difference_config_selectorILb0EiEEZNS1_24adjacent_difference_implIS3_Lb0ELb0EPKiPiN6thrust23THRUST_200600_302600_NS4plusIiEEEE10hipError_tPvRmT2_T3_mT4_P12ihipStream_tbEUlT_E_NS1_11comp_targetILNS1_3genE9ELNS1_11target_archE1100ELNS1_3gpuE3ELNS1_3repE0EEENS1_30default_config_static_selectorELNS0_4arch9wavefront6targetE1EEEvT1_ ; -- Begin function _ZN7rocprim17ROCPRIM_400000_NS6detail17trampoline_kernelINS0_14default_configENS1_35adjacent_difference_config_selectorILb0EiEEZNS1_24adjacent_difference_implIS3_Lb0ELb0EPKiPiN6thrust23THRUST_200600_302600_NS4plusIiEEEE10hipError_tPvRmT2_T3_mT4_P12ihipStream_tbEUlT_E_NS1_11comp_targetILNS1_3genE9ELNS1_11target_archE1100ELNS1_3gpuE3ELNS1_3repE0EEENS1_30default_config_static_selectorELNS0_4arch9wavefront6targetE1EEEvT1_
	.globl	_ZN7rocprim17ROCPRIM_400000_NS6detail17trampoline_kernelINS0_14default_configENS1_35adjacent_difference_config_selectorILb0EiEEZNS1_24adjacent_difference_implIS3_Lb0ELb0EPKiPiN6thrust23THRUST_200600_302600_NS4plusIiEEEE10hipError_tPvRmT2_T3_mT4_P12ihipStream_tbEUlT_E_NS1_11comp_targetILNS1_3genE9ELNS1_11target_archE1100ELNS1_3gpuE3ELNS1_3repE0EEENS1_30default_config_static_selectorELNS0_4arch9wavefront6targetE1EEEvT1_
	.p2align	8
	.type	_ZN7rocprim17ROCPRIM_400000_NS6detail17trampoline_kernelINS0_14default_configENS1_35adjacent_difference_config_selectorILb0EiEEZNS1_24adjacent_difference_implIS3_Lb0ELb0EPKiPiN6thrust23THRUST_200600_302600_NS4plusIiEEEE10hipError_tPvRmT2_T3_mT4_P12ihipStream_tbEUlT_E_NS1_11comp_targetILNS1_3genE9ELNS1_11target_archE1100ELNS1_3gpuE3ELNS1_3repE0EEENS1_30default_config_static_selectorELNS0_4arch9wavefront6targetE1EEEvT1_,@function
_ZN7rocprim17ROCPRIM_400000_NS6detail17trampoline_kernelINS0_14default_configENS1_35adjacent_difference_config_selectorILb0EiEEZNS1_24adjacent_difference_implIS3_Lb0ELb0EPKiPiN6thrust23THRUST_200600_302600_NS4plusIiEEEE10hipError_tPvRmT2_T3_mT4_P12ihipStream_tbEUlT_E_NS1_11comp_targetILNS1_3genE9ELNS1_11target_archE1100ELNS1_3gpuE3ELNS1_3repE0EEENS1_30default_config_static_selectorELNS0_4arch9wavefront6targetE1EEEvT1_: ; @_ZN7rocprim17ROCPRIM_400000_NS6detail17trampoline_kernelINS0_14default_configENS1_35adjacent_difference_config_selectorILb0EiEEZNS1_24adjacent_difference_implIS3_Lb0ELb0EPKiPiN6thrust23THRUST_200600_302600_NS4plusIiEEEE10hipError_tPvRmT2_T3_mT4_P12ihipStream_tbEUlT_E_NS1_11comp_targetILNS1_3genE9ELNS1_11target_archE1100ELNS1_3gpuE3ELNS1_3repE0EEENS1_30default_config_static_selectorELNS0_4arch9wavefront6targetE1EEEvT1_
; %bb.0:
	.section	.rodata,"a",@progbits
	.p2align	6, 0x0
	.amdhsa_kernel _ZN7rocprim17ROCPRIM_400000_NS6detail17trampoline_kernelINS0_14default_configENS1_35adjacent_difference_config_selectorILb0EiEEZNS1_24adjacent_difference_implIS3_Lb0ELb0EPKiPiN6thrust23THRUST_200600_302600_NS4plusIiEEEE10hipError_tPvRmT2_T3_mT4_P12ihipStream_tbEUlT_E_NS1_11comp_targetILNS1_3genE9ELNS1_11target_archE1100ELNS1_3gpuE3ELNS1_3repE0EEENS1_30default_config_static_selectorELNS0_4arch9wavefront6targetE1EEEvT1_
		.amdhsa_group_segment_fixed_size 0
		.amdhsa_private_segment_fixed_size 0
		.amdhsa_kernarg_size 56
		.amdhsa_user_sgpr_count 2
		.amdhsa_user_sgpr_dispatch_ptr 0
		.amdhsa_user_sgpr_queue_ptr 0
		.amdhsa_user_sgpr_kernarg_segment_ptr 1
		.amdhsa_user_sgpr_dispatch_id 0
		.amdhsa_user_sgpr_kernarg_preload_length 0
		.amdhsa_user_sgpr_kernarg_preload_offset 0
		.amdhsa_user_sgpr_private_segment_size 0
		.amdhsa_uses_dynamic_stack 0
		.amdhsa_enable_private_segment 0
		.amdhsa_system_sgpr_workgroup_id_x 1
		.amdhsa_system_sgpr_workgroup_id_y 0
		.amdhsa_system_sgpr_workgroup_id_z 0
		.amdhsa_system_sgpr_workgroup_info 0
		.amdhsa_system_vgpr_workitem_id 0
		.amdhsa_next_free_vgpr 1
		.amdhsa_next_free_sgpr 0
		.amdhsa_accum_offset 4
		.amdhsa_reserve_vcc 0
		.amdhsa_float_round_mode_32 0
		.amdhsa_float_round_mode_16_64 0
		.amdhsa_float_denorm_mode_32 3
		.amdhsa_float_denorm_mode_16_64 3
		.amdhsa_dx10_clamp 1
		.amdhsa_ieee_mode 1
		.amdhsa_fp16_overflow 0
		.amdhsa_tg_split 0
		.amdhsa_exception_fp_ieee_invalid_op 0
		.amdhsa_exception_fp_denorm_src 0
		.amdhsa_exception_fp_ieee_div_zero 0
		.amdhsa_exception_fp_ieee_overflow 0
		.amdhsa_exception_fp_ieee_underflow 0
		.amdhsa_exception_fp_ieee_inexact 0
		.amdhsa_exception_int_div_zero 0
	.end_amdhsa_kernel
	.section	.text._ZN7rocprim17ROCPRIM_400000_NS6detail17trampoline_kernelINS0_14default_configENS1_35adjacent_difference_config_selectorILb0EiEEZNS1_24adjacent_difference_implIS3_Lb0ELb0EPKiPiN6thrust23THRUST_200600_302600_NS4plusIiEEEE10hipError_tPvRmT2_T3_mT4_P12ihipStream_tbEUlT_E_NS1_11comp_targetILNS1_3genE9ELNS1_11target_archE1100ELNS1_3gpuE3ELNS1_3repE0EEENS1_30default_config_static_selectorELNS0_4arch9wavefront6targetE1EEEvT1_,"axG",@progbits,_ZN7rocprim17ROCPRIM_400000_NS6detail17trampoline_kernelINS0_14default_configENS1_35adjacent_difference_config_selectorILb0EiEEZNS1_24adjacent_difference_implIS3_Lb0ELb0EPKiPiN6thrust23THRUST_200600_302600_NS4plusIiEEEE10hipError_tPvRmT2_T3_mT4_P12ihipStream_tbEUlT_E_NS1_11comp_targetILNS1_3genE9ELNS1_11target_archE1100ELNS1_3gpuE3ELNS1_3repE0EEENS1_30default_config_static_selectorELNS0_4arch9wavefront6targetE1EEEvT1_,comdat
.Lfunc_end572:
	.size	_ZN7rocprim17ROCPRIM_400000_NS6detail17trampoline_kernelINS0_14default_configENS1_35adjacent_difference_config_selectorILb0EiEEZNS1_24adjacent_difference_implIS3_Lb0ELb0EPKiPiN6thrust23THRUST_200600_302600_NS4plusIiEEEE10hipError_tPvRmT2_T3_mT4_P12ihipStream_tbEUlT_E_NS1_11comp_targetILNS1_3genE9ELNS1_11target_archE1100ELNS1_3gpuE3ELNS1_3repE0EEENS1_30default_config_static_selectorELNS0_4arch9wavefront6targetE1EEEvT1_, .Lfunc_end572-_ZN7rocprim17ROCPRIM_400000_NS6detail17trampoline_kernelINS0_14default_configENS1_35adjacent_difference_config_selectorILb0EiEEZNS1_24adjacent_difference_implIS3_Lb0ELb0EPKiPiN6thrust23THRUST_200600_302600_NS4plusIiEEEE10hipError_tPvRmT2_T3_mT4_P12ihipStream_tbEUlT_E_NS1_11comp_targetILNS1_3genE9ELNS1_11target_archE1100ELNS1_3gpuE3ELNS1_3repE0EEENS1_30default_config_static_selectorELNS0_4arch9wavefront6targetE1EEEvT1_
                                        ; -- End function
	.section	.AMDGPU.csdata,"",@progbits
; Kernel info:
; codeLenInByte = 0
; NumSgprs: 6
; NumVgprs: 0
; NumAgprs: 0
; TotalNumVgprs: 0
; ScratchSize: 0
; MemoryBound: 0
; FloatMode: 240
; IeeeMode: 1
; LDSByteSize: 0 bytes/workgroup (compile time only)
; SGPRBlocks: 0
; VGPRBlocks: 0
; NumSGPRsForWavesPerEU: 6
; NumVGPRsForWavesPerEU: 1
; AccumOffset: 4
; Occupancy: 8
; WaveLimiterHint : 0
; COMPUTE_PGM_RSRC2:SCRATCH_EN: 0
; COMPUTE_PGM_RSRC2:USER_SGPR: 2
; COMPUTE_PGM_RSRC2:TRAP_HANDLER: 0
; COMPUTE_PGM_RSRC2:TGID_X_EN: 1
; COMPUTE_PGM_RSRC2:TGID_Y_EN: 0
; COMPUTE_PGM_RSRC2:TGID_Z_EN: 0
; COMPUTE_PGM_RSRC2:TIDIG_COMP_CNT: 0
; COMPUTE_PGM_RSRC3_GFX90A:ACCUM_OFFSET: 0
; COMPUTE_PGM_RSRC3_GFX90A:TG_SPLIT: 0
	.section	.text._ZN7rocprim17ROCPRIM_400000_NS6detail17trampoline_kernelINS0_14default_configENS1_35adjacent_difference_config_selectorILb0EiEEZNS1_24adjacent_difference_implIS3_Lb0ELb0EPKiPiN6thrust23THRUST_200600_302600_NS4plusIiEEEE10hipError_tPvRmT2_T3_mT4_P12ihipStream_tbEUlT_E_NS1_11comp_targetILNS1_3genE8ELNS1_11target_archE1030ELNS1_3gpuE2ELNS1_3repE0EEENS1_30default_config_static_selectorELNS0_4arch9wavefront6targetE1EEEvT1_,"axG",@progbits,_ZN7rocprim17ROCPRIM_400000_NS6detail17trampoline_kernelINS0_14default_configENS1_35adjacent_difference_config_selectorILb0EiEEZNS1_24adjacent_difference_implIS3_Lb0ELb0EPKiPiN6thrust23THRUST_200600_302600_NS4plusIiEEEE10hipError_tPvRmT2_T3_mT4_P12ihipStream_tbEUlT_E_NS1_11comp_targetILNS1_3genE8ELNS1_11target_archE1030ELNS1_3gpuE2ELNS1_3repE0EEENS1_30default_config_static_selectorELNS0_4arch9wavefront6targetE1EEEvT1_,comdat
	.protected	_ZN7rocprim17ROCPRIM_400000_NS6detail17trampoline_kernelINS0_14default_configENS1_35adjacent_difference_config_selectorILb0EiEEZNS1_24adjacent_difference_implIS3_Lb0ELb0EPKiPiN6thrust23THRUST_200600_302600_NS4plusIiEEEE10hipError_tPvRmT2_T3_mT4_P12ihipStream_tbEUlT_E_NS1_11comp_targetILNS1_3genE8ELNS1_11target_archE1030ELNS1_3gpuE2ELNS1_3repE0EEENS1_30default_config_static_selectorELNS0_4arch9wavefront6targetE1EEEvT1_ ; -- Begin function _ZN7rocprim17ROCPRIM_400000_NS6detail17trampoline_kernelINS0_14default_configENS1_35adjacent_difference_config_selectorILb0EiEEZNS1_24adjacent_difference_implIS3_Lb0ELb0EPKiPiN6thrust23THRUST_200600_302600_NS4plusIiEEEE10hipError_tPvRmT2_T3_mT4_P12ihipStream_tbEUlT_E_NS1_11comp_targetILNS1_3genE8ELNS1_11target_archE1030ELNS1_3gpuE2ELNS1_3repE0EEENS1_30default_config_static_selectorELNS0_4arch9wavefront6targetE1EEEvT1_
	.globl	_ZN7rocprim17ROCPRIM_400000_NS6detail17trampoline_kernelINS0_14default_configENS1_35adjacent_difference_config_selectorILb0EiEEZNS1_24adjacent_difference_implIS3_Lb0ELb0EPKiPiN6thrust23THRUST_200600_302600_NS4plusIiEEEE10hipError_tPvRmT2_T3_mT4_P12ihipStream_tbEUlT_E_NS1_11comp_targetILNS1_3genE8ELNS1_11target_archE1030ELNS1_3gpuE2ELNS1_3repE0EEENS1_30default_config_static_selectorELNS0_4arch9wavefront6targetE1EEEvT1_
	.p2align	8
	.type	_ZN7rocprim17ROCPRIM_400000_NS6detail17trampoline_kernelINS0_14default_configENS1_35adjacent_difference_config_selectorILb0EiEEZNS1_24adjacent_difference_implIS3_Lb0ELb0EPKiPiN6thrust23THRUST_200600_302600_NS4plusIiEEEE10hipError_tPvRmT2_T3_mT4_P12ihipStream_tbEUlT_E_NS1_11comp_targetILNS1_3genE8ELNS1_11target_archE1030ELNS1_3gpuE2ELNS1_3repE0EEENS1_30default_config_static_selectorELNS0_4arch9wavefront6targetE1EEEvT1_,@function
_ZN7rocprim17ROCPRIM_400000_NS6detail17trampoline_kernelINS0_14default_configENS1_35adjacent_difference_config_selectorILb0EiEEZNS1_24adjacent_difference_implIS3_Lb0ELb0EPKiPiN6thrust23THRUST_200600_302600_NS4plusIiEEEE10hipError_tPvRmT2_T3_mT4_P12ihipStream_tbEUlT_E_NS1_11comp_targetILNS1_3genE8ELNS1_11target_archE1030ELNS1_3gpuE2ELNS1_3repE0EEENS1_30default_config_static_selectorELNS0_4arch9wavefront6targetE1EEEvT1_: ; @_ZN7rocprim17ROCPRIM_400000_NS6detail17trampoline_kernelINS0_14default_configENS1_35adjacent_difference_config_selectorILb0EiEEZNS1_24adjacent_difference_implIS3_Lb0ELb0EPKiPiN6thrust23THRUST_200600_302600_NS4plusIiEEEE10hipError_tPvRmT2_T3_mT4_P12ihipStream_tbEUlT_E_NS1_11comp_targetILNS1_3genE8ELNS1_11target_archE1030ELNS1_3gpuE2ELNS1_3repE0EEENS1_30default_config_static_selectorELNS0_4arch9wavefront6targetE1EEEvT1_
; %bb.0:
	.section	.rodata,"a",@progbits
	.p2align	6, 0x0
	.amdhsa_kernel _ZN7rocprim17ROCPRIM_400000_NS6detail17trampoline_kernelINS0_14default_configENS1_35adjacent_difference_config_selectorILb0EiEEZNS1_24adjacent_difference_implIS3_Lb0ELb0EPKiPiN6thrust23THRUST_200600_302600_NS4plusIiEEEE10hipError_tPvRmT2_T3_mT4_P12ihipStream_tbEUlT_E_NS1_11comp_targetILNS1_3genE8ELNS1_11target_archE1030ELNS1_3gpuE2ELNS1_3repE0EEENS1_30default_config_static_selectorELNS0_4arch9wavefront6targetE1EEEvT1_
		.amdhsa_group_segment_fixed_size 0
		.amdhsa_private_segment_fixed_size 0
		.amdhsa_kernarg_size 56
		.amdhsa_user_sgpr_count 2
		.amdhsa_user_sgpr_dispatch_ptr 0
		.amdhsa_user_sgpr_queue_ptr 0
		.amdhsa_user_sgpr_kernarg_segment_ptr 1
		.amdhsa_user_sgpr_dispatch_id 0
		.amdhsa_user_sgpr_kernarg_preload_length 0
		.amdhsa_user_sgpr_kernarg_preload_offset 0
		.amdhsa_user_sgpr_private_segment_size 0
		.amdhsa_uses_dynamic_stack 0
		.amdhsa_enable_private_segment 0
		.amdhsa_system_sgpr_workgroup_id_x 1
		.amdhsa_system_sgpr_workgroup_id_y 0
		.amdhsa_system_sgpr_workgroup_id_z 0
		.amdhsa_system_sgpr_workgroup_info 0
		.amdhsa_system_vgpr_workitem_id 0
		.amdhsa_next_free_vgpr 1
		.amdhsa_next_free_sgpr 0
		.amdhsa_accum_offset 4
		.amdhsa_reserve_vcc 0
		.amdhsa_float_round_mode_32 0
		.amdhsa_float_round_mode_16_64 0
		.amdhsa_float_denorm_mode_32 3
		.amdhsa_float_denorm_mode_16_64 3
		.amdhsa_dx10_clamp 1
		.amdhsa_ieee_mode 1
		.amdhsa_fp16_overflow 0
		.amdhsa_tg_split 0
		.amdhsa_exception_fp_ieee_invalid_op 0
		.amdhsa_exception_fp_denorm_src 0
		.amdhsa_exception_fp_ieee_div_zero 0
		.amdhsa_exception_fp_ieee_overflow 0
		.amdhsa_exception_fp_ieee_underflow 0
		.amdhsa_exception_fp_ieee_inexact 0
		.amdhsa_exception_int_div_zero 0
	.end_amdhsa_kernel
	.section	.text._ZN7rocprim17ROCPRIM_400000_NS6detail17trampoline_kernelINS0_14default_configENS1_35adjacent_difference_config_selectorILb0EiEEZNS1_24adjacent_difference_implIS3_Lb0ELb0EPKiPiN6thrust23THRUST_200600_302600_NS4plusIiEEEE10hipError_tPvRmT2_T3_mT4_P12ihipStream_tbEUlT_E_NS1_11comp_targetILNS1_3genE8ELNS1_11target_archE1030ELNS1_3gpuE2ELNS1_3repE0EEENS1_30default_config_static_selectorELNS0_4arch9wavefront6targetE1EEEvT1_,"axG",@progbits,_ZN7rocprim17ROCPRIM_400000_NS6detail17trampoline_kernelINS0_14default_configENS1_35adjacent_difference_config_selectorILb0EiEEZNS1_24adjacent_difference_implIS3_Lb0ELb0EPKiPiN6thrust23THRUST_200600_302600_NS4plusIiEEEE10hipError_tPvRmT2_T3_mT4_P12ihipStream_tbEUlT_E_NS1_11comp_targetILNS1_3genE8ELNS1_11target_archE1030ELNS1_3gpuE2ELNS1_3repE0EEENS1_30default_config_static_selectorELNS0_4arch9wavefront6targetE1EEEvT1_,comdat
.Lfunc_end573:
	.size	_ZN7rocprim17ROCPRIM_400000_NS6detail17trampoline_kernelINS0_14default_configENS1_35adjacent_difference_config_selectorILb0EiEEZNS1_24adjacent_difference_implIS3_Lb0ELb0EPKiPiN6thrust23THRUST_200600_302600_NS4plusIiEEEE10hipError_tPvRmT2_T3_mT4_P12ihipStream_tbEUlT_E_NS1_11comp_targetILNS1_3genE8ELNS1_11target_archE1030ELNS1_3gpuE2ELNS1_3repE0EEENS1_30default_config_static_selectorELNS0_4arch9wavefront6targetE1EEEvT1_, .Lfunc_end573-_ZN7rocprim17ROCPRIM_400000_NS6detail17trampoline_kernelINS0_14default_configENS1_35adjacent_difference_config_selectorILb0EiEEZNS1_24adjacent_difference_implIS3_Lb0ELb0EPKiPiN6thrust23THRUST_200600_302600_NS4plusIiEEEE10hipError_tPvRmT2_T3_mT4_P12ihipStream_tbEUlT_E_NS1_11comp_targetILNS1_3genE8ELNS1_11target_archE1030ELNS1_3gpuE2ELNS1_3repE0EEENS1_30default_config_static_selectorELNS0_4arch9wavefront6targetE1EEEvT1_
                                        ; -- End function
	.section	.AMDGPU.csdata,"",@progbits
; Kernel info:
; codeLenInByte = 0
; NumSgprs: 6
; NumVgprs: 0
; NumAgprs: 0
; TotalNumVgprs: 0
; ScratchSize: 0
; MemoryBound: 0
; FloatMode: 240
; IeeeMode: 1
; LDSByteSize: 0 bytes/workgroup (compile time only)
; SGPRBlocks: 0
; VGPRBlocks: 0
; NumSGPRsForWavesPerEU: 6
; NumVGPRsForWavesPerEU: 1
; AccumOffset: 4
; Occupancy: 8
; WaveLimiterHint : 0
; COMPUTE_PGM_RSRC2:SCRATCH_EN: 0
; COMPUTE_PGM_RSRC2:USER_SGPR: 2
; COMPUTE_PGM_RSRC2:TRAP_HANDLER: 0
; COMPUTE_PGM_RSRC2:TGID_X_EN: 1
; COMPUTE_PGM_RSRC2:TGID_Y_EN: 0
; COMPUTE_PGM_RSRC2:TGID_Z_EN: 0
; COMPUTE_PGM_RSRC2:TIDIG_COMP_CNT: 0
; COMPUTE_PGM_RSRC3_GFX90A:ACCUM_OFFSET: 0
; COMPUTE_PGM_RSRC3_GFX90A:TG_SPLIT: 0
	.section	.text._ZN7rocprim17ROCPRIM_400000_NS6detail17trampoline_kernelINS0_14default_configENS1_25transform_config_selectorIiLb0EEEZNS1_14transform_implILb0ES3_S5_NS0_18transform_iteratorINS0_17counting_iteratorImlEEZNS1_24adjacent_difference_implIS3_Lb1ELb0EPKiPiN6thrust23THRUST_200600_302600_NS4plusIiEEEE10hipError_tPvRmT2_T3_mT4_P12ihipStream_tbEUlmE_iEESD_NS0_8identityIvEEEESI_SL_SM_mSN_SP_bEUlT_E_NS1_11comp_targetILNS1_3genE0ELNS1_11target_archE4294967295ELNS1_3gpuE0ELNS1_3repE0EEENS1_30default_config_static_selectorELNS0_4arch9wavefront6targetE1EEEvT1_,"axG",@progbits,_ZN7rocprim17ROCPRIM_400000_NS6detail17trampoline_kernelINS0_14default_configENS1_25transform_config_selectorIiLb0EEEZNS1_14transform_implILb0ES3_S5_NS0_18transform_iteratorINS0_17counting_iteratorImlEEZNS1_24adjacent_difference_implIS3_Lb1ELb0EPKiPiN6thrust23THRUST_200600_302600_NS4plusIiEEEE10hipError_tPvRmT2_T3_mT4_P12ihipStream_tbEUlmE_iEESD_NS0_8identityIvEEEESI_SL_SM_mSN_SP_bEUlT_E_NS1_11comp_targetILNS1_3genE0ELNS1_11target_archE4294967295ELNS1_3gpuE0ELNS1_3repE0EEENS1_30default_config_static_selectorELNS0_4arch9wavefront6targetE1EEEvT1_,comdat
	.protected	_ZN7rocprim17ROCPRIM_400000_NS6detail17trampoline_kernelINS0_14default_configENS1_25transform_config_selectorIiLb0EEEZNS1_14transform_implILb0ES3_S5_NS0_18transform_iteratorINS0_17counting_iteratorImlEEZNS1_24adjacent_difference_implIS3_Lb1ELb0EPKiPiN6thrust23THRUST_200600_302600_NS4plusIiEEEE10hipError_tPvRmT2_T3_mT4_P12ihipStream_tbEUlmE_iEESD_NS0_8identityIvEEEESI_SL_SM_mSN_SP_bEUlT_E_NS1_11comp_targetILNS1_3genE0ELNS1_11target_archE4294967295ELNS1_3gpuE0ELNS1_3repE0EEENS1_30default_config_static_selectorELNS0_4arch9wavefront6targetE1EEEvT1_ ; -- Begin function _ZN7rocprim17ROCPRIM_400000_NS6detail17trampoline_kernelINS0_14default_configENS1_25transform_config_selectorIiLb0EEEZNS1_14transform_implILb0ES3_S5_NS0_18transform_iteratorINS0_17counting_iteratorImlEEZNS1_24adjacent_difference_implIS3_Lb1ELb0EPKiPiN6thrust23THRUST_200600_302600_NS4plusIiEEEE10hipError_tPvRmT2_T3_mT4_P12ihipStream_tbEUlmE_iEESD_NS0_8identityIvEEEESI_SL_SM_mSN_SP_bEUlT_E_NS1_11comp_targetILNS1_3genE0ELNS1_11target_archE4294967295ELNS1_3gpuE0ELNS1_3repE0EEENS1_30default_config_static_selectorELNS0_4arch9wavefront6targetE1EEEvT1_
	.globl	_ZN7rocprim17ROCPRIM_400000_NS6detail17trampoline_kernelINS0_14default_configENS1_25transform_config_selectorIiLb0EEEZNS1_14transform_implILb0ES3_S5_NS0_18transform_iteratorINS0_17counting_iteratorImlEEZNS1_24adjacent_difference_implIS3_Lb1ELb0EPKiPiN6thrust23THRUST_200600_302600_NS4plusIiEEEE10hipError_tPvRmT2_T3_mT4_P12ihipStream_tbEUlmE_iEESD_NS0_8identityIvEEEESI_SL_SM_mSN_SP_bEUlT_E_NS1_11comp_targetILNS1_3genE0ELNS1_11target_archE4294967295ELNS1_3gpuE0ELNS1_3repE0EEENS1_30default_config_static_selectorELNS0_4arch9wavefront6targetE1EEEvT1_
	.p2align	8
	.type	_ZN7rocprim17ROCPRIM_400000_NS6detail17trampoline_kernelINS0_14default_configENS1_25transform_config_selectorIiLb0EEEZNS1_14transform_implILb0ES3_S5_NS0_18transform_iteratorINS0_17counting_iteratorImlEEZNS1_24adjacent_difference_implIS3_Lb1ELb0EPKiPiN6thrust23THRUST_200600_302600_NS4plusIiEEEE10hipError_tPvRmT2_T3_mT4_P12ihipStream_tbEUlmE_iEESD_NS0_8identityIvEEEESI_SL_SM_mSN_SP_bEUlT_E_NS1_11comp_targetILNS1_3genE0ELNS1_11target_archE4294967295ELNS1_3gpuE0ELNS1_3repE0EEENS1_30default_config_static_selectorELNS0_4arch9wavefront6targetE1EEEvT1_,@function
_ZN7rocprim17ROCPRIM_400000_NS6detail17trampoline_kernelINS0_14default_configENS1_25transform_config_selectorIiLb0EEEZNS1_14transform_implILb0ES3_S5_NS0_18transform_iteratorINS0_17counting_iteratorImlEEZNS1_24adjacent_difference_implIS3_Lb1ELb0EPKiPiN6thrust23THRUST_200600_302600_NS4plusIiEEEE10hipError_tPvRmT2_T3_mT4_P12ihipStream_tbEUlmE_iEESD_NS0_8identityIvEEEESI_SL_SM_mSN_SP_bEUlT_E_NS1_11comp_targetILNS1_3genE0ELNS1_11target_archE4294967295ELNS1_3gpuE0ELNS1_3repE0EEENS1_30default_config_static_selectorELNS0_4arch9wavefront6targetE1EEEvT1_: ; @_ZN7rocprim17ROCPRIM_400000_NS6detail17trampoline_kernelINS0_14default_configENS1_25transform_config_selectorIiLb0EEEZNS1_14transform_implILb0ES3_S5_NS0_18transform_iteratorINS0_17counting_iteratorImlEEZNS1_24adjacent_difference_implIS3_Lb1ELb0EPKiPiN6thrust23THRUST_200600_302600_NS4plusIiEEEE10hipError_tPvRmT2_T3_mT4_P12ihipStream_tbEUlmE_iEESD_NS0_8identityIvEEEESI_SL_SM_mSN_SP_bEUlT_E_NS1_11comp_targetILNS1_3genE0ELNS1_11target_archE4294967295ELNS1_3gpuE0ELNS1_3repE0EEENS1_30default_config_static_selectorELNS0_4arch9wavefront6targetE1EEEvT1_
; %bb.0:
	.section	.rodata,"a",@progbits
	.p2align	6, 0x0
	.amdhsa_kernel _ZN7rocprim17ROCPRIM_400000_NS6detail17trampoline_kernelINS0_14default_configENS1_25transform_config_selectorIiLb0EEEZNS1_14transform_implILb0ES3_S5_NS0_18transform_iteratorINS0_17counting_iteratorImlEEZNS1_24adjacent_difference_implIS3_Lb1ELb0EPKiPiN6thrust23THRUST_200600_302600_NS4plusIiEEEE10hipError_tPvRmT2_T3_mT4_P12ihipStream_tbEUlmE_iEESD_NS0_8identityIvEEEESI_SL_SM_mSN_SP_bEUlT_E_NS1_11comp_targetILNS1_3genE0ELNS1_11target_archE4294967295ELNS1_3gpuE0ELNS1_3repE0EEENS1_30default_config_static_selectorELNS0_4arch9wavefront6targetE1EEEvT1_
		.amdhsa_group_segment_fixed_size 0
		.amdhsa_private_segment_fixed_size 0
		.amdhsa_kernarg_size 56
		.amdhsa_user_sgpr_count 2
		.amdhsa_user_sgpr_dispatch_ptr 0
		.amdhsa_user_sgpr_queue_ptr 0
		.amdhsa_user_sgpr_kernarg_segment_ptr 1
		.amdhsa_user_sgpr_dispatch_id 0
		.amdhsa_user_sgpr_kernarg_preload_length 0
		.amdhsa_user_sgpr_kernarg_preload_offset 0
		.amdhsa_user_sgpr_private_segment_size 0
		.amdhsa_uses_dynamic_stack 0
		.amdhsa_enable_private_segment 0
		.amdhsa_system_sgpr_workgroup_id_x 1
		.amdhsa_system_sgpr_workgroup_id_y 0
		.amdhsa_system_sgpr_workgroup_id_z 0
		.amdhsa_system_sgpr_workgroup_info 0
		.amdhsa_system_vgpr_workitem_id 0
		.amdhsa_next_free_vgpr 1
		.amdhsa_next_free_sgpr 0
		.amdhsa_accum_offset 4
		.amdhsa_reserve_vcc 0
		.amdhsa_float_round_mode_32 0
		.amdhsa_float_round_mode_16_64 0
		.amdhsa_float_denorm_mode_32 3
		.amdhsa_float_denorm_mode_16_64 3
		.amdhsa_dx10_clamp 1
		.amdhsa_ieee_mode 1
		.amdhsa_fp16_overflow 0
		.amdhsa_tg_split 0
		.amdhsa_exception_fp_ieee_invalid_op 0
		.amdhsa_exception_fp_denorm_src 0
		.amdhsa_exception_fp_ieee_div_zero 0
		.amdhsa_exception_fp_ieee_overflow 0
		.amdhsa_exception_fp_ieee_underflow 0
		.amdhsa_exception_fp_ieee_inexact 0
		.amdhsa_exception_int_div_zero 0
	.end_amdhsa_kernel
	.section	.text._ZN7rocprim17ROCPRIM_400000_NS6detail17trampoline_kernelINS0_14default_configENS1_25transform_config_selectorIiLb0EEEZNS1_14transform_implILb0ES3_S5_NS0_18transform_iteratorINS0_17counting_iteratorImlEEZNS1_24adjacent_difference_implIS3_Lb1ELb0EPKiPiN6thrust23THRUST_200600_302600_NS4plusIiEEEE10hipError_tPvRmT2_T3_mT4_P12ihipStream_tbEUlmE_iEESD_NS0_8identityIvEEEESI_SL_SM_mSN_SP_bEUlT_E_NS1_11comp_targetILNS1_3genE0ELNS1_11target_archE4294967295ELNS1_3gpuE0ELNS1_3repE0EEENS1_30default_config_static_selectorELNS0_4arch9wavefront6targetE1EEEvT1_,"axG",@progbits,_ZN7rocprim17ROCPRIM_400000_NS6detail17trampoline_kernelINS0_14default_configENS1_25transform_config_selectorIiLb0EEEZNS1_14transform_implILb0ES3_S5_NS0_18transform_iteratorINS0_17counting_iteratorImlEEZNS1_24adjacent_difference_implIS3_Lb1ELb0EPKiPiN6thrust23THRUST_200600_302600_NS4plusIiEEEE10hipError_tPvRmT2_T3_mT4_P12ihipStream_tbEUlmE_iEESD_NS0_8identityIvEEEESI_SL_SM_mSN_SP_bEUlT_E_NS1_11comp_targetILNS1_3genE0ELNS1_11target_archE4294967295ELNS1_3gpuE0ELNS1_3repE0EEENS1_30default_config_static_selectorELNS0_4arch9wavefront6targetE1EEEvT1_,comdat
.Lfunc_end574:
	.size	_ZN7rocprim17ROCPRIM_400000_NS6detail17trampoline_kernelINS0_14default_configENS1_25transform_config_selectorIiLb0EEEZNS1_14transform_implILb0ES3_S5_NS0_18transform_iteratorINS0_17counting_iteratorImlEEZNS1_24adjacent_difference_implIS3_Lb1ELb0EPKiPiN6thrust23THRUST_200600_302600_NS4plusIiEEEE10hipError_tPvRmT2_T3_mT4_P12ihipStream_tbEUlmE_iEESD_NS0_8identityIvEEEESI_SL_SM_mSN_SP_bEUlT_E_NS1_11comp_targetILNS1_3genE0ELNS1_11target_archE4294967295ELNS1_3gpuE0ELNS1_3repE0EEENS1_30default_config_static_selectorELNS0_4arch9wavefront6targetE1EEEvT1_, .Lfunc_end574-_ZN7rocprim17ROCPRIM_400000_NS6detail17trampoline_kernelINS0_14default_configENS1_25transform_config_selectorIiLb0EEEZNS1_14transform_implILb0ES3_S5_NS0_18transform_iteratorINS0_17counting_iteratorImlEEZNS1_24adjacent_difference_implIS3_Lb1ELb0EPKiPiN6thrust23THRUST_200600_302600_NS4plusIiEEEE10hipError_tPvRmT2_T3_mT4_P12ihipStream_tbEUlmE_iEESD_NS0_8identityIvEEEESI_SL_SM_mSN_SP_bEUlT_E_NS1_11comp_targetILNS1_3genE0ELNS1_11target_archE4294967295ELNS1_3gpuE0ELNS1_3repE0EEENS1_30default_config_static_selectorELNS0_4arch9wavefront6targetE1EEEvT1_
                                        ; -- End function
	.section	.AMDGPU.csdata,"",@progbits
; Kernel info:
; codeLenInByte = 0
; NumSgprs: 6
; NumVgprs: 0
; NumAgprs: 0
; TotalNumVgprs: 0
; ScratchSize: 0
; MemoryBound: 0
; FloatMode: 240
; IeeeMode: 1
; LDSByteSize: 0 bytes/workgroup (compile time only)
; SGPRBlocks: 0
; VGPRBlocks: 0
; NumSGPRsForWavesPerEU: 6
; NumVGPRsForWavesPerEU: 1
; AccumOffset: 4
; Occupancy: 8
; WaveLimiterHint : 0
; COMPUTE_PGM_RSRC2:SCRATCH_EN: 0
; COMPUTE_PGM_RSRC2:USER_SGPR: 2
; COMPUTE_PGM_RSRC2:TRAP_HANDLER: 0
; COMPUTE_PGM_RSRC2:TGID_X_EN: 1
; COMPUTE_PGM_RSRC2:TGID_Y_EN: 0
; COMPUTE_PGM_RSRC2:TGID_Z_EN: 0
; COMPUTE_PGM_RSRC2:TIDIG_COMP_CNT: 0
; COMPUTE_PGM_RSRC3_GFX90A:ACCUM_OFFSET: 0
; COMPUTE_PGM_RSRC3_GFX90A:TG_SPLIT: 0
	.section	.text._ZN7rocprim17ROCPRIM_400000_NS6detail17trampoline_kernelINS0_14default_configENS1_25transform_config_selectorIiLb0EEEZNS1_14transform_implILb0ES3_S5_NS0_18transform_iteratorINS0_17counting_iteratorImlEEZNS1_24adjacent_difference_implIS3_Lb1ELb0EPKiPiN6thrust23THRUST_200600_302600_NS4plusIiEEEE10hipError_tPvRmT2_T3_mT4_P12ihipStream_tbEUlmE_iEESD_NS0_8identityIvEEEESI_SL_SM_mSN_SP_bEUlT_E_NS1_11comp_targetILNS1_3genE5ELNS1_11target_archE942ELNS1_3gpuE9ELNS1_3repE0EEENS1_30default_config_static_selectorELNS0_4arch9wavefront6targetE1EEEvT1_,"axG",@progbits,_ZN7rocprim17ROCPRIM_400000_NS6detail17trampoline_kernelINS0_14default_configENS1_25transform_config_selectorIiLb0EEEZNS1_14transform_implILb0ES3_S5_NS0_18transform_iteratorINS0_17counting_iteratorImlEEZNS1_24adjacent_difference_implIS3_Lb1ELb0EPKiPiN6thrust23THRUST_200600_302600_NS4plusIiEEEE10hipError_tPvRmT2_T3_mT4_P12ihipStream_tbEUlmE_iEESD_NS0_8identityIvEEEESI_SL_SM_mSN_SP_bEUlT_E_NS1_11comp_targetILNS1_3genE5ELNS1_11target_archE942ELNS1_3gpuE9ELNS1_3repE0EEENS1_30default_config_static_selectorELNS0_4arch9wavefront6targetE1EEEvT1_,comdat
	.protected	_ZN7rocprim17ROCPRIM_400000_NS6detail17trampoline_kernelINS0_14default_configENS1_25transform_config_selectorIiLb0EEEZNS1_14transform_implILb0ES3_S5_NS0_18transform_iteratorINS0_17counting_iteratorImlEEZNS1_24adjacent_difference_implIS3_Lb1ELb0EPKiPiN6thrust23THRUST_200600_302600_NS4plusIiEEEE10hipError_tPvRmT2_T3_mT4_P12ihipStream_tbEUlmE_iEESD_NS0_8identityIvEEEESI_SL_SM_mSN_SP_bEUlT_E_NS1_11comp_targetILNS1_3genE5ELNS1_11target_archE942ELNS1_3gpuE9ELNS1_3repE0EEENS1_30default_config_static_selectorELNS0_4arch9wavefront6targetE1EEEvT1_ ; -- Begin function _ZN7rocprim17ROCPRIM_400000_NS6detail17trampoline_kernelINS0_14default_configENS1_25transform_config_selectorIiLb0EEEZNS1_14transform_implILb0ES3_S5_NS0_18transform_iteratorINS0_17counting_iteratorImlEEZNS1_24adjacent_difference_implIS3_Lb1ELb0EPKiPiN6thrust23THRUST_200600_302600_NS4plusIiEEEE10hipError_tPvRmT2_T3_mT4_P12ihipStream_tbEUlmE_iEESD_NS0_8identityIvEEEESI_SL_SM_mSN_SP_bEUlT_E_NS1_11comp_targetILNS1_3genE5ELNS1_11target_archE942ELNS1_3gpuE9ELNS1_3repE0EEENS1_30default_config_static_selectorELNS0_4arch9wavefront6targetE1EEEvT1_
	.globl	_ZN7rocprim17ROCPRIM_400000_NS6detail17trampoline_kernelINS0_14default_configENS1_25transform_config_selectorIiLb0EEEZNS1_14transform_implILb0ES3_S5_NS0_18transform_iteratorINS0_17counting_iteratorImlEEZNS1_24adjacent_difference_implIS3_Lb1ELb0EPKiPiN6thrust23THRUST_200600_302600_NS4plusIiEEEE10hipError_tPvRmT2_T3_mT4_P12ihipStream_tbEUlmE_iEESD_NS0_8identityIvEEEESI_SL_SM_mSN_SP_bEUlT_E_NS1_11comp_targetILNS1_3genE5ELNS1_11target_archE942ELNS1_3gpuE9ELNS1_3repE0EEENS1_30default_config_static_selectorELNS0_4arch9wavefront6targetE1EEEvT1_
	.p2align	8
	.type	_ZN7rocprim17ROCPRIM_400000_NS6detail17trampoline_kernelINS0_14default_configENS1_25transform_config_selectorIiLb0EEEZNS1_14transform_implILb0ES3_S5_NS0_18transform_iteratorINS0_17counting_iteratorImlEEZNS1_24adjacent_difference_implIS3_Lb1ELb0EPKiPiN6thrust23THRUST_200600_302600_NS4plusIiEEEE10hipError_tPvRmT2_T3_mT4_P12ihipStream_tbEUlmE_iEESD_NS0_8identityIvEEEESI_SL_SM_mSN_SP_bEUlT_E_NS1_11comp_targetILNS1_3genE5ELNS1_11target_archE942ELNS1_3gpuE9ELNS1_3repE0EEENS1_30default_config_static_selectorELNS0_4arch9wavefront6targetE1EEEvT1_,@function
_ZN7rocprim17ROCPRIM_400000_NS6detail17trampoline_kernelINS0_14default_configENS1_25transform_config_selectorIiLb0EEEZNS1_14transform_implILb0ES3_S5_NS0_18transform_iteratorINS0_17counting_iteratorImlEEZNS1_24adjacent_difference_implIS3_Lb1ELb0EPKiPiN6thrust23THRUST_200600_302600_NS4plusIiEEEE10hipError_tPvRmT2_T3_mT4_P12ihipStream_tbEUlmE_iEESD_NS0_8identityIvEEEESI_SL_SM_mSN_SP_bEUlT_E_NS1_11comp_targetILNS1_3genE5ELNS1_11target_archE942ELNS1_3gpuE9ELNS1_3repE0EEENS1_30default_config_static_selectorELNS0_4arch9wavefront6targetE1EEEvT1_: ; @_ZN7rocprim17ROCPRIM_400000_NS6detail17trampoline_kernelINS0_14default_configENS1_25transform_config_selectorIiLb0EEEZNS1_14transform_implILb0ES3_S5_NS0_18transform_iteratorINS0_17counting_iteratorImlEEZNS1_24adjacent_difference_implIS3_Lb1ELb0EPKiPiN6thrust23THRUST_200600_302600_NS4plusIiEEEE10hipError_tPvRmT2_T3_mT4_P12ihipStream_tbEUlmE_iEESD_NS0_8identityIvEEEESI_SL_SM_mSN_SP_bEUlT_E_NS1_11comp_targetILNS1_3genE5ELNS1_11target_archE942ELNS1_3gpuE9ELNS1_3repE0EEENS1_30default_config_static_selectorELNS0_4arch9wavefront6targetE1EEEvT1_
; %bb.0:
	s_load_dwordx4 s[8:11], s[0:1], 0x18
	s_load_dwordx2 s[14:15], s[0:1], 0x28
	s_load_dwordx4 s[4:7], s[0:1], 0x0
	s_load_dword s12, s[0:1], 0x10
	s_load_dword s3, s[0:1], 0x38
	s_waitcnt lgkmcnt(0)
	s_lshl_b64 s[0:1], s[8:9], 2
	s_add_u32 s18, s14, s0
	s_addc_u32 s19, s15, s1
	s_lshl_b32 s14, s2, 11
	s_add_i32 s3, s3, -1
	s_add_u32 s0, s4, s14
	s_addc_u32 s1, s5, 0
	s_add_u32 s16, s0, s8
	s_addc_u32 s17, s1, s9
	s_mov_b32 s15, 0
	s_cmp_lg_u32 s2, s3
	v_lshlrev_b32_e32 v6, 2, v0
	s_cbranch_scc0 .LBB575_2
; %bb.1:
	v_mov_b32_e32 v1, 0
	v_lshl_add_u64 v[2:3], s[16:17], 0, v[0:1]
	v_mad_u64_u32 v[4:5], s[0:1], v2, s12, 0
	v_mov_b32_e32 v2, v5
	v_mad_u64_u32 v[2:3], s[0:1], v3, s12, v[2:3]
	s_mov_b32 s13, s15
	v_mov_b32_e32 v5, v2
	v_lshl_add_u64 v[2:3], v[4:5], 2, s[6:7]
	s_lshl_b64 s[0:1], s[12:13], 11
	v_lshl_add_u64 v[4:5], v[2:3], 0, s[0:1]
	v_lshl_add_u64 v[8:9], v[4:5], 0, s[0:1]
	global_load_dword v10, v[2:3], off
	global_load_dword v11, v[4:5], off
	global_load_dword v12, v[8:9], off
	v_lshl_add_u64 v[2:3], v[8:9], 0, s[0:1]
	global_load_dword v2, v[2:3], off
	s_lshl_b64 s[2:3], s[14:15], 2
	s_add_u32 s2, s18, s2
	v_mov_b32_e32 v7, v1
	s_addc_u32 s3, s19, s3
	v_lshl_add_u64 v[8:9], s[2:3], 0, v[6:7]
	v_add_co_u32_e32 v4, vcc, 0x1000, v8
	s_nop 1
	v_addc_co_u32_e32 v5, vcc, 0, v9, vcc
	s_mov_b64 s[8:9], -1
	s_waitcnt vmcnt(3)
	global_store_dword v6, v10, s[2:3]
	s_waitcnt vmcnt(3)
	global_store_dword v6, v11, s[2:3] offset:2048
	s_waitcnt vmcnt(3)
	global_store_dword v[4:5], v12, off
	s_cbranch_execz .LBB575_3
	s_branch .LBB575_17
.LBB575_2:
	s_mov_b64 s[8:9], 0
                                        ; implicit-def: $vgpr2
                                        ; implicit-def: $vgpr8_vgpr9
.LBB575_3:
	s_sub_i32 s10, s10, s14
	v_cmp_gt_u32_e32 vcc, s10, v0
                                        ; implicit-def: $vgpr2_vgpr3_vgpr4_vgpr5
	s_and_saveexec_b64 s[0:1], vcc
	s_cbranch_execz .LBB575_5
; %bb.4:
	v_mov_b32_e32 v1, 0
	s_waitcnt vmcnt(3)
	v_lshl_add_u64 v[2:3], s[16:17], 0, v[0:1]
	v_mad_u64_u32 v[4:5], s[2:3], v2, s12, 0
	v_mov_b32_e32 v2, v5
	v_mad_u64_u32 v[2:3], s[2:3], v3, s12, v[2:3]
	v_mov_b32_e32 v5, v2
	v_lshl_add_u64 v[2:3], v[4:5], 2, s[6:7]
	global_load_dword v2, v[2:3], off
.LBB575_5:
	s_or_b64 exec, exec, s[0:1]
	v_or_b32_e32 v8, 0x200, v0
	v_cmp_gt_u32_e64 s[0:1], s10, v8
	s_and_saveexec_b64 s[2:3], s[0:1]
	s_cbranch_execz .LBB575_7
; %bb.6:
	v_mov_b32_e32 v9, 0
	v_lshl_add_u64 v[8:9], s[16:17], 0, v[8:9]
	v_mad_u64_u32 v[10:11], s[4:5], v8, s12, 0
	v_mov_b32_e32 v8, v11
	v_mad_u64_u32 v[8:9], s[4:5], v9, s12, v[8:9]
	v_mov_b32_e32 v11, v8
	v_lshl_add_u64 v[8:9], v[10:11], 2, s[6:7]
	global_load_dword v3, v[8:9], off
.LBB575_7:
	s_or_b64 exec, exec, s[2:3]
	v_or_b32_e32 v8, 0x400, v0
	v_cmp_gt_u32_e64 s[2:3], s10, v8
	s_and_saveexec_b64 s[4:5], s[2:3]
	s_cbranch_execz .LBB575_9
; %bb.8:
	v_mov_b32_e32 v9, 0
	v_lshl_add_u64 v[8:9], s[16:17], 0, v[8:9]
	v_mad_u64_u32 v[10:11], s[20:21], v8, s12, 0
	v_mov_b32_e32 v4, v11
	v_mad_u64_u32 v[8:9], s[20:21], v9, s12, v[4:5]
	v_mov_b32_e32 v11, v8
	v_lshl_add_u64 v[8:9], v[10:11], 2, s[6:7]
	global_load_dword v4, v[8:9], off
.LBB575_9:
	;; [unrolled: 15-line block ×3, first 2 shown]
	s_or_b64 exec, exec, s[10:11]
	s_lshl_b64 s[6:7], s[14:15], 2
	s_add_u32 s6, s18, s6
	s_addc_u32 s7, s19, s7
	v_mov_b32_e32 v7, 0
	v_lshl_add_u64 v[8:9], s[6:7], 0, v[6:7]
	s_and_saveexec_b64 s[6:7], vcc
	s_cbranch_execnz .LBB575_20
; %bb.12:
	s_or_b64 exec, exec, s[6:7]
	s_and_saveexec_b64 s[6:7], s[0:1]
	s_cbranch_execnz .LBB575_21
.LBB575_13:
	s_or_b64 exec, exec, s[6:7]
	s_and_saveexec_b64 s[0:1], s[2:3]
	s_cbranch_execnz .LBB575_22
.LBB575_14:
	s_or_b64 exec, exec, s[0:1]
                                        ; implicit-def: $vgpr2
	s_and_saveexec_b64 s[0:1], s[4:5]
	s_cbranch_execz .LBB575_16
.LBB575_15:
	s_waitcnt vmcnt(0)
	v_cndmask_b32_e64 v2, v5, v5, s[4:5]
	s_or_b64 s[8:9], s[8:9], exec
.LBB575_16:
	s_or_b64 exec, exec, s[0:1]
.LBB575_17:
	s_and_saveexec_b64 s[0:1], s[8:9]
	s_cbranch_execnz .LBB575_19
; %bb.18:
	s_endpgm
.LBB575_19:
	v_add_co_u32_e32 v0, vcc, 0x1000, v8
	s_nop 1
	v_addc_co_u32_e32 v1, vcc, 0, v9, vcc
	s_waitcnt vmcnt(0)
	global_store_dword v[0:1], v2, off offset:2048
	s_endpgm
.LBB575_20:
	s_waitcnt vmcnt(0)
	global_store_dword v[8:9], v2, off
	s_or_b64 exec, exec, s[6:7]
	s_and_saveexec_b64 s[6:7], s[0:1]
	s_cbranch_execz .LBB575_13
.LBB575_21:
	s_waitcnt vmcnt(0)
	global_store_dword v[8:9], v3, off offset:2048
	s_or_b64 exec, exec, s[6:7]
	s_and_saveexec_b64 s[0:1], s[2:3]
	s_cbranch_execz .LBB575_14
.LBB575_22:
	v_add_co_u32_e32 v0, vcc, 0x1000, v8
	s_waitcnt vmcnt(0)
	v_cndmask_b32_e64 v2, v4, v4, s[2:3]
	v_addc_co_u32_e32 v1, vcc, 0, v9, vcc
	global_store_dword v[0:1], v2, off
	s_or_b64 exec, exec, s[0:1]
                                        ; implicit-def: $vgpr2
	s_and_saveexec_b64 s[0:1], s[4:5]
	s_cbranch_execnz .LBB575_15
	s_branch .LBB575_16
	.section	.rodata,"a",@progbits
	.p2align	6, 0x0
	.amdhsa_kernel _ZN7rocprim17ROCPRIM_400000_NS6detail17trampoline_kernelINS0_14default_configENS1_25transform_config_selectorIiLb0EEEZNS1_14transform_implILb0ES3_S5_NS0_18transform_iteratorINS0_17counting_iteratorImlEEZNS1_24adjacent_difference_implIS3_Lb1ELb0EPKiPiN6thrust23THRUST_200600_302600_NS4plusIiEEEE10hipError_tPvRmT2_T3_mT4_P12ihipStream_tbEUlmE_iEESD_NS0_8identityIvEEEESI_SL_SM_mSN_SP_bEUlT_E_NS1_11comp_targetILNS1_3genE5ELNS1_11target_archE942ELNS1_3gpuE9ELNS1_3repE0EEENS1_30default_config_static_selectorELNS0_4arch9wavefront6targetE1EEEvT1_
		.amdhsa_group_segment_fixed_size 0
		.amdhsa_private_segment_fixed_size 0
		.amdhsa_kernarg_size 312
		.amdhsa_user_sgpr_count 2
		.amdhsa_user_sgpr_dispatch_ptr 0
		.amdhsa_user_sgpr_queue_ptr 0
		.amdhsa_user_sgpr_kernarg_segment_ptr 1
		.amdhsa_user_sgpr_dispatch_id 0
		.amdhsa_user_sgpr_kernarg_preload_length 0
		.amdhsa_user_sgpr_kernarg_preload_offset 0
		.amdhsa_user_sgpr_private_segment_size 0
		.amdhsa_uses_dynamic_stack 0
		.amdhsa_enable_private_segment 0
		.amdhsa_system_sgpr_workgroup_id_x 1
		.amdhsa_system_sgpr_workgroup_id_y 0
		.amdhsa_system_sgpr_workgroup_id_z 0
		.amdhsa_system_sgpr_workgroup_info 0
		.amdhsa_system_vgpr_workitem_id 0
		.amdhsa_next_free_vgpr 13
		.amdhsa_next_free_sgpr 22
		.amdhsa_accum_offset 16
		.amdhsa_reserve_vcc 1
		.amdhsa_float_round_mode_32 0
		.amdhsa_float_round_mode_16_64 0
		.amdhsa_float_denorm_mode_32 3
		.amdhsa_float_denorm_mode_16_64 3
		.amdhsa_dx10_clamp 1
		.amdhsa_ieee_mode 1
		.amdhsa_fp16_overflow 0
		.amdhsa_tg_split 0
		.amdhsa_exception_fp_ieee_invalid_op 0
		.amdhsa_exception_fp_denorm_src 0
		.amdhsa_exception_fp_ieee_div_zero 0
		.amdhsa_exception_fp_ieee_overflow 0
		.amdhsa_exception_fp_ieee_underflow 0
		.amdhsa_exception_fp_ieee_inexact 0
		.amdhsa_exception_int_div_zero 0
	.end_amdhsa_kernel
	.section	.text._ZN7rocprim17ROCPRIM_400000_NS6detail17trampoline_kernelINS0_14default_configENS1_25transform_config_selectorIiLb0EEEZNS1_14transform_implILb0ES3_S5_NS0_18transform_iteratorINS0_17counting_iteratorImlEEZNS1_24adjacent_difference_implIS3_Lb1ELb0EPKiPiN6thrust23THRUST_200600_302600_NS4plusIiEEEE10hipError_tPvRmT2_T3_mT4_P12ihipStream_tbEUlmE_iEESD_NS0_8identityIvEEEESI_SL_SM_mSN_SP_bEUlT_E_NS1_11comp_targetILNS1_3genE5ELNS1_11target_archE942ELNS1_3gpuE9ELNS1_3repE0EEENS1_30default_config_static_selectorELNS0_4arch9wavefront6targetE1EEEvT1_,"axG",@progbits,_ZN7rocprim17ROCPRIM_400000_NS6detail17trampoline_kernelINS0_14default_configENS1_25transform_config_selectorIiLb0EEEZNS1_14transform_implILb0ES3_S5_NS0_18transform_iteratorINS0_17counting_iteratorImlEEZNS1_24adjacent_difference_implIS3_Lb1ELb0EPKiPiN6thrust23THRUST_200600_302600_NS4plusIiEEEE10hipError_tPvRmT2_T3_mT4_P12ihipStream_tbEUlmE_iEESD_NS0_8identityIvEEEESI_SL_SM_mSN_SP_bEUlT_E_NS1_11comp_targetILNS1_3genE5ELNS1_11target_archE942ELNS1_3gpuE9ELNS1_3repE0EEENS1_30default_config_static_selectorELNS0_4arch9wavefront6targetE1EEEvT1_,comdat
.Lfunc_end575:
	.size	_ZN7rocprim17ROCPRIM_400000_NS6detail17trampoline_kernelINS0_14default_configENS1_25transform_config_selectorIiLb0EEEZNS1_14transform_implILb0ES3_S5_NS0_18transform_iteratorINS0_17counting_iteratorImlEEZNS1_24adjacent_difference_implIS3_Lb1ELb0EPKiPiN6thrust23THRUST_200600_302600_NS4plusIiEEEE10hipError_tPvRmT2_T3_mT4_P12ihipStream_tbEUlmE_iEESD_NS0_8identityIvEEEESI_SL_SM_mSN_SP_bEUlT_E_NS1_11comp_targetILNS1_3genE5ELNS1_11target_archE942ELNS1_3gpuE9ELNS1_3repE0EEENS1_30default_config_static_selectorELNS0_4arch9wavefront6targetE1EEEvT1_, .Lfunc_end575-_ZN7rocprim17ROCPRIM_400000_NS6detail17trampoline_kernelINS0_14default_configENS1_25transform_config_selectorIiLb0EEEZNS1_14transform_implILb0ES3_S5_NS0_18transform_iteratorINS0_17counting_iteratorImlEEZNS1_24adjacent_difference_implIS3_Lb1ELb0EPKiPiN6thrust23THRUST_200600_302600_NS4plusIiEEEE10hipError_tPvRmT2_T3_mT4_P12ihipStream_tbEUlmE_iEESD_NS0_8identityIvEEEESI_SL_SM_mSN_SP_bEUlT_E_NS1_11comp_targetILNS1_3genE5ELNS1_11target_archE942ELNS1_3gpuE9ELNS1_3repE0EEENS1_30default_config_static_selectorELNS0_4arch9wavefront6targetE1EEEvT1_
                                        ; -- End function
	.section	.AMDGPU.csdata,"",@progbits
; Kernel info:
; codeLenInByte = 840
; NumSgprs: 28
; NumVgprs: 13
; NumAgprs: 0
; TotalNumVgprs: 13
; ScratchSize: 0
; MemoryBound: 0
; FloatMode: 240
; IeeeMode: 1
; LDSByteSize: 0 bytes/workgroup (compile time only)
; SGPRBlocks: 3
; VGPRBlocks: 1
; NumSGPRsForWavesPerEU: 28
; NumVGPRsForWavesPerEU: 13
; AccumOffset: 16
; Occupancy: 8
; WaveLimiterHint : 1
; COMPUTE_PGM_RSRC2:SCRATCH_EN: 0
; COMPUTE_PGM_RSRC2:USER_SGPR: 2
; COMPUTE_PGM_RSRC2:TRAP_HANDLER: 0
; COMPUTE_PGM_RSRC2:TGID_X_EN: 1
; COMPUTE_PGM_RSRC2:TGID_Y_EN: 0
; COMPUTE_PGM_RSRC2:TGID_Z_EN: 0
; COMPUTE_PGM_RSRC2:TIDIG_COMP_CNT: 0
; COMPUTE_PGM_RSRC3_GFX90A:ACCUM_OFFSET: 3
; COMPUTE_PGM_RSRC3_GFX90A:TG_SPLIT: 0
	.section	.text._ZN7rocprim17ROCPRIM_400000_NS6detail17trampoline_kernelINS0_14default_configENS1_25transform_config_selectorIiLb0EEEZNS1_14transform_implILb0ES3_S5_NS0_18transform_iteratorINS0_17counting_iteratorImlEEZNS1_24adjacent_difference_implIS3_Lb1ELb0EPKiPiN6thrust23THRUST_200600_302600_NS4plusIiEEEE10hipError_tPvRmT2_T3_mT4_P12ihipStream_tbEUlmE_iEESD_NS0_8identityIvEEEESI_SL_SM_mSN_SP_bEUlT_E_NS1_11comp_targetILNS1_3genE4ELNS1_11target_archE910ELNS1_3gpuE8ELNS1_3repE0EEENS1_30default_config_static_selectorELNS0_4arch9wavefront6targetE1EEEvT1_,"axG",@progbits,_ZN7rocprim17ROCPRIM_400000_NS6detail17trampoline_kernelINS0_14default_configENS1_25transform_config_selectorIiLb0EEEZNS1_14transform_implILb0ES3_S5_NS0_18transform_iteratorINS0_17counting_iteratorImlEEZNS1_24adjacent_difference_implIS3_Lb1ELb0EPKiPiN6thrust23THRUST_200600_302600_NS4plusIiEEEE10hipError_tPvRmT2_T3_mT4_P12ihipStream_tbEUlmE_iEESD_NS0_8identityIvEEEESI_SL_SM_mSN_SP_bEUlT_E_NS1_11comp_targetILNS1_3genE4ELNS1_11target_archE910ELNS1_3gpuE8ELNS1_3repE0EEENS1_30default_config_static_selectorELNS0_4arch9wavefront6targetE1EEEvT1_,comdat
	.protected	_ZN7rocprim17ROCPRIM_400000_NS6detail17trampoline_kernelINS0_14default_configENS1_25transform_config_selectorIiLb0EEEZNS1_14transform_implILb0ES3_S5_NS0_18transform_iteratorINS0_17counting_iteratorImlEEZNS1_24adjacent_difference_implIS3_Lb1ELb0EPKiPiN6thrust23THRUST_200600_302600_NS4plusIiEEEE10hipError_tPvRmT2_T3_mT4_P12ihipStream_tbEUlmE_iEESD_NS0_8identityIvEEEESI_SL_SM_mSN_SP_bEUlT_E_NS1_11comp_targetILNS1_3genE4ELNS1_11target_archE910ELNS1_3gpuE8ELNS1_3repE0EEENS1_30default_config_static_selectorELNS0_4arch9wavefront6targetE1EEEvT1_ ; -- Begin function _ZN7rocprim17ROCPRIM_400000_NS6detail17trampoline_kernelINS0_14default_configENS1_25transform_config_selectorIiLb0EEEZNS1_14transform_implILb0ES3_S5_NS0_18transform_iteratorINS0_17counting_iteratorImlEEZNS1_24adjacent_difference_implIS3_Lb1ELb0EPKiPiN6thrust23THRUST_200600_302600_NS4plusIiEEEE10hipError_tPvRmT2_T3_mT4_P12ihipStream_tbEUlmE_iEESD_NS0_8identityIvEEEESI_SL_SM_mSN_SP_bEUlT_E_NS1_11comp_targetILNS1_3genE4ELNS1_11target_archE910ELNS1_3gpuE8ELNS1_3repE0EEENS1_30default_config_static_selectorELNS0_4arch9wavefront6targetE1EEEvT1_
	.globl	_ZN7rocprim17ROCPRIM_400000_NS6detail17trampoline_kernelINS0_14default_configENS1_25transform_config_selectorIiLb0EEEZNS1_14transform_implILb0ES3_S5_NS0_18transform_iteratorINS0_17counting_iteratorImlEEZNS1_24adjacent_difference_implIS3_Lb1ELb0EPKiPiN6thrust23THRUST_200600_302600_NS4plusIiEEEE10hipError_tPvRmT2_T3_mT4_P12ihipStream_tbEUlmE_iEESD_NS0_8identityIvEEEESI_SL_SM_mSN_SP_bEUlT_E_NS1_11comp_targetILNS1_3genE4ELNS1_11target_archE910ELNS1_3gpuE8ELNS1_3repE0EEENS1_30default_config_static_selectorELNS0_4arch9wavefront6targetE1EEEvT1_
	.p2align	8
	.type	_ZN7rocprim17ROCPRIM_400000_NS6detail17trampoline_kernelINS0_14default_configENS1_25transform_config_selectorIiLb0EEEZNS1_14transform_implILb0ES3_S5_NS0_18transform_iteratorINS0_17counting_iteratorImlEEZNS1_24adjacent_difference_implIS3_Lb1ELb0EPKiPiN6thrust23THRUST_200600_302600_NS4plusIiEEEE10hipError_tPvRmT2_T3_mT4_P12ihipStream_tbEUlmE_iEESD_NS0_8identityIvEEEESI_SL_SM_mSN_SP_bEUlT_E_NS1_11comp_targetILNS1_3genE4ELNS1_11target_archE910ELNS1_3gpuE8ELNS1_3repE0EEENS1_30default_config_static_selectorELNS0_4arch9wavefront6targetE1EEEvT1_,@function
_ZN7rocprim17ROCPRIM_400000_NS6detail17trampoline_kernelINS0_14default_configENS1_25transform_config_selectorIiLb0EEEZNS1_14transform_implILb0ES3_S5_NS0_18transform_iteratorINS0_17counting_iteratorImlEEZNS1_24adjacent_difference_implIS3_Lb1ELb0EPKiPiN6thrust23THRUST_200600_302600_NS4plusIiEEEE10hipError_tPvRmT2_T3_mT4_P12ihipStream_tbEUlmE_iEESD_NS0_8identityIvEEEESI_SL_SM_mSN_SP_bEUlT_E_NS1_11comp_targetILNS1_3genE4ELNS1_11target_archE910ELNS1_3gpuE8ELNS1_3repE0EEENS1_30default_config_static_selectorELNS0_4arch9wavefront6targetE1EEEvT1_: ; @_ZN7rocprim17ROCPRIM_400000_NS6detail17trampoline_kernelINS0_14default_configENS1_25transform_config_selectorIiLb0EEEZNS1_14transform_implILb0ES3_S5_NS0_18transform_iteratorINS0_17counting_iteratorImlEEZNS1_24adjacent_difference_implIS3_Lb1ELb0EPKiPiN6thrust23THRUST_200600_302600_NS4plusIiEEEE10hipError_tPvRmT2_T3_mT4_P12ihipStream_tbEUlmE_iEESD_NS0_8identityIvEEEESI_SL_SM_mSN_SP_bEUlT_E_NS1_11comp_targetILNS1_3genE4ELNS1_11target_archE910ELNS1_3gpuE8ELNS1_3repE0EEENS1_30default_config_static_selectorELNS0_4arch9wavefront6targetE1EEEvT1_
; %bb.0:
	.section	.rodata,"a",@progbits
	.p2align	6, 0x0
	.amdhsa_kernel _ZN7rocprim17ROCPRIM_400000_NS6detail17trampoline_kernelINS0_14default_configENS1_25transform_config_selectorIiLb0EEEZNS1_14transform_implILb0ES3_S5_NS0_18transform_iteratorINS0_17counting_iteratorImlEEZNS1_24adjacent_difference_implIS3_Lb1ELb0EPKiPiN6thrust23THRUST_200600_302600_NS4plusIiEEEE10hipError_tPvRmT2_T3_mT4_P12ihipStream_tbEUlmE_iEESD_NS0_8identityIvEEEESI_SL_SM_mSN_SP_bEUlT_E_NS1_11comp_targetILNS1_3genE4ELNS1_11target_archE910ELNS1_3gpuE8ELNS1_3repE0EEENS1_30default_config_static_selectorELNS0_4arch9wavefront6targetE1EEEvT1_
		.amdhsa_group_segment_fixed_size 0
		.amdhsa_private_segment_fixed_size 0
		.amdhsa_kernarg_size 56
		.amdhsa_user_sgpr_count 2
		.amdhsa_user_sgpr_dispatch_ptr 0
		.amdhsa_user_sgpr_queue_ptr 0
		.amdhsa_user_sgpr_kernarg_segment_ptr 1
		.amdhsa_user_sgpr_dispatch_id 0
		.amdhsa_user_sgpr_kernarg_preload_length 0
		.amdhsa_user_sgpr_kernarg_preload_offset 0
		.amdhsa_user_sgpr_private_segment_size 0
		.amdhsa_uses_dynamic_stack 0
		.amdhsa_enable_private_segment 0
		.amdhsa_system_sgpr_workgroup_id_x 1
		.amdhsa_system_sgpr_workgroup_id_y 0
		.amdhsa_system_sgpr_workgroup_id_z 0
		.amdhsa_system_sgpr_workgroup_info 0
		.amdhsa_system_vgpr_workitem_id 0
		.amdhsa_next_free_vgpr 1
		.amdhsa_next_free_sgpr 0
		.amdhsa_accum_offset 4
		.amdhsa_reserve_vcc 0
		.amdhsa_float_round_mode_32 0
		.amdhsa_float_round_mode_16_64 0
		.amdhsa_float_denorm_mode_32 3
		.amdhsa_float_denorm_mode_16_64 3
		.amdhsa_dx10_clamp 1
		.amdhsa_ieee_mode 1
		.amdhsa_fp16_overflow 0
		.amdhsa_tg_split 0
		.amdhsa_exception_fp_ieee_invalid_op 0
		.amdhsa_exception_fp_denorm_src 0
		.amdhsa_exception_fp_ieee_div_zero 0
		.amdhsa_exception_fp_ieee_overflow 0
		.amdhsa_exception_fp_ieee_underflow 0
		.amdhsa_exception_fp_ieee_inexact 0
		.amdhsa_exception_int_div_zero 0
	.end_amdhsa_kernel
	.section	.text._ZN7rocprim17ROCPRIM_400000_NS6detail17trampoline_kernelINS0_14default_configENS1_25transform_config_selectorIiLb0EEEZNS1_14transform_implILb0ES3_S5_NS0_18transform_iteratorINS0_17counting_iteratorImlEEZNS1_24adjacent_difference_implIS3_Lb1ELb0EPKiPiN6thrust23THRUST_200600_302600_NS4plusIiEEEE10hipError_tPvRmT2_T3_mT4_P12ihipStream_tbEUlmE_iEESD_NS0_8identityIvEEEESI_SL_SM_mSN_SP_bEUlT_E_NS1_11comp_targetILNS1_3genE4ELNS1_11target_archE910ELNS1_3gpuE8ELNS1_3repE0EEENS1_30default_config_static_selectorELNS0_4arch9wavefront6targetE1EEEvT1_,"axG",@progbits,_ZN7rocprim17ROCPRIM_400000_NS6detail17trampoline_kernelINS0_14default_configENS1_25transform_config_selectorIiLb0EEEZNS1_14transform_implILb0ES3_S5_NS0_18transform_iteratorINS0_17counting_iteratorImlEEZNS1_24adjacent_difference_implIS3_Lb1ELb0EPKiPiN6thrust23THRUST_200600_302600_NS4plusIiEEEE10hipError_tPvRmT2_T3_mT4_P12ihipStream_tbEUlmE_iEESD_NS0_8identityIvEEEESI_SL_SM_mSN_SP_bEUlT_E_NS1_11comp_targetILNS1_3genE4ELNS1_11target_archE910ELNS1_3gpuE8ELNS1_3repE0EEENS1_30default_config_static_selectorELNS0_4arch9wavefront6targetE1EEEvT1_,comdat
.Lfunc_end576:
	.size	_ZN7rocprim17ROCPRIM_400000_NS6detail17trampoline_kernelINS0_14default_configENS1_25transform_config_selectorIiLb0EEEZNS1_14transform_implILb0ES3_S5_NS0_18transform_iteratorINS0_17counting_iteratorImlEEZNS1_24adjacent_difference_implIS3_Lb1ELb0EPKiPiN6thrust23THRUST_200600_302600_NS4plusIiEEEE10hipError_tPvRmT2_T3_mT4_P12ihipStream_tbEUlmE_iEESD_NS0_8identityIvEEEESI_SL_SM_mSN_SP_bEUlT_E_NS1_11comp_targetILNS1_3genE4ELNS1_11target_archE910ELNS1_3gpuE8ELNS1_3repE0EEENS1_30default_config_static_selectorELNS0_4arch9wavefront6targetE1EEEvT1_, .Lfunc_end576-_ZN7rocprim17ROCPRIM_400000_NS6detail17trampoline_kernelINS0_14default_configENS1_25transform_config_selectorIiLb0EEEZNS1_14transform_implILb0ES3_S5_NS0_18transform_iteratorINS0_17counting_iteratorImlEEZNS1_24adjacent_difference_implIS3_Lb1ELb0EPKiPiN6thrust23THRUST_200600_302600_NS4plusIiEEEE10hipError_tPvRmT2_T3_mT4_P12ihipStream_tbEUlmE_iEESD_NS0_8identityIvEEEESI_SL_SM_mSN_SP_bEUlT_E_NS1_11comp_targetILNS1_3genE4ELNS1_11target_archE910ELNS1_3gpuE8ELNS1_3repE0EEENS1_30default_config_static_selectorELNS0_4arch9wavefront6targetE1EEEvT1_
                                        ; -- End function
	.section	.AMDGPU.csdata,"",@progbits
; Kernel info:
; codeLenInByte = 0
; NumSgprs: 6
; NumVgprs: 0
; NumAgprs: 0
; TotalNumVgprs: 0
; ScratchSize: 0
; MemoryBound: 0
; FloatMode: 240
; IeeeMode: 1
; LDSByteSize: 0 bytes/workgroup (compile time only)
; SGPRBlocks: 0
; VGPRBlocks: 0
; NumSGPRsForWavesPerEU: 6
; NumVGPRsForWavesPerEU: 1
; AccumOffset: 4
; Occupancy: 8
; WaveLimiterHint : 0
; COMPUTE_PGM_RSRC2:SCRATCH_EN: 0
; COMPUTE_PGM_RSRC2:USER_SGPR: 2
; COMPUTE_PGM_RSRC2:TRAP_HANDLER: 0
; COMPUTE_PGM_RSRC2:TGID_X_EN: 1
; COMPUTE_PGM_RSRC2:TGID_Y_EN: 0
; COMPUTE_PGM_RSRC2:TGID_Z_EN: 0
; COMPUTE_PGM_RSRC2:TIDIG_COMP_CNT: 0
; COMPUTE_PGM_RSRC3_GFX90A:ACCUM_OFFSET: 0
; COMPUTE_PGM_RSRC3_GFX90A:TG_SPLIT: 0
	.section	.text._ZN7rocprim17ROCPRIM_400000_NS6detail17trampoline_kernelINS0_14default_configENS1_25transform_config_selectorIiLb0EEEZNS1_14transform_implILb0ES3_S5_NS0_18transform_iteratorINS0_17counting_iteratorImlEEZNS1_24adjacent_difference_implIS3_Lb1ELb0EPKiPiN6thrust23THRUST_200600_302600_NS4plusIiEEEE10hipError_tPvRmT2_T3_mT4_P12ihipStream_tbEUlmE_iEESD_NS0_8identityIvEEEESI_SL_SM_mSN_SP_bEUlT_E_NS1_11comp_targetILNS1_3genE3ELNS1_11target_archE908ELNS1_3gpuE7ELNS1_3repE0EEENS1_30default_config_static_selectorELNS0_4arch9wavefront6targetE1EEEvT1_,"axG",@progbits,_ZN7rocprim17ROCPRIM_400000_NS6detail17trampoline_kernelINS0_14default_configENS1_25transform_config_selectorIiLb0EEEZNS1_14transform_implILb0ES3_S5_NS0_18transform_iteratorINS0_17counting_iteratorImlEEZNS1_24adjacent_difference_implIS3_Lb1ELb0EPKiPiN6thrust23THRUST_200600_302600_NS4plusIiEEEE10hipError_tPvRmT2_T3_mT4_P12ihipStream_tbEUlmE_iEESD_NS0_8identityIvEEEESI_SL_SM_mSN_SP_bEUlT_E_NS1_11comp_targetILNS1_3genE3ELNS1_11target_archE908ELNS1_3gpuE7ELNS1_3repE0EEENS1_30default_config_static_selectorELNS0_4arch9wavefront6targetE1EEEvT1_,comdat
	.protected	_ZN7rocprim17ROCPRIM_400000_NS6detail17trampoline_kernelINS0_14default_configENS1_25transform_config_selectorIiLb0EEEZNS1_14transform_implILb0ES3_S5_NS0_18transform_iteratorINS0_17counting_iteratorImlEEZNS1_24adjacent_difference_implIS3_Lb1ELb0EPKiPiN6thrust23THRUST_200600_302600_NS4plusIiEEEE10hipError_tPvRmT2_T3_mT4_P12ihipStream_tbEUlmE_iEESD_NS0_8identityIvEEEESI_SL_SM_mSN_SP_bEUlT_E_NS1_11comp_targetILNS1_3genE3ELNS1_11target_archE908ELNS1_3gpuE7ELNS1_3repE0EEENS1_30default_config_static_selectorELNS0_4arch9wavefront6targetE1EEEvT1_ ; -- Begin function _ZN7rocprim17ROCPRIM_400000_NS6detail17trampoline_kernelINS0_14default_configENS1_25transform_config_selectorIiLb0EEEZNS1_14transform_implILb0ES3_S5_NS0_18transform_iteratorINS0_17counting_iteratorImlEEZNS1_24adjacent_difference_implIS3_Lb1ELb0EPKiPiN6thrust23THRUST_200600_302600_NS4plusIiEEEE10hipError_tPvRmT2_T3_mT4_P12ihipStream_tbEUlmE_iEESD_NS0_8identityIvEEEESI_SL_SM_mSN_SP_bEUlT_E_NS1_11comp_targetILNS1_3genE3ELNS1_11target_archE908ELNS1_3gpuE7ELNS1_3repE0EEENS1_30default_config_static_selectorELNS0_4arch9wavefront6targetE1EEEvT1_
	.globl	_ZN7rocprim17ROCPRIM_400000_NS6detail17trampoline_kernelINS0_14default_configENS1_25transform_config_selectorIiLb0EEEZNS1_14transform_implILb0ES3_S5_NS0_18transform_iteratorINS0_17counting_iteratorImlEEZNS1_24adjacent_difference_implIS3_Lb1ELb0EPKiPiN6thrust23THRUST_200600_302600_NS4plusIiEEEE10hipError_tPvRmT2_T3_mT4_P12ihipStream_tbEUlmE_iEESD_NS0_8identityIvEEEESI_SL_SM_mSN_SP_bEUlT_E_NS1_11comp_targetILNS1_3genE3ELNS1_11target_archE908ELNS1_3gpuE7ELNS1_3repE0EEENS1_30default_config_static_selectorELNS0_4arch9wavefront6targetE1EEEvT1_
	.p2align	8
	.type	_ZN7rocprim17ROCPRIM_400000_NS6detail17trampoline_kernelINS0_14default_configENS1_25transform_config_selectorIiLb0EEEZNS1_14transform_implILb0ES3_S5_NS0_18transform_iteratorINS0_17counting_iteratorImlEEZNS1_24adjacent_difference_implIS3_Lb1ELb0EPKiPiN6thrust23THRUST_200600_302600_NS4plusIiEEEE10hipError_tPvRmT2_T3_mT4_P12ihipStream_tbEUlmE_iEESD_NS0_8identityIvEEEESI_SL_SM_mSN_SP_bEUlT_E_NS1_11comp_targetILNS1_3genE3ELNS1_11target_archE908ELNS1_3gpuE7ELNS1_3repE0EEENS1_30default_config_static_selectorELNS0_4arch9wavefront6targetE1EEEvT1_,@function
_ZN7rocprim17ROCPRIM_400000_NS6detail17trampoline_kernelINS0_14default_configENS1_25transform_config_selectorIiLb0EEEZNS1_14transform_implILb0ES3_S5_NS0_18transform_iteratorINS0_17counting_iteratorImlEEZNS1_24adjacent_difference_implIS3_Lb1ELb0EPKiPiN6thrust23THRUST_200600_302600_NS4plusIiEEEE10hipError_tPvRmT2_T3_mT4_P12ihipStream_tbEUlmE_iEESD_NS0_8identityIvEEEESI_SL_SM_mSN_SP_bEUlT_E_NS1_11comp_targetILNS1_3genE3ELNS1_11target_archE908ELNS1_3gpuE7ELNS1_3repE0EEENS1_30default_config_static_selectorELNS0_4arch9wavefront6targetE1EEEvT1_: ; @_ZN7rocprim17ROCPRIM_400000_NS6detail17trampoline_kernelINS0_14default_configENS1_25transform_config_selectorIiLb0EEEZNS1_14transform_implILb0ES3_S5_NS0_18transform_iteratorINS0_17counting_iteratorImlEEZNS1_24adjacent_difference_implIS3_Lb1ELb0EPKiPiN6thrust23THRUST_200600_302600_NS4plusIiEEEE10hipError_tPvRmT2_T3_mT4_P12ihipStream_tbEUlmE_iEESD_NS0_8identityIvEEEESI_SL_SM_mSN_SP_bEUlT_E_NS1_11comp_targetILNS1_3genE3ELNS1_11target_archE908ELNS1_3gpuE7ELNS1_3repE0EEENS1_30default_config_static_selectorELNS0_4arch9wavefront6targetE1EEEvT1_
; %bb.0:
	.section	.rodata,"a",@progbits
	.p2align	6, 0x0
	.amdhsa_kernel _ZN7rocprim17ROCPRIM_400000_NS6detail17trampoline_kernelINS0_14default_configENS1_25transform_config_selectorIiLb0EEEZNS1_14transform_implILb0ES3_S5_NS0_18transform_iteratorINS0_17counting_iteratorImlEEZNS1_24adjacent_difference_implIS3_Lb1ELb0EPKiPiN6thrust23THRUST_200600_302600_NS4plusIiEEEE10hipError_tPvRmT2_T3_mT4_P12ihipStream_tbEUlmE_iEESD_NS0_8identityIvEEEESI_SL_SM_mSN_SP_bEUlT_E_NS1_11comp_targetILNS1_3genE3ELNS1_11target_archE908ELNS1_3gpuE7ELNS1_3repE0EEENS1_30default_config_static_selectorELNS0_4arch9wavefront6targetE1EEEvT1_
		.amdhsa_group_segment_fixed_size 0
		.amdhsa_private_segment_fixed_size 0
		.amdhsa_kernarg_size 56
		.amdhsa_user_sgpr_count 2
		.amdhsa_user_sgpr_dispatch_ptr 0
		.amdhsa_user_sgpr_queue_ptr 0
		.amdhsa_user_sgpr_kernarg_segment_ptr 1
		.amdhsa_user_sgpr_dispatch_id 0
		.amdhsa_user_sgpr_kernarg_preload_length 0
		.amdhsa_user_sgpr_kernarg_preload_offset 0
		.amdhsa_user_sgpr_private_segment_size 0
		.amdhsa_uses_dynamic_stack 0
		.amdhsa_enable_private_segment 0
		.amdhsa_system_sgpr_workgroup_id_x 1
		.amdhsa_system_sgpr_workgroup_id_y 0
		.amdhsa_system_sgpr_workgroup_id_z 0
		.amdhsa_system_sgpr_workgroup_info 0
		.amdhsa_system_vgpr_workitem_id 0
		.amdhsa_next_free_vgpr 1
		.amdhsa_next_free_sgpr 0
		.amdhsa_accum_offset 4
		.amdhsa_reserve_vcc 0
		.amdhsa_float_round_mode_32 0
		.amdhsa_float_round_mode_16_64 0
		.amdhsa_float_denorm_mode_32 3
		.amdhsa_float_denorm_mode_16_64 3
		.amdhsa_dx10_clamp 1
		.amdhsa_ieee_mode 1
		.amdhsa_fp16_overflow 0
		.amdhsa_tg_split 0
		.amdhsa_exception_fp_ieee_invalid_op 0
		.amdhsa_exception_fp_denorm_src 0
		.amdhsa_exception_fp_ieee_div_zero 0
		.amdhsa_exception_fp_ieee_overflow 0
		.amdhsa_exception_fp_ieee_underflow 0
		.amdhsa_exception_fp_ieee_inexact 0
		.amdhsa_exception_int_div_zero 0
	.end_amdhsa_kernel
	.section	.text._ZN7rocprim17ROCPRIM_400000_NS6detail17trampoline_kernelINS0_14default_configENS1_25transform_config_selectorIiLb0EEEZNS1_14transform_implILb0ES3_S5_NS0_18transform_iteratorINS0_17counting_iteratorImlEEZNS1_24adjacent_difference_implIS3_Lb1ELb0EPKiPiN6thrust23THRUST_200600_302600_NS4plusIiEEEE10hipError_tPvRmT2_T3_mT4_P12ihipStream_tbEUlmE_iEESD_NS0_8identityIvEEEESI_SL_SM_mSN_SP_bEUlT_E_NS1_11comp_targetILNS1_3genE3ELNS1_11target_archE908ELNS1_3gpuE7ELNS1_3repE0EEENS1_30default_config_static_selectorELNS0_4arch9wavefront6targetE1EEEvT1_,"axG",@progbits,_ZN7rocprim17ROCPRIM_400000_NS6detail17trampoline_kernelINS0_14default_configENS1_25transform_config_selectorIiLb0EEEZNS1_14transform_implILb0ES3_S5_NS0_18transform_iteratorINS0_17counting_iteratorImlEEZNS1_24adjacent_difference_implIS3_Lb1ELb0EPKiPiN6thrust23THRUST_200600_302600_NS4plusIiEEEE10hipError_tPvRmT2_T3_mT4_P12ihipStream_tbEUlmE_iEESD_NS0_8identityIvEEEESI_SL_SM_mSN_SP_bEUlT_E_NS1_11comp_targetILNS1_3genE3ELNS1_11target_archE908ELNS1_3gpuE7ELNS1_3repE0EEENS1_30default_config_static_selectorELNS0_4arch9wavefront6targetE1EEEvT1_,comdat
.Lfunc_end577:
	.size	_ZN7rocprim17ROCPRIM_400000_NS6detail17trampoline_kernelINS0_14default_configENS1_25transform_config_selectorIiLb0EEEZNS1_14transform_implILb0ES3_S5_NS0_18transform_iteratorINS0_17counting_iteratorImlEEZNS1_24adjacent_difference_implIS3_Lb1ELb0EPKiPiN6thrust23THRUST_200600_302600_NS4plusIiEEEE10hipError_tPvRmT2_T3_mT4_P12ihipStream_tbEUlmE_iEESD_NS0_8identityIvEEEESI_SL_SM_mSN_SP_bEUlT_E_NS1_11comp_targetILNS1_3genE3ELNS1_11target_archE908ELNS1_3gpuE7ELNS1_3repE0EEENS1_30default_config_static_selectorELNS0_4arch9wavefront6targetE1EEEvT1_, .Lfunc_end577-_ZN7rocprim17ROCPRIM_400000_NS6detail17trampoline_kernelINS0_14default_configENS1_25transform_config_selectorIiLb0EEEZNS1_14transform_implILb0ES3_S5_NS0_18transform_iteratorINS0_17counting_iteratorImlEEZNS1_24adjacent_difference_implIS3_Lb1ELb0EPKiPiN6thrust23THRUST_200600_302600_NS4plusIiEEEE10hipError_tPvRmT2_T3_mT4_P12ihipStream_tbEUlmE_iEESD_NS0_8identityIvEEEESI_SL_SM_mSN_SP_bEUlT_E_NS1_11comp_targetILNS1_3genE3ELNS1_11target_archE908ELNS1_3gpuE7ELNS1_3repE0EEENS1_30default_config_static_selectorELNS0_4arch9wavefront6targetE1EEEvT1_
                                        ; -- End function
	.section	.AMDGPU.csdata,"",@progbits
; Kernel info:
; codeLenInByte = 0
; NumSgprs: 6
; NumVgprs: 0
; NumAgprs: 0
; TotalNumVgprs: 0
; ScratchSize: 0
; MemoryBound: 0
; FloatMode: 240
; IeeeMode: 1
; LDSByteSize: 0 bytes/workgroup (compile time only)
; SGPRBlocks: 0
; VGPRBlocks: 0
; NumSGPRsForWavesPerEU: 6
; NumVGPRsForWavesPerEU: 1
; AccumOffset: 4
; Occupancy: 8
; WaveLimiterHint : 0
; COMPUTE_PGM_RSRC2:SCRATCH_EN: 0
; COMPUTE_PGM_RSRC2:USER_SGPR: 2
; COMPUTE_PGM_RSRC2:TRAP_HANDLER: 0
; COMPUTE_PGM_RSRC2:TGID_X_EN: 1
; COMPUTE_PGM_RSRC2:TGID_Y_EN: 0
; COMPUTE_PGM_RSRC2:TGID_Z_EN: 0
; COMPUTE_PGM_RSRC2:TIDIG_COMP_CNT: 0
; COMPUTE_PGM_RSRC3_GFX90A:ACCUM_OFFSET: 0
; COMPUTE_PGM_RSRC3_GFX90A:TG_SPLIT: 0
	.section	.text._ZN7rocprim17ROCPRIM_400000_NS6detail17trampoline_kernelINS0_14default_configENS1_25transform_config_selectorIiLb0EEEZNS1_14transform_implILb0ES3_S5_NS0_18transform_iteratorINS0_17counting_iteratorImlEEZNS1_24adjacent_difference_implIS3_Lb1ELb0EPKiPiN6thrust23THRUST_200600_302600_NS4plusIiEEEE10hipError_tPvRmT2_T3_mT4_P12ihipStream_tbEUlmE_iEESD_NS0_8identityIvEEEESI_SL_SM_mSN_SP_bEUlT_E_NS1_11comp_targetILNS1_3genE2ELNS1_11target_archE906ELNS1_3gpuE6ELNS1_3repE0EEENS1_30default_config_static_selectorELNS0_4arch9wavefront6targetE1EEEvT1_,"axG",@progbits,_ZN7rocprim17ROCPRIM_400000_NS6detail17trampoline_kernelINS0_14default_configENS1_25transform_config_selectorIiLb0EEEZNS1_14transform_implILb0ES3_S5_NS0_18transform_iteratorINS0_17counting_iteratorImlEEZNS1_24adjacent_difference_implIS3_Lb1ELb0EPKiPiN6thrust23THRUST_200600_302600_NS4plusIiEEEE10hipError_tPvRmT2_T3_mT4_P12ihipStream_tbEUlmE_iEESD_NS0_8identityIvEEEESI_SL_SM_mSN_SP_bEUlT_E_NS1_11comp_targetILNS1_3genE2ELNS1_11target_archE906ELNS1_3gpuE6ELNS1_3repE0EEENS1_30default_config_static_selectorELNS0_4arch9wavefront6targetE1EEEvT1_,comdat
	.protected	_ZN7rocprim17ROCPRIM_400000_NS6detail17trampoline_kernelINS0_14default_configENS1_25transform_config_selectorIiLb0EEEZNS1_14transform_implILb0ES3_S5_NS0_18transform_iteratorINS0_17counting_iteratorImlEEZNS1_24adjacent_difference_implIS3_Lb1ELb0EPKiPiN6thrust23THRUST_200600_302600_NS4plusIiEEEE10hipError_tPvRmT2_T3_mT4_P12ihipStream_tbEUlmE_iEESD_NS0_8identityIvEEEESI_SL_SM_mSN_SP_bEUlT_E_NS1_11comp_targetILNS1_3genE2ELNS1_11target_archE906ELNS1_3gpuE6ELNS1_3repE0EEENS1_30default_config_static_selectorELNS0_4arch9wavefront6targetE1EEEvT1_ ; -- Begin function _ZN7rocprim17ROCPRIM_400000_NS6detail17trampoline_kernelINS0_14default_configENS1_25transform_config_selectorIiLb0EEEZNS1_14transform_implILb0ES3_S5_NS0_18transform_iteratorINS0_17counting_iteratorImlEEZNS1_24adjacent_difference_implIS3_Lb1ELb0EPKiPiN6thrust23THRUST_200600_302600_NS4plusIiEEEE10hipError_tPvRmT2_T3_mT4_P12ihipStream_tbEUlmE_iEESD_NS0_8identityIvEEEESI_SL_SM_mSN_SP_bEUlT_E_NS1_11comp_targetILNS1_3genE2ELNS1_11target_archE906ELNS1_3gpuE6ELNS1_3repE0EEENS1_30default_config_static_selectorELNS0_4arch9wavefront6targetE1EEEvT1_
	.globl	_ZN7rocprim17ROCPRIM_400000_NS6detail17trampoline_kernelINS0_14default_configENS1_25transform_config_selectorIiLb0EEEZNS1_14transform_implILb0ES3_S5_NS0_18transform_iteratorINS0_17counting_iteratorImlEEZNS1_24adjacent_difference_implIS3_Lb1ELb0EPKiPiN6thrust23THRUST_200600_302600_NS4plusIiEEEE10hipError_tPvRmT2_T3_mT4_P12ihipStream_tbEUlmE_iEESD_NS0_8identityIvEEEESI_SL_SM_mSN_SP_bEUlT_E_NS1_11comp_targetILNS1_3genE2ELNS1_11target_archE906ELNS1_3gpuE6ELNS1_3repE0EEENS1_30default_config_static_selectorELNS0_4arch9wavefront6targetE1EEEvT1_
	.p2align	8
	.type	_ZN7rocprim17ROCPRIM_400000_NS6detail17trampoline_kernelINS0_14default_configENS1_25transform_config_selectorIiLb0EEEZNS1_14transform_implILb0ES3_S5_NS0_18transform_iteratorINS0_17counting_iteratorImlEEZNS1_24adjacent_difference_implIS3_Lb1ELb0EPKiPiN6thrust23THRUST_200600_302600_NS4plusIiEEEE10hipError_tPvRmT2_T3_mT4_P12ihipStream_tbEUlmE_iEESD_NS0_8identityIvEEEESI_SL_SM_mSN_SP_bEUlT_E_NS1_11comp_targetILNS1_3genE2ELNS1_11target_archE906ELNS1_3gpuE6ELNS1_3repE0EEENS1_30default_config_static_selectorELNS0_4arch9wavefront6targetE1EEEvT1_,@function
_ZN7rocprim17ROCPRIM_400000_NS6detail17trampoline_kernelINS0_14default_configENS1_25transform_config_selectorIiLb0EEEZNS1_14transform_implILb0ES3_S5_NS0_18transform_iteratorINS0_17counting_iteratorImlEEZNS1_24adjacent_difference_implIS3_Lb1ELb0EPKiPiN6thrust23THRUST_200600_302600_NS4plusIiEEEE10hipError_tPvRmT2_T3_mT4_P12ihipStream_tbEUlmE_iEESD_NS0_8identityIvEEEESI_SL_SM_mSN_SP_bEUlT_E_NS1_11comp_targetILNS1_3genE2ELNS1_11target_archE906ELNS1_3gpuE6ELNS1_3repE0EEENS1_30default_config_static_selectorELNS0_4arch9wavefront6targetE1EEEvT1_: ; @_ZN7rocprim17ROCPRIM_400000_NS6detail17trampoline_kernelINS0_14default_configENS1_25transform_config_selectorIiLb0EEEZNS1_14transform_implILb0ES3_S5_NS0_18transform_iteratorINS0_17counting_iteratorImlEEZNS1_24adjacent_difference_implIS3_Lb1ELb0EPKiPiN6thrust23THRUST_200600_302600_NS4plusIiEEEE10hipError_tPvRmT2_T3_mT4_P12ihipStream_tbEUlmE_iEESD_NS0_8identityIvEEEESI_SL_SM_mSN_SP_bEUlT_E_NS1_11comp_targetILNS1_3genE2ELNS1_11target_archE906ELNS1_3gpuE6ELNS1_3repE0EEENS1_30default_config_static_selectorELNS0_4arch9wavefront6targetE1EEEvT1_
; %bb.0:
	.section	.rodata,"a",@progbits
	.p2align	6, 0x0
	.amdhsa_kernel _ZN7rocprim17ROCPRIM_400000_NS6detail17trampoline_kernelINS0_14default_configENS1_25transform_config_selectorIiLb0EEEZNS1_14transform_implILb0ES3_S5_NS0_18transform_iteratorINS0_17counting_iteratorImlEEZNS1_24adjacent_difference_implIS3_Lb1ELb0EPKiPiN6thrust23THRUST_200600_302600_NS4plusIiEEEE10hipError_tPvRmT2_T3_mT4_P12ihipStream_tbEUlmE_iEESD_NS0_8identityIvEEEESI_SL_SM_mSN_SP_bEUlT_E_NS1_11comp_targetILNS1_3genE2ELNS1_11target_archE906ELNS1_3gpuE6ELNS1_3repE0EEENS1_30default_config_static_selectorELNS0_4arch9wavefront6targetE1EEEvT1_
		.amdhsa_group_segment_fixed_size 0
		.amdhsa_private_segment_fixed_size 0
		.amdhsa_kernarg_size 56
		.amdhsa_user_sgpr_count 2
		.amdhsa_user_sgpr_dispatch_ptr 0
		.amdhsa_user_sgpr_queue_ptr 0
		.amdhsa_user_sgpr_kernarg_segment_ptr 1
		.amdhsa_user_sgpr_dispatch_id 0
		.amdhsa_user_sgpr_kernarg_preload_length 0
		.amdhsa_user_sgpr_kernarg_preload_offset 0
		.amdhsa_user_sgpr_private_segment_size 0
		.amdhsa_uses_dynamic_stack 0
		.amdhsa_enable_private_segment 0
		.amdhsa_system_sgpr_workgroup_id_x 1
		.amdhsa_system_sgpr_workgroup_id_y 0
		.amdhsa_system_sgpr_workgroup_id_z 0
		.amdhsa_system_sgpr_workgroup_info 0
		.amdhsa_system_vgpr_workitem_id 0
		.amdhsa_next_free_vgpr 1
		.amdhsa_next_free_sgpr 0
		.amdhsa_accum_offset 4
		.amdhsa_reserve_vcc 0
		.amdhsa_float_round_mode_32 0
		.amdhsa_float_round_mode_16_64 0
		.amdhsa_float_denorm_mode_32 3
		.amdhsa_float_denorm_mode_16_64 3
		.amdhsa_dx10_clamp 1
		.amdhsa_ieee_mode 1
		.amdhsa_fp16_overflow 0
		.amdhsa_tg_split 0
		.amdhsa_exception_fp_ieee_invalid_op 0
		.amdhsa_exception_fp_denorm_src 0
		.amdhsa_exception_fp_ieee_div_zero 0
		.amdhsa_exception_fp_ieee_overflow 0
		.amdhsa_exception_fp_ieee_underflow 0
		.amdhsa_exception_fp_ieee_inexact 0
		.amdhsa_exception_int_div_zero 0
	.end_amdhsa_kernel
	.section	.text._ZN7rocprim17ROCPRIM_400000_NS6detail17trampoline_kernelINS0_14default_configENS1_25transform_config_selectorIiLb0EEEZNS1_14transform_implILb0ES3_S5_NS0_18transform_iteratorINS0_17counting_iteratorImlEEZNS1_24adjacent_difference_implIS3_Lb1ELb0EPKiPiN6thrust23THRUST_200600_302600_NS4plusIiEEEE10hipError_tPvRmT2_T3_mT4_P12ihipStream_tbEUlmE_iEESD_NS0_8identityIvEEEESI_SL_SM_mSN_SP_bEUlT_E_NS1_11comp_targetILNS1_3genE2ELNS1_11target_archE906ELNS1_3gpuE6ELNS1_3repE0EEENS1_30default_config_static_selectorELNS0_4arch9wavefront6targetE1EEEvT1_,"axG",@progbits,_ZN7rocprim17ROCPRIM_400000_NS6detail17trampoline_kernelINS0_14default_configENS1_25transform_config_selectorIiLb0EEEZNS1_14transform_implILb0ES3_S5_NS0_18transform_iteratorINS0_17counting_iteratorImlEEZNS1_24adjacent_difference_implIS3_Lb1ELb0EPKiPiN6thrust23THRUST_200600_302600_NS4plusIiEEEE10hipError_tPvRmT2_T3_mT4_P12ihipStream_tbEUlmE_iEESD_NS0_8identityIvEEEESI_SL_SM_mSN_SP_bEUlT_E_NS1_11comp_targetILNS1_3genE2ELNS1_11target_archE906ELNS1_3gpuE6ELNS1_3repE0EEENS1_30default_config_static_selectorELNS0_4arch9wavefront6targetE1EEEvT1_,comdat
.Lfunc_end578:
	.size	_ZN7rocprim17ROCPRIM_400000_NS6detail17trampoline_kernelINS0_14default_configENS1_25transform_config_selectorIiLb0EEEZNS1_14transform_implILb0ES3_S5_NS0_18transform_iteratorINS0_17counting_iteratorImlEEZNS1_24adjacent_difference_implIS3_Lb1ELb0EPKiPiN6thrust23THRUST_200600_302600_NS4plusIiEEEE10hipError_tPvRmT2_T3_mT4_P12ihipStream_tbEUlmE_iEESD_NS0_8identityIvEEEESI_SL_SM_mSN_SP_bEUlT_E_NS1_11comp_targetILNS1_3genE2ELNS1_11target_archE906ELNS1_3gpuE6ELNS1_3repE0EEENS1_30default_config_static_selectorELNS0_4arch9wavefront6targetE1EEEvT1_, .Lfunc_end578-_ZN7rocprim17ROCPRIM_400000_NS6detail17trampoline_kernelINS0_14default_configENS1_25transform_config_selectorIiLb0EEEZNS1_14transform_implILb0ES3_S5_NS0_18transform_iteratorINS0_17counting_iteratorImlEEZNS1_24adjacent_difference_implIS3_Lb1ELb0EPKiPiN6thrust23THRUST_200600_302600_NS4plusIiEEEE10hipError_tPvRmT2_T3_mT4_P12ihipStream_tbEUlmE_iEESD_NS0_8identityIvEEEESI_SL_SM_mSN_SP_bEUlT_E_NS1_11comp_targetILNS1_3genE2ELNS1_11target_archE906ELNS1_3gpuE6ELNS1_3repE0EEENS1_30default_config_static_selectorELNS0_4arch9wavefront6targetE1EEEvT1_
                                        ; -- End function
	.section	.AMDGPU.csdata,"",@progbits
; Kernel info:
; codeLenInByte = 0
; NumSgprs: 6
; NumVgprs: 0
; NumAgprs: 0
; TotalNumVgprs: 0
; ScratchSize: 0
; MemoryBound: 0
; FloatMode: 240
; IeeeMode: 1
; LDSByteSize: 0 bytes/workgroup (compile time only)
; SGPRBlocks: 0
; VGPRBlocks: 0
; NumSGPRsForWavesPerEU: 6
; NumVGPRsForWavesPerEU: 1
; AccumOffset: 4
; Occupancy: 8
; WaveLimiterHint : 0
; COMPUTE_PGM_RSRC2:SCRATCH_EN: 0
; COMPUTE_PGM_RSRC2:USER_SGPR: 2
; COMPUTE_PGM_RSRC2:TRAP_HANDLER: 0
; COMPUTE_PGM_RSRC2:TGID_X_EN: 1
; COMPUTE_PGM_RSRC2:TGID_Y_EN: 0
; COMPUTE_PGM_RSRC2:TGID_Z_EN: 0
; COMPUTE_PGM_RSRC2:TIDIG_COMP_CNT: 0
; COMPUTE_PGM_RSRC3_GFX90A:ACCUM_OFFSET: 0
; COMPUTE_PGM_RSRC3_GFX90A:TG_SPLIT: 0
	.section	.text._ZN7rocprim17ROCPRIM_400000_NS6detail17trampoline_kernelINS0_14default_configENS1_25transform_config_selectorIiLb0EEEZNS1_14transform_implILb0ES3_S5_NS0_18transform_iteratorINS0_17counting_iteratorImlEEZNS1_24adjacent_difference_implIS3_Lb1ELb0EPKiPiN6thrust23THRUST_200600_302600_NS4plusIiEEEE10hipError_tPvRmT2_T3_mT4_P12ihipStream_tbEUlmE_iEESD_NS0_8identityIvEEEESI_SL_SM_mSN_SP_bEUlT_E_NS1_11comp_targetILNS1_3genE10ELNS1_11target_archE1201ELNS1_3gpuE5ELNS1_3repE0EEENS1_30default_config_static_selectorELNS0_4arch9wavefront6targetE1EEEvT1_,"axG",@progbits,_ZN7rocprim17ROCPRIM_400000_NS6detail17trampoline_kernelINS0_14default_configENS1_25transform_config_selectorIiLb0EEEZNS1_14transform_implILb0ES3_S5_NS0_18transform_iteratorINS0_17counting_iteratorImlEEZNS1_24adjacent_difference_implIS3_Lb1ELb0EPKiPiN6thrust23THRUST_200600_302600_NS4plusIiEEEE10hipError_tPvRmT2_T3_mT4_P12ihipStream_tbEUlmE_iEESD_NS0_8identityIvEEEESI_SL_SM_mSN_SP_bEUlT_E_NS1_11comp_targetILNS1_3genE10ELNS1_11target_archE1201ELNS1_3gpuE5ELNS1_3repE0EEENS1_30default_config_static_selectorELNS0_4arch9wavefront6targetE1EEEvT1_,comdat
	.protected	_ZN7rocprim17ROCPRIM_400000_NS6detail17trampoline_kernelINS0_14default_configENS1_25transform_config_selectorIiLb0EEEZNS1_14transform_implILb0ES3_S5_NS0_18transform_iteratorINS0_17counting_iteratorImlEEZNS1_24adjacent_difference_implIS3_Lb1ELb0EPKiPiN6thrust23THRUST_200600_302600_NS4plusIiEEEE10hipError_tPvRmT2_T3_mT4_P12ihipStream_tbEUlmE_iEESD_NS0_8identityIvEEEESI_SL_SM_mSN_SP_bEUlT_E_NS1_11comp_targetILNS1_3genE10ELNS1_11target_archE1201ELNS1_3gpuE5ELNS1_3repE0EEENS1_30default_config_static_selectorELNS0_4arch9wavefront6targetE1EEEvT1_ ; -- Begin function _ZN7rocprim17ROCPRIM_400000_NS6detail17trampoline_kernelINS0_14default_configENS1_25transform_config_selectorIiLb0EEEZNS1_14transform_implILb0ES3_S5_NS0_18transform_iteratorINS0_17counting_iteratorImlEEZNS1_24adjacent_difference_implIS3_Lb1ELb0EPKiPiN6thrust23THRUST_200600_302600_NS4plusIiEEEE10hipError_tPvRmT2_T3_mT4_P12ihipStream_tbEUlmE_iEESD_NS0_8identityIvEEEESI_SL_SM_mSN_SP_bEUlT_E_NS1_11comp_targetILNS1_3genE10ELNS1_11target_archE1201ELNS1_3gpuE5ELNS1_3repE0EEENS1_30default_config_static_selectorELNS0_4arch9wavefront6targetE1EEEvT1_
	.globl	_ZN7rocprim17ROCPRIM_400000_NS6detail17trampoline_kernelINS0_14default_configENS1_25transform_config_selectorIiLb0EEEZNS1_14transform_implILb0ES3_S5_NS0_18transform_iteratorINS0_17counting_iteratorImlEEZNS1_24adjacent_difference_implIS3_Lb1ELb0EPKiPiN6thrust23THRUST_200600_302600_NS4plusIiEEEE10hipError_tPvRmT2_T3_mT4_P12ihipStream_tbEUlmE_iEESD_NS0_8identityIvEEEESI_SL_SM_mSN_SP_bEUlT_E_NS1_11comp_targetILNS1_3genE10ELNS1_11target_archE1201ELNS1_3gpuE5ELNS1_3repE0EEENS1_30default_config_static_selectorELNS0_4arch9wavefront6targetE1EEEvT1_
	.p2align	8
	.type	_ZN7rocprim17ROCPRIM_400000_NS6detail17trampoline_kernelINS0_14default_configENS1_25transform_config_selectorIiLb0EEEZNS1_14transform_implILb0ES3_S5_NS0_18transform_iteratorINS0_17counting_iteratorImlEEZNS1_24adjacent_difference_implIS3_Lb1ELb0EPKiPiN6thrust23THRUST_200600_302600_NS4plusIiEEEE10hipError_tPvRmT2_T3_mT4_P12ihipStream_tbEUlmE_iEESD_NS0_8identityIvEEEESI_SL_SM_mSN_SP_bEUlT_E_NS1_11comp_targetILNS1_3genE10ELNS1_11target_archE1201ELNS1_3gpuE5ELNS1_3repE0EEENS1_30default_config_static_selectorELNS0_4arch9wavefront6targetE1EEEvT1_,@function
_ZN7rocprim17ROCPRIM_400000_NS6detail17trampoline_kernelINS0_14default_configENS1_25transform_config_selectorIiLb0EEEZNS1_14transform_implILb0ES3_S5_NS0_18transform_iteratorINS0_17counting_iteratorImlEEZNS1_24adjacent_difference_implIS3_Lb1ELb0EPKiPiN6thrust23THRUST_200600_302600_NS4plusIiEEEE10hipError_tPvRmT2_T3_mT4_P12ihipStream_tbEUlmE_iEESD_NS0_8identityIvEEEESI_SL_SM_mSN_SP_bEUlT_E_NS1_11comp_targetILNS1_3genE10ELNS1_11target_archE1201ELNS1_3gpuE5ELNS1_3repE0EEENS1_30default_config_static_selectorELNS0_4arch9wavefront6targetE1EEEvT1_: ; @_ZN7rocprim17ROCPRIM_400000_NS6detail17trampoline_kernelINS0_14default_configENS1_25transform_config_selectorIiLb0EEEZNS1_14transform_implILb0ES3_S5_NS0_18transform_iteratorINS0_17counting_iteratorImlEEZNS1_24adjacent_difference_implIS3_Lb1ELb0EPKiPiN6thrust23THRUST_200600_302600_NS4plusIiEEEE10hipError_tPvRmT2_T3_mT4_P12ihipStream_tbEUlmE_iEESD_NS0_8identityIvEEEESI_SL_SM_mSN_SP_bEUlT_E_NS1_11comp_targetILNS1_3genE10ELNS1_11target_archE1201ELNS1_3gpuE5ELNS1_3repE0EEENS1_30default_config_static_selectorELNS0_4arch9wavefront6targetE1EEEvT1_
; %bb.0:
	.section	.rodata,"a",@progbits
	.p2align	6, 0x0
	.amdhsa_kernel _ZN7rocprim17ROCPRIM_400000_NS6detail17trampoline_kernelINS0_14default_configENS1_25transform_config_selectorIiLb0EEEZNS1_14transform_implILb0ES3_S5_NS0_18transform_iteratorINS0_17counting_iteratorImlEEZNS1_24adjacent_difference_implIS3_Lb1ELb0EPKiPiN6thrust23THRUST_200600_302600_NS4plusIiEEEE10hipError_tPvRmT2_T3_mT4_P12ihipStream_tbEUlmE_iEESD_NS0_8identityIvEEEESI_SL_SM_mSN_SP_bEUlT_E_NS1_11comp_targetILNS1_3genE10ELNS1_11target_archE1201ELNS1_3gpuE5ELNS1_3repE0EEENS1_30default_config_static_selectorELNS0_4arch9wavefront6targetE1EEEvT1_
		.amdhsa_group_segment_fixed_size 0
		.amdhsa_private_segment_fixed_size 0
		.amdhsa_kernarg_size 56
		.amdhsa_user_sgpr_count 2
		.amdhsa_user_sgpr_dispatch_ptr 0
		.amdhsa_user_sgpr_queue_ptr 0
		.amdhsa_user_sgpr_kernarg_segment_ptr 1
		.amdhsa_user_sgpr_dispatch_id 0
		.amdhsa_user_sgpr_kernarg_preload_length 0
		.amdhsa_user_sgpr_kernarg_preload_offset 0
		.amdhsa_user_sgpr_private_segment_size 0
		.amdhsa_uses_dynamic_stack 0
		.amdhsa_enable_private_segment 0
		.amdhsa_system_sgpr_workgroup_id_x 1
		.amdhsa_system_sgpr_workgroup_id_y 0
		.amdhsa_system_sgpr_workgroup_id_z 0
		.amdhsa_system_sgpr_workgroup_info 0
		.amdhsa_system_vgpr_workitem_id 0
		.amdhsa_next_free_vgpr 1
		.amdhsa_next_free_sgpr 0
		.amdhsa_accum_offset 4
		.amdhsa_reserve_vcc 0
		.amdhsa_float_round_mode_32 0
		.amdhsa_float_round_mode_16_64 0
		.amdhsa_float_denorm_mode_32 3
		.amdhsa_float_denorm_mode_16_64 3
		.amdhsa_dx10_clamp 1
		.amdhsa_ieee_mode 1
		.amdhsa_fp16_overflow 0
		.amdhsa_tg_split 0
		.amdhsa_exception_fp_ieee_invalid_op 0
		.amdhsa_exception_fp_denorm_src 0
		.amdhsa_exception_fp_ieee_div_zero 0
		.amdhsa_exception_fp_ieee_overflow 0
		.amdhsa_exception_fp_ieee_underflow 0
		.amdhsa_exception_fp_ieee_inexact 0
		.amdhsa_exception_int_div_zero 0
	.end_amdhsa_kernel
	.section	.text._ZN7rocprim17ROCPRIM_400000_NS6detail17trampoline_kernelINS0_14default_configENS1_25transform_config_selectorIiLb0EEEZNS1_14transform_implILb0ES3_S5_NS0_18transform_iteratorINS0_17counting_iteratorImlEEZNS1_24adjacent_difference_implIS3_Lb1ELb0EPKiPiN6thrust23THRUST_200600_302600_NS4plusIiEEEE10hipError_tPvRmT2_T3_mT4_P12ihipStream_tbEUlmE_iEESD_NS0_8identityIvEEEESI_SL_SM_mSN_SP_bEUlT_E_NS1_11comp_targetILNS1_3genE10ELNS1_11target_archE1201ELNS1_3gpuE5ELNS1_3repE0EEENS1_30default_config_static_selectorELNS0_4arch9wavefront6targetE1EEEvT1_,"axG",@progbits,_ZN7rocprim17ROCPRIM_400000_NS6detail17trampoline_kernelINS0_14default_configENS1_25transform_config_selectorIiLb0EEEZNS1_14transform_implILb0ES3_S5_NS0_18transform_iteratorINS0_17counting_iteratorImlEEZNS1_24adjacent_difference_implIS3_Lb1ELb0EPKiPiN6thrust23THRUST_200600_302600_NS4plusIiEEEE10hipError_tPvRmT2_T3_mT4_P12ihipStream_tbEUlmE_iEESD_NS0_8identityIvEEEESI_SL_SM_mSN_SP_bEUlT_E_NS1_11comp_targetILNS1_3genE10ELNS1_11target_archE1201ELNS1_3gpuE5ELNS1_3repE0EEENS1_30default_config_static_selectorELNS0_4arch9wavefront6targetE1EEEvT1_,comdat
.Lfunc_end579:
	.size	_ZN7rocprim17ROCPRIM_400000_NS6detail17trampoline_kernelINS0_14default_configENS1_25transform_config_selectorIiLb0EEEZNS1_14transform_implILb0ES3_S5_NS0_18transform_iteratorINS0_17counting_iteratorImlEEZNS1_24adjacent_difference_implIS3_Lb1ELb0EPKiPiN6thrust23THRUST_200600_302600_NS4plusIiEEEE10hipError_tPvRmT2_T3_mT4_P12ihipStream_tbEUlmE_iEESD_NS0_8identityIvEEEESI_SL_SM_mSN_SP_bEUlT_E_NS1_11comp_targetILNS1_3genE10ELNS1_11target_archE1201ELNS1_3gpuE5ELNS1_3repE0EEENS1_30default_config_static_selectorELNS0_4arch9wavefront6targetE1EEEvT1_, .Lfunc_end579-_ZN7rocprim17ROCPRIM_400000_NS6detail17trampoline_kernelINS0_14default_configENS1_25transform_config_selectorIiLb0EEEZNS1_14transform_implILb0ES3_S5_NS0_18transform_iteratorINS0_17counting_iteratorImlEEZNS1_24adjacent_difference_implIS3_Lb1ELb0EPKiPiN6thrust23THRUST_200600_302600_NS4plusIiEEEE10hipError_tPvRmT2_T3_mT4_P12ihipStream_tbEUlmE_iEESD_NS0_8identityIvEEEESI_SL_SM_mSN_SP_bEUlT_E_NS1_11comp_targetILNS1_3genE10ELNS1_11target_archE1201ELNS1_3gpuE5ELNS1_3repE0EEENS1_30default_config_static_selectorELNS0_4arch9wavefront6targetE1EEEvT1_
                                        ; -- End function
	.section	.AMDGPU.csdata,"",@progbits
; Kernel info:
; codeLenInByte = 0
; NumSgprs: 6
; NumVgprs: 0
; NumAgprs: 0
; TotalNumVgprs: 0
; ScratchSize: 0
; MemoryBound: 0
; FloatMode: 240
; IeeeMode: 1
; LDSByteSize: 0 bytes/workgroup (compile time only)
; SGPRBlocks: 0
; VGPRBlocks: 0
; NumSGPRsForWavesPerEU: 6
; NumVGPRsForWavesPerEU: 1
; AccumOffset: 4
; Occupancy: 8
; WaveLimiterHint : 0
; COMPUTE_PGM_RSRC2:SCRATCH_EN: 0
; COMPUTE_PGM_RSRC2:USER_SGPR: 2
; COMPUTE_PGM_RSRC2:TRAP_HANDLER: 0
; COMPUTE_PGM_RSRC2:TGID_X_EN: 1
; COMPUTE_PGM_RSRC2:TGID_Y_EN: 0
; COMPUTE_PGM_RSRC2:TGID_Z_EN: 0
; COMPUTE_PGM_RSRC2:TIDIG_COMP_CNT: 0
; COMPUTE_PGM_RSRC3_GFX90A:ACCUM_OFFSET: 0
; COMPUTE_PGM_RSRC3_GFX90A:TG_SPLIT: 0
	.section	.text._ZN7rocprim17ROCPRIM_400000_NS6detail17trampoline_kernelINS0_14default_configENS1_25transform_config_selectorIiLb0EEEZNS1_14transform_implILb0ES3_S5_NS0_18transform_iteratorINS0_17counting_iteratorImlEEZNS1_24adjacent_difference_implIS3_Lb1ELb0EPKiPiN6thrust23THRUST_200600_302600_NS4plusIiEEEE10hipError_tPvRmT2_T3_mT4_P12ihipStream_tbEUlmE_iEESD_NS0_8identityIvEEEESI_SL_SM_mSN_SP_bEUlT_E_NS1_11comp_targetILNS1_3genE10ELNS1_11target_archE1200ELNS1_3gpuE4ELNS1_3repE0EEENS1_30default_config_static_selectorELNS0_4arch9wavefront6targetE1EEEvT1_,"axG",@progbits,_ZN7rocprim17ROCPRIM_400000_NS6detail17trampoline_kernelINS0_14default_configENS1_25transform_config_selectorIiLb0EEEZNS1_14transform_implILb0ES3_S5_NS0_18transform_iteratorINS0_17counting_iteratorImlEEZNS1_24adjacent_difference_implIS3_Lb1ELb0EPKiPiN6thrust23THRUST_200600_302600_NS4plusIiEEEE10hipError_tPvRmT2_T3_mT4_P12ihipStream_tbEUlmE_iEESD_NS0_8identityIvEEEESI_SL_SM_mSN_SP_bEUlT_E_NS1_11comp_targetILNS1_3genE10ELNS1_11target_archE1200ELNS1_3gpuE4ELNS1_3repE0EEENS1_30default_config_static_selectorELNS0_4arch9wavefront6targetE1EEEvT1_,comdat
	.protected	_ZN7rocprim17ROCPRIM_400000_NS6detail17trampoline_kernelINS0_14default_configENS1_25transform_config_selectorIiLb0EEEZNS1_14transform_implILb0ES3_S5_NS0_18transform_iteratorINS0_17counting_iteratorImlEEZNS1_24adjacent_difference_implIS3_Lb1ELb0EPKiPiN6thrust23THRUST_200600_302600_NS4plusIiEEEE10hipError_tPvRmT2_T3_mT4_P12ihipStream_tbEUlmE_iEESD_NS0_8identityIvEEEESI_SL_SM_mSN_SP_bEUlT_E_NS1_11comp_targetILNS1_3genE10ELNS1_11target_archE1200ELNS1_3gpuE4ELNS1_3repE0EEENS1_30default_config_static_selectorELNS0_4arch9wavefront6targetE1EEEvT1_ ; -- Begin function _ZN7rocprim17ROCPRIM_400000_NS6detail17trampoline_kernelINS0_14default_configENS1_25transform_config_selectorIiLb0EEEZNS1_14transform_implILb0ES3_S5_NS0_18transform_iteratorINS0_17counting_iteratorImlEEZNS1_24adjacent_difference_implIS3_Lb1ELb0EPKiPiN6thrust23THRUST_200600_302600_NS4plusIiEEEE10hipError_tPvRmT2_T3_mT4_P12ihipStream_tbEUlmE_iEESD_NS0_8identityIvEEEESI_SL_SM_mSN_SP_bEUlT_E_NS1_11comp_targetILNS1_3genE10ELNS1_11target_archE1200ELNS1_3gpuE4ELNS1_3repE0EEENS1_30default_config_static_selectorELNS0_4arch9wavefront6targetE1EEEvT1_
	.globl	_ZN7rocprim17ROCPRIM_400000_NS6detail17trampoline_kernelINS0_14default_configENS1_25transform_config_selectorIiLb0EEEZNS1_14transform_implILb0ES3_S5_NS0_18transform_iteratorINS0_17counting_iteratorImlEEZNS1_24adjacent_difference_implIS3_Lb1ELb0EPKiPiN6thrust23THRUST_200600_302600_NS4plusIiEEEE10hipError_tPvRmT2_T3_mT4_P12ihipStream_tbEUlmE_iEESD_NS0_8identityIvEEEESI_SL_SM_mSN_SP_bEUlT_E_NS1_11comp_targetILNS1_3genE10ELNS1_11target_archE1200ELNS1_3gpuE4ELNS1_3repE0EEENS1_30default_config_static_selectorELNS0_4arch9wavefront6targetE1EEEvT1_
	.p2align	8
	.type	_ZN7rocprim17ROCPRIM_400000_NS6detail17trampoline_kernelINS0_14default_configENS1_25transform_config_selectorIiLb0EEEZNS1_14transform_implILb0ES3_S5_NS0_18transform_iteratorINS0_17counting_iteratorImlEEZNS1_24adjacent_difference_implIS3_Lb1ELb0EPKiPiN6thrust23THRUST_200600_302600_NS4plusIiEEEE10hipError_tPvRmT2_T3_mT4_P12ihipStream_tbEUlmE_iEESD_NS0_8identityIvEEEESI_SL_SM_mSN_SP_bEUlT_E_NS1_11comp_targetILNS1_3genE10ELNS1_11target_archE1200ELNS1_3gpuE4ELNS1_3repE0EEENS1_30default_config_static_selectorELNS0_4arch9wavefront6targetE1EEEvT1_,@function
_ZN7rocprim17ROCPRIM_400000_NS6detail17trampoline_kernelINS0_14default_configENS1_25transform_config_selectorIiLb0EEEZNS1_14transform_implILb0ES3_S5_NS0_18transform_iteratorINS0_17counting_iteratorImlEEZNS1_24adjacent_difference_implIS3_Lb1ELb0EPKiPiN6thrust23THRUST_200600_302600_NS4plusIiEEEE10hipError_tPvRmT2_T3_mT4_P12ihipStream_tbEUlmE_iEESD_NS0_8identityIvEEEESI_SL_SM_mSN_SP_bEUlT_E_NS1_11comp_targetILNS1_3genE10ELNS1_11target_archE1200ELNS1_3gpuE4ELNS1_3repE0EEENS1_30default_config_static_selectorELNS0_4arch9wavefront6targetE1EEEvT1_: ; @_ZN7rocprim17ROCPRIM_400000_NS6detail17trampoline_kernelINS0_14default_configENS1_25transform_config_selectorIiLb0EEEZNS1_14transform_implILb0ES3_S5_NS0_18transform_iteratorINS0_17counting_iteratorImlEEZNS1_24adjacent_difference_implIS3_Lb1ELb0EPKiPiN6thrust23THRUST_200600_302600_NS4plusIiEEEE10hipError_tPvRmT2_T3_mT4_P12ihipStream_tbEUlmE_iEESD_NS0_8identityIvEEEESI_SL_SM_mSN_SP_bEUlT_E_NS1_11comp_targetILNS1_3genE10ELNS1_11target_archE1200ELNS1_3gpuE4ELNS1_3repE0EEENS1_30default_config_static_selectorELNS0_4arch9wavefront6targetE1EEEvT1_
; %bb.0:
	.section	.rodata,"a",@progbits
	.p2align	6, 0x0
	.amdhsa_kernel _ZN7rocprim17ROCPRIM_400000_NS6detail17trampoline_kernelINS0_14default_configENS1_25transform_config_selectorIiLb0EEEZNS1_14transform_implILb0ES3_S5_NS0_18transform_iteratorINS0_17counting_iteratorImlEEZNS1_24adjacent_difference_implIS3_Lb1ELb0EPKiPiN6thrust23THRUST_200600_302600_NS4plusIiEEEE10hipError_tPvRmT2_T3_mT4_P12ihipStream_tbEUlmE_iEESD_NS0_8identityIvEEEESI_SL_SM_mSN_SP_bEUlT_E_NS1_11comp_targetILNS1_3genE10ELNS1_11target_archE1200ELNS1_3gpuE4ELNS1_3repE0EEENS1_30default_config_static_selectorELNS0_4arch9wavefront6targetE1EEEvT1_
		.amdhsa_group_segment_fixed_size 0
		.amdhsa_private_segment_fixed_size 0
		.amdhsa_kernarg_size 56
		.amdhsa_user_sgpr_count 2
		.amdhsa_user_sgpr_dispatch_ptr 0
		.amdhsa_user_sgpr_queue_ptr 0
		.amdhsa_user_sgpr_kernarg_segment_ptr 1
		.amdhsa_user_sgpr_dispatch_id 0
		.amdhsa_user_sgpr_kernarg_preload_length 0
		.amdhsa_user_sgpr_kernarg_preload_offset 0
		.amdhsa_user_sgpr_private_segment_size 0
		.amdhsa_uses_dynamic_stack 0
		.amdhsa_enable_private_segment 0
		.amdhsa_system_sgpr_workgroup_id_x 1
		.amdhsa_system_sgpr_workgroup_id_y 0
		.amdhsa_system_sgpr_workgroup_id_z 0
		.amdhsa_system_sgpr_workgroup_info 0
		.amdhsa_system_vgpr_workitem_id 0
		.amdhsa_next_free_vgpr 1
		.amdhsa_next_free_sgpr 0
		.amdhsa_accum_offset 4
		.amdhsa_reserve_vcc 0
		.amdhsa_float_round_mode_32 0
		.amdhsa_float_round_mode_16_64 0
		.amdhsa_float_denorm_mode_32 3
		.amdhsa_float_denorm_mode_16_64 3
		.amdhsa_dx10_clamp 1
		.amdhsa_ieee_mode 1
		.amdhsa_fp16_overflow 0
		.amdhsa_tg_split 0
		.amdhsa_exception_fp_ieee_invalid_op 0
		.amdhsa_exception_fp_denorm_src 0
		.amdhsa_exception_fp_ieee_div_zero 0
		.amdhsa_exception_fp_ieee_overflow 0
		.amdhsa_exception_fp_ieee_underflow 0
		.amdhsa_exception_fp_ieee_inexact 0
		.amdhsa_exception_int_div_zero 0
	.end_amdhsa_kernel
	.section	.text._ZN7rocprim17ROCPRIM_400000_NS6detail17trampoline_kernelINS0_14default_configENS1_25transform_config_selectorIiLb0EEEZNS1_14transform_implILb0ES3_S5_NS0_18transform_iteratorINS0_17counting_iteratorImlEEZNS1_24adjacent_difference_implIS3_Lb1ELb0EPKiPiN6thrust23THRUST_200600_302600_NS4plusIiEEEE10hipError_tPvRmT2_T3_mT4_P12ihipStream_tbEUlmE_iEESD_NS0_8identityIvEEEESI_SL_SM_mSN_SP_bEUlT_E_NS1_11comp_targetILNS1_3genE10ELNS1_11target_archE1200ELNS1_3gpuE4ELNS1_3repE0EEENS1_30default_config_static_selectorELNS0_4arch9wavefront6targetE1EEEvT1_,"axG",@progbits,_ZN7rocprim17ROCPRIM_400000_NS6detail17trampoline_kernelINS0_14default_configENS1_25transform_config_selectorIiLb0EEEZNS1_14transform_implILb0ES3_S5_NS0_18transform_iteratorINS0_17counting_iteratorImlEEZNS1_24adjacent_difference_implIS3_Lb1ELb0EPKiPiN6thrust23THRUST_200600_302600_NS4plusIiEEEE10hipError_tPvRmT2_T3_mT4_P12ihipStream_tbEUlmE_iEESD_NS0_8identityIvEEEESI_SL_SM_mSN_SP_bEUlT_E_NS1_11comp_targetILNS1_3genE10ELNS1_11target_archE1200ELNS1_3gpuE4ELNS1_3repE0EEENS1_30default_config_static_selectorELNS0_4arch9wavefront6targetE1EEEvT1_,comdat
.Lfunc_end580:
	.size	_ZN7rocprim17ROCPRIM_400000_NS6detail17trampoline_kernelINS0_14default_configENS1_25transform_config_selectorIiLb0EEEZNS1_14transform_implILb0ES3_S5_NS0_18transform_iteratorINS0_17counting_iteratorImlEEZNS1_24adjacent_difference_implIS3_Lb1ELb0EPKiPiN6thrust23THRUST_200600_302600_NS4plusIiEEEE10hipError_tPvRmT2_T3_mT4_P12ihipStream_tbEUlmE_iEESD_NS0_8identityIvEEEESI_SL_SM_mSN_SP_bEUlT_E_NS1_11comp_targetILNS1_3genE10ELNS1_11target_archE1200ELNS1_3gpuE4ELNS1_3repE0EEENS1_30default_config_static_selectorELNS0_4arch9wavefront6targetE1EEEvT1_, .Lfunc_end580-_ZN7rocprim17ROCPRIM_400000_NS6detail17trampoline_kernelINS0_14default_configENS1_25transform_config_selectorIiLb0EEEZNS1_14transform_implILb0ES3_S5_NS0_18transform_iteratorINS0_17counting_iteratorImlEEZNS1_24adjacent_difference_implIS3_Lb1ELb0EPKiPiN6thrust23THRUST_200600_302600_NS4plusIiEEEE10hipError_tPvRmT2_T3_mT4_P12ihipStream_tbEUlmE_iEESD_NS0_8identityIvEEEESI_SL_SM_mSN_SP_bEUlT_E_NS1_11comp_targetILNS1_3genE10ELNS1_11target_archE1200ELNS1_3gpuE4ELNS1_3repE0EEENS1_30default_config_static_selectorELNS0_4arch9wavefront6targetE1EEEvT1_
                                        ; -- End function
	.section	.AMDGPU.csdata,"",@progbits
; Kernel info:
; codeLenInByte = 0
; NumSgprs: 6
; NumVgprs: 0
; NumAgprs: 0
; TotalNumVgprs: 0
; ScratchSize: 0
; MemoryBound: 0
; FloatMode: 240
; IeeeMode: 1
; LDSByteSize: 0 bytes/workgroup (compile time only)
; SGPRBlocks: 0
; VGPRBlocks: 0
; NumSGPRsForWavesPerEU: 6
; NumVGPRsForWavesPerEU: 1
; AccumOffset: 4
; Occupancy: 8
; WaveLimiterHint : 0
; COMPUTE_PGM_RSRC2:SCRATCH_EN: 0
; COMPUTE_PGM_RSRC2:USER_SGPR: 2
; COMPUTE_PGM_RSRC2:TRAP_HANDLER: 0
; COMPUTE_PGM_RSRC2:TGID_X_EN: 1
; COMPUTE_PGM_RSRC2:TGID_Y_EN: 0
; COMPUTE_PGM_RSRC2:TGID_Z_EN: 0
; COMPUTE_PGM_RSRC2:TIDIG_COMP_CNT: 0
; COMPUTE_PGM_RSRC3_GFX90A:ACCUM_OFFSET: 0
; COMPUTE_PGM_RSRC3_GFX90A:TG_SPLIT: 0
	.section	.text._ZN7rocprim17ROCPRIM_400000_NS6detail17trampoline_kernelINS0_14default_configENS1_25transform_config_selectorIiLb0EEEZNS1_14transform_implILb0ES3_S5_NS0_18transform_iteratorINS0_17counting_iteratorImlEEZNS1_24adjacent_difference_implIS3_Lb1ELb0EPKiPiN6thrust23THRUST_200600_302600_NS4plusIiEEEE10hipError_tPvRmT2_T3_mT4_P12ihipStream_tbEUlmE_iEESD_NS0_8identityIvEEEESI_SL_SM_mSN_SP_bEUlT_E_NS1_11comp_targetILNS1_3genE9ELNS1_11target_archE1100ELNS1_3gpuE3ELNS1_3repE0EEENS1_30default_config_static_selectorELNS0_4arch9wavefront6targetE1EEEvT1_,"axG",@progbits,_ZN7rocprim17ROCPRIM_400000_NS6detail17trampoline_kernelINS0_14default_configENS1_25transform_config_selectorIiLb0EEEZNS1_14transform_implILb0ES3_S5_NS0_18transform_iteratorINS0_17counting_iteratorImlEEZNS1_24adjacent_difference_implIS3_Lb1ELb0EPKiPiN6thrust23THRUST_200600_302600_NS4plusIiEEEE10hipError_tPvRmT2_T3_mT4_P12ihipStream_tbEUlmE_iEESD_NS0_8identityIvEEEESI_SL_SM_mSN_SP_bEUlT_E_NS1_11comp_targetILNS1_3genE9ELNS1_11target_archE1100ELNS1_3gpuE3ELNS1_3repE0EEENS1_30default_config_static_selectorELNS0_4arch9wavefront6targetE1EEEvT1_,comdat
	.protected	_ZN7rocprim17ROCPRIM_400000_NS6detail17trampoline_kernelINS0_14default_configENS1_25transform_config_selectorIiLb0EEEZNS1_14transform_implILb0ES3_S5_NS0_18transform_iteratorINS0_17counting_iteratorImlEEZNS1_24adjacent_difference_implIS3_Lb1ELb0EPKiPiN6thrust23THRUST_200600_302600_NS4plusIiEEEE10hipError_tPvRmT2_T3_mT4_P12ihipStream_tbEUlmE_iEESD_NS0_8identityIvEEEESI_SL_SM_mSN_SP_bEUlT_E_NS1_11comp_targetILNS1_3genE9ELNS1_11target_archE1100ELNS1_3gpuE3ELNS1_3repE0EEENS1_30default_config_static_selectorELNS0_4arch9wavefront6targetE1EEEvT1_ ; -- Begin function _ZN7rocprim17ROCPRIM_400000_NS6detail17trampoline_kernelINS0_14default_configENS1_25transform_config_selectorIiLb0EEEZNS1_14transform_implILb0ES3_S5_NS0_18transform_iteratorINS0_17counting_iteratorImlEEZNS1_24adjacent_difference_implIS3_Lb1ELb0EPKiPiN6thrust23THRUST_200600_302600_NS4plusIiEEEE10hipError_tPvRmT2_T3_mT4_P12ihipStream_tbEUlmE_iEESD_NS0_8identityIvEEEESI_SL_SM_mSN_SP_bEUlT_E_NS1_11comp_targetILNS1_3genE9ELNS1_11target_archE1100ELNS1_3gpuE3ELNS1_3repE0EEENS1_30default_config_static_selectorELNS0_4arch9wavefront6targetE1EEEvT1_
	.globl	_ZN7rocprim17ROCPRIM_400000_NS6detail17trampoline_kernelINS0_14default_configENS1_25transform_config_selectorIiLb0EEEZNS1_14transform_implILb0ES3_S5_NS0_18transform_iteratorINS0_17counting_iteratorImlEEZNS1_24adjacent_difference_implIS3_Lb1ELb0EPKiPiN6thrust23THRUST_200600_302600_NS4plusIiEEEE10hipError_tPvRmT2_T3_mT4_P12ihipStream_tbEUlmE_iEESD_NS0_8identityIvEEEESI_SL_SM_mSN_SP_bEUlT_E_NS1_11comp_targetILNS1_3genE9ELNS1_11target_archE1100ELNS1_3gpuE3ELNS1_3repE0EEENS1_30default_config_static_selectorELNS0_4arch9wavefront6targetE1EEEvT1_
	.p2align	8
	.type	_ZN7rocprim17ROCPRIM_400000_NS6detail17trampoline_kernelINS0_14default_configENS1_25transform_config_selectorIiLb0EEEZNS1_14transform_implILb0ES3_S5_NS0_18transform_iteratorINS0_17counting_iteratorImlEEZNS1_24adjacent_difference_implIS3_Lb1ELb0EPKiPiN6thrust23THRUST_200600_302600_NS4plusIiEEEE10hipError_tPvRmT2_T3_mT4_P12ihipStream_tbEUlmE_iEESD_NS0_8identityIvEEEESI_SL_SM_mSN_SP_bEUlT_E_NS1_11comp_targetILNS1_3genE9ELNS1_11target_archE1100ELNS1_3gpuE3ELNS1_3repE0EEENS1_30default_config_static_selectorELNS0_4arch9wavefront6targetE1EEEvT1_,@function
_ZN7rocprim17ROCPRIM_400000_NS6detail17trampoline_kernelINS0_14default_configENS1_25transform_config_selectorIiLb0EEEZNS1_14transform_implILb0ES3_S5_NS0_18transform_iteratorINS0_17counting_iteratorImlEEZNS1_24adjacent_difference_implIS3_Lb1ELb0EPKiPiN6thrust23THRUST_200600_302600_NS4plusIiEEEE10hipError_tPvRmT2_T3_mT4_P12ihipStream_tbEUlmE_iEESD_NS0_8identityIvEEEESI_SL_SM_mSN_SP_bEUlT_E_NS1_11comp_targetILNS1_3genE9ELNS1_11target_archE1100ELNS1_3gpuE3ELNS1_3repE0EEENS1_30default_config_static_selectorELNS0_4arch9wavefront6targetE1EEEvT1_: ; @_ZN7rocprim17ROCPRIM_400000_NS6detail17trampoline_kernelINS0_14default_configENS1_25transform_config_selectorIiLb0EEEZNS1_14transform_implILb0ES3_S5_NS0_18transform_iteratorINS0_17counting_iteratorImlEEZNS1_24adjacent_difference_implIS3_Lb1ELb0EPKiPiN6thrust23THRUST_200600_302600_NS4plusIiEEEE10hipError_tPvRmT2_T3_mT4_P12ihipStream_tbEUlmE_iEESD_NS0_8identityIvEEEESI_SL_SM_mSN_SP_bEUlT_E_NS1_11comp_targetILNS1_3genE9ELNS1_11target_archE1100ELNS1_3gpuE3ELNS1_3repE0EEENS1_30default_config_static_selectorELNS0_4arch9wavefront6targetE1EEEvT1_
; %bb.0:
	.section	.rodata,"a",@progbits
	.p2align	6, 0x0
	.amdhsa_kernel _ZN7rocprim17ROCPRIM_400000_NS6detail17trampoline_kernelINS0_14default_configENS1_25transform_config_selectorIiLb0EEEZNS1_14transform_implILb0ES3_S5_NS0_18transform_iteratorINS0_17counting_iteratorImlEEZNS1_24adjacent_difference_implIS3_Lb1ELb0EPKiPiN6thrust23THRUST_200600_302600_NS4plusIiEEEE10hipError_tPvRmT2_T3_mT4_P12ihipStream_tbEUlmE_iEESD_NS0_8identityIvEEEESI_SL_SM_mSN_SP_bEUlT_E_NS1_11comp_targetILNS1_3genE9ELNS1_11target_archE1100ELNS1_3gpuE3ELNS1_3repE0EEENS1_30default_config_static_selectorELNS0_4arch9wavefront6targetE1EEEvT1_
		.amdhsa_group_segment_fixed_size 0
		.amdhsa_private_segment_fixed_size 0
		.amdhsa_kernarg_size 56
		.amdhsa_user_sgpr_count 2
		.amdhsa_user_sgpr_dispatch_ptr 0
		.amdhsa_user_sgpr_queue_ptr 0
		.amdhsa_user_sgpr_kernarg_segment_ptr 1
		.amdhsa_user_sgpr_dispatch_id 0
		.amdhsa_user_sgpr_kernarg_preload_length 0
		.amdhsa_user_sgpr_kernarg_preload_offset 0
		.amdhsa_user_sgpr_private_segment_size 0
		.amdhsa_uses_dynamic_stack 0
		.amdhsa_enable_private_segment 0
		.amdhsa_system_sgpr_workgroup_id_x 1
		.amdhsa_system_sgpr_workgroup_id_y 0
		.amdhsa_system_sgpr_workgroup_id_z 0
		.amdhsa_system_sgpr_workgroup_info 0
		.amdhsa_system_vgpr_workitem_id 0
		.amdhsa_next_free_vgpr 1
		.amdhsa_next_free_sgpr 0
		.amdhsa_accum_offset 4
		.amdhsa_reserve_vcc 0
		.amdhsa_float_round_mode_32 0
		.amdhsa_float_round_mode_16_64 0
		.amdhsa_float_denorm_mode_32 3
		.amdhsa_float_denorm_mode_16_64 3
		.amdhsa_dx10_clamp 1
		.amdhsa_ieee_mode 1
		.amdhsa_fp16_overflow 0
		.amdhsa_tg_split 0
		.amdhsa_exception_fp_ieee_invalid_op 0
		.amdhsa_exception_fp_denorm_src 0
		.amdhsa_exception_fp_ieee_div_zero 0
		.amdhsa_exception_fp_ieee_overflow 0
		.amdhsa_exception_fp_ieee_underflow 0
		.amdhsa_exception_fp_ieee_inexact 0
		.amdhsa_exception_int_div_zero 0
	.end_amdhsa_kernel
	.section	.text._ZN7rocprim17ROCPRIM_400000_NS6detail17trampoline_kernelINS0_14default_configENS1_25transform_config_selectorIiLb0EEEZNS1_14transform_implILb0ES3_S5_NS0_18transform_iteratorINS0_17counting_iteratorImlEEZNS1_24adjacent_difference_implIS3_Lb1ELb0EPKiPiN6thrust23THRUST_200600_302600_NS4plusIiEEEE10hipError_tPvRmT2_T3_mT4_P12ihipStream_tbEUlmE_iEESD_NS0_8identityIvEEEESI_SL_SM_mSN_SP_bEUlT_E_NS1_11comp_targetILNS1_3genE9ELNS1_11target_archE1100ELNS1_3gpuE3ELNS1_3repE0EEENS1_30default_config_static_selectorELNS0_4arch9wavefront6targetE1EEEvT1_,"axG",@progbits,_ZN7rocprim17ROCPRIM_400000_NS6detail17trampoline_kernelINS0_14default_configENS1_25transform_config_selectorIiLb0EEEZNS1_14transform_implILb0ES3_S5_NS0_18transform_iteratorINS0_17counting_iteratorImlEEZNS1_24adjacent_difference_implIS3_Lb1ELb0EPKiPiN6thrust23THRUST_200600_302600_NS4plusIiEEEE10hipError_tPvRmT2_T3_mT4_P12ihipStream_tbEUlmE_iEESD_NS0_8identityIvEEEESI_SL_SM_mSN_SP_bEUlT_E_NS1_11comp_targetILNS1_3genE9ELNS1_11target_archE1100ELNS1_3gpuE3ELNS1_3repE0EEENS1_30default_config_static_selectorELNS0_4arch9wavefront6targetE1EEEvT1_,comdat
.Lfunc_end581:
	.size	_ZN7rocprim17ROCPRIM_400000_NS6detail17trampoline_kernelINS0_14default_configENS1_25transform_config_selectorIiLb0EEEZNS1_14transform_implILb0ES3_S5_NS0_18transform_iteratorINS0_17counting_iteratorImlEEZNS1_24adjacent_difference_implIS3_Lb1ELb0EPKiPiN6thrust23THRUST_200600_302600_NS4plusIiEEEE10hipError_tPvRmT2_T3_mT4_P12ihipStream_tbEUlmE_iEESD_NS0_8identityIvEEEESI_SL_SM_mSN_SP_bEUlT_E_NS1_11comp_targetILNS1_3genE9ELNS1_11target_archE1100ELNS1_3gpuE3ELNS1_3repE0EEENS1_30default_config_static_selectorELNS0_4arch9wavefront6targetE1EEEvT1_, .Lfunc_end581-_ZN7rocprim17ROCPRIM_400000_NS6detail17trampoline_kernelINS0_14default_configENS1_25transform_config_selectorIiLb0EEEZNS1_14transform_implILb0ES3_S5_NS0_18transform_iteratorINS0_17counting_iteratorImlEEZNS1_24adjacent_difference_implIS3_Lb1ELb0EPKiPiN6thrust23THRUST_200600_302600_NS4plusIiEEEE10hipError_tPvRmT2_T3_mT4_P12ihipStream_tbEUlmE_iEESD_NS0_8identityIvEEEESI_SL_SM_mSN_SP_bEUlT_E_NS1_11comp_targetILNS1_3genE9ELNS1_11target_archE1100ELNS1_3gpuE3ELNS1_3repE0EEENS1_30default_config_static_selectorELNS0_4arch9wavefront6targetE1EEEvT1_
                                        ; -- End function
	.section	.AMDGPU.csdata,"",@progbits
; Kernel info:
; codeLenInByte = 0
; NumSgprs: 6
; NumVgprs: 0
; NumAgprs: 0
; TotalNumVgprs: 0
; ScratchSize: 0
; MemoryBound: 0
; FloatMode: 240
; IeeeMode: 1
; LDSByteSize: 0 bytes/workgroup (compile time only)
; SGPRBlocks: 0
; VGPRBlocks: 0
; NumSGPRsForWavesPerEU: 6
; NumVGPRsForWavesPerEU: 1
; AccumOffset: 4
; Occupancy: 8
; WaveLimiterHint : 0
; COMPUTE_PGM_RSRC2:SCRATCH_EN: 0
; COMPUTE_PGM_RSRC2:USER_SGPR: 2
; COMPUTE_PGM_RSRC2:TRAP_HANDLER: 0
; COMPUTE_PGM_RSRC2:TGID_X_EN: 1
; COMPUTE_PGM_RSRC2:TGID_Y_EN: 0
; COMPUTE_PGM_RSRC2:TGID_Z_EN: 0
; COMPUTE_PGM_RSRC2:TIDIG_COMP_CNT: 0
; COMPUTE_PGM_RSRC3_GFX90A:ACCUM_OFFSET: 0
; COMPUTE_PGM_RSRC3_GFX90A:TG_SPLIT: 0
	.section	.text._ZN7rocprim17ROCPRIM_400000_NS6detail17trampoline_kernelINS0_14default_configENS1_25transform_config_selectorIiLb0EEEZNS1_14transform_implILb0ES3_S5_NS0_18transform_iteratorINS0_17counting_iteratorImlEEZNS1_24adjacent_difference_implIS3_Lb1ELb0EPKiPiN6thrust23THRUST_200600_302600_NS4plusIiEEEE10hipError_tPvRmT2_T3_mT4_P12ihipStream_tbEUlmE_iEESD_NS0_8identityIvEEEESI_SL_SM_mSN_SP_bEUlT_E_NS1_11comp_targetILNS1_3genE8ELNS1_11target_archE1030ELNS1_3gpuE2ELNS1_3repE0EEENS1_30default_config_static_selectorELNS0_4arch9wavefront6targetE1EEEvT1_,"axG",@progbits,_ZN7rocprim17ROCPRIM_400000_NS6detail17trampoline_kernelINS0_14default_configENS1_25transform_config_selectorIiLb0EEEZNS1_14transform_implILb0ES3_S5_NS0_18transform_iteratorINS0_17counting_iteratorImlEEZNS1_24adjacent_difference_implIS3_Lb1ELb0EPKiPiN6thrust23THRUST_200600_302600_NS4plusIiEEEE10hipError_tPvRmT2_T3_mT4_P12ihipStream_tbEUlmE_iEESD_NS0_8identityIvEEEESI_SL_SM_mSN_SP_bEUlT_E_NS1_11comp_targetILNS1_3genE8ELNS1_11target_archE1030ELNS1_3gpuE2ELNS1_3repE0EEENS1_30default_config_static_selectorELNS0_4arch9wavefront6targetE1EEEvT1_,comdat
	.protected	_ZN7rocprim17ROCPRIM_400000_NS6detail17trampoline_kernelINS0_14default_configENS1_25transform_config_selectorIiLb0EEEZNS1_14transform_implILb0ES3_S5_NS0_18transform_iteratorINS0_17counting_iteratorImlEEZNS1_24adjacent_difference_implIS3_Lb1ELb0EPKiPiN6thrust23THRUST_200600_302600_NS4plusIiEEEE10hipError_tPvRmT2_T3_mT4_P12ihipStream_tbEUlmE_iEESD_NS0_8identityIvEEEESI_SL_SM_mSN_SP_bEUlT_E_NS1_11comp_targetILNS1_3genE8ELNS1_11target_archE1030ELNS1_3gpuE2ELNS1_3repE0EEENS1_30default_config_static_selectorELNS0_4arch9wavefront6targetE1EEEvT1_ ; -- Begin function _ZN7rocprim17ROCPRIM_400000_NS6detail17trampoline_kernelINS0_14default_configENS1_25transform_config_selectorIiLb0EEEZNS1_14transform_implILb0ES3_S5_NS0_18transform_iteratorINS0_17counting_iteratorImlEEZNS1_24adjacent_difference_implIS3_Lb1ELb0EPKiPiN6thrust23THRUST_200600_302600_NS4plusIiEEEE10hipError_tPvRmT2_T3_mT4_P12ihipStream_tbEUlmE_iEESD_NS0_8identityIvEEEESI_SL_SM_mSN_SP_bEUlT_E_NS1_11comp_targetILNS1_3genE8ELNS1_11target_archE1030ELNS1_3gpuE2ELNS1_3repE0EEENS1_30default_config_static_selectorELNS0_4arch9wavefront6targetE1EEEvT1_
	.globl	_ZN7rocprim17ROCPRIM_400000_NS6detail17trampoline_kernelINS0_14default_configENS1_25transform_config_selectorIiLb0EEEZNS1_14transform_implILb0ES3_S5_NS0_18transform_iteratorINS0_17counting_iteratorImlEEZNS1_24adjacent_difference_implIS3_Lb1ELb0EPKiPiN6thrust23THRUST_200600_302600_NS4plusIiEEEE10hipError_tPvRmT2_T3_mT4_P12ihipStream_tbEUlmE_iEESD_NS0_8identityIvEEEESI_SL_SM_mSN_SP_bEUlT_E_NS1_11comp_targetILNS1_3genE8ELNS1_11target_archE1030ELNS1_3gpuE2ELNS1_3repE0EEENS1_30default_config_static_selectorELNS0_4arch9wavefront6targetE1EEEvT1_
	.p2align	8
	.type	_ZN7rocprim17ROCPRIM_400000_NS6detail17trampoline_kernelINS0_14default_configENS1_25transform_config_selectorIiLb0EEEZNS1_14transform_implILb0ES3_S5_NS0_18transform_iteratorINS0_17counting_iteratorImlEEZNS1_24adjacent_difference_implIS3_Lb1ELb0EPKiPiN6thrust23THRUST_200600_302600_NS4plusIiEEEE10hipError_tPvRmT2_T3_mT4_P12ihipStream_tbEUlmE_iEESD_NS0_8identityIvEEEESI_SL_SM_mSN_SP_bEUlT_E_NS1_11comp_targetILNS1_3genE8ELNS1_11target_archE1030ELNS1_3gpuE2ELNS1_3repE0EEENS1_30default_config_static_selectorELNS0_4arch9wavefront6targetE1EEEvT1_,@function
_ZN7rocprim17ROCPRIM_400000_NS6detail17trampoline_kernelINS0_14default_configENS1_25transform_config_selectorIiLb0EEEZNS1_14transform_implILb0ES3_S5_NS0_18transform_iteratorINS0_17counting_iteratorImlEEZNS1_24adjacent_difference_implIS3_Lb1ELb0EPKiPiN6thrust23THRUST_200600_302600_NS4plusIiEEEE10hipError_tPvRmT2_T3_mT4_P12ihipStream_tbEUlmE_iEESD_NS0_8identityIvEEEESI_SL_SM_mSN_SP_bEUlT_E_NS1_11comp_targetILNS1_3genE8ELNS1_11target_archE1030ELNS1_3gpuE2ELNS1_3repE0EEENS1_30default_config_static_selectorELNS0_4arch9wavefront6targetE1EEEvT1_: ; @_ZN7rocprim17ROCPRIM_400000_NS6detail17trampoline_kernelINS0_14default_configENS1_25transform_config_selectorIiLb0EEEZNS1_14transform_implILb0ES3_S5_NS0_18transform_iteratorINS0_17counting_iteratorImlEEZNS1_24adjacent_difference_implIS3_Lb1ELb0EPKiPiN6thrust23THRUST_200600_302600_NS4plusIiEEEE10hipError_tPvRmT2_T3_mT4_P12ihipStream_tbEUlmE_iEESD_NS0_8identityIvEEEESI_SL_SM_mSN_SP_bEUlT_E_NS1_11comp_targetILNS1_3genE8ELNS1_11target_archE1030ELNS1_3gpuE2ELNS1_3repE0EEENS1_30default_config_static_selectorELNS0_4arch9wavefront6targetE1EEEvT1_
; %bb.0:
	.section	.rodata,"a",@progbits
	.p2align	6, 0x0
	.amdhsa_kernel _ZN7rocprim17ROCPRIM_400000_NS6detail17trampoline_kernelINS0_14default_configENS1_25transform_config_selectorIiLb0EEEZNS1_14transform_implILb0ES3_S5_NS0_18transform_iteratorINS0_17counting_iteratorImlEEZNS1_24adjacent_difference_implIS3_Lb1ELb0EPKiPiN6thrust23THRUST_200600_302600_NS4plusIiEEEE10hipError_tPvRmT2_T3_mT4_P12ihipStream_tbEUlmE_iEESD_NS0_8identityIvEEEESI_SL_SM_mSN_SP_bEUlT_E_NS1_11comp_targetILNS1_3genE8ELNS1_11target_archE1030ELNS1_3gpuE2ELNS1_3repE0EEENS1_30default_config_static_selectorELNS0_4arch9wavefront6targetE1EEEvT1_
		.amdhsa_group_segment_fixed_size 0
		.amdhsa_private_segment_fixed_size 0
		.amdhsa_kernarg_size 56
		.amdhsa_user_sgpr_count 2
		.amdhsa_user_sgpr_dispatch_ptr 0
		.amdhsa_user_sgpr_queue_ptr 0
		.amdhsa_user_sgpr_kernarg_segment_ptr 1
		.amdhsa_user_sgpr_dispatch_id 0
		.amdhsa_user_sgpr_kernarg_preload_length 0
		.amdhsa_user_sgpr_kernarg_preload_offset 0
		.amdhsa_user_sgpr_private_segment_size 0
		.amdhsa_uses_dynamic_stack 0
		.amdhsa_enable_private_segment 0
		.amdhsa_system_sgpr_workgroup_id_x 1
		.amdhsa_system_sgpr_workgroup_id_y 0
		.amdhsa_system_sgpr_workgroup_id_z 0
		.amdhsa_system_sgpr_workgroup_info 0
		.amdhsa_system_vgpr_workitem_id 0
		.amdhsa_next_free_vgpr 1
		.amdhsa_next_free_sgpr 0
		.amdhsa_accum_offset 4
		.amdhsa_reserve_vcc 0
		.amdhsa_float_round_mode_32 0
		.amdhsa_float_round_mode_16_64 0
		.amdhsa_float_denorm_mode_32 3
		.amdhsa_float_denorm_mode_16_64 3
		.amdhsa_dx10_clamp 1
		.amdhsa_ieee_mode 1
		.amdhsa_fp16_overflow 0
		.amdhsa_tg_split 0
		.amdhsa_exception_fp_ieee_invalid_op 0
		.amdhsa_exception_fp_denorm_src 0
		.amdhsa_exception_fp_ieee_div_zero 0
		.amdhsa_exception_fp_ieee_overflow 0
		.amdhsa_exception_fp_ieee_underflow 0
		.amdhsa_exception_fp_ieee_inexact 0
		.amdhsa_exception_int_div_zero 0
	.end_amdhsa_kernel
	.section	.text._ZN7rocprim17ROCPRIM_400000_NS6detail17trampoline_kernelINS0_14default_configENS1_25transform_config_selectorIiLb0EEEZNS1_14transform_implILb0ES3_S5_NS0_18transform_iteratorINS0_17counting_iteratorImlEEZNS1_24adjacent_difference_implIS3_Lb1ELb0EPKiPiN6thrust23THRUST_200600_302600_NS4plusIiEEEE10hipError_tPvRmT2_T3_mT4_P12ihipStream_tbEUlmE_iEESD_NS0_8identityIvEEEESI_SL_SM_mSN_SP_bEUlT_E_NS1_11comp_targetILNS1_3genE8ELNS1_11target_archE1030ELNS1_3gpuE2ELNS1_3repE0EEENS1_30default_config_static_selectorELNS0_4arch9wavefront6targetE1EEEvT1_,"axG",@progbits,_ZN7rocprim17ROCPRIM_400000_NS6detail17trampoline_kernelINS0_14default_configENS1_25transform_config_selectorIiLb0EEEZNS1_14transform_implILb0ES3_S5_NS0_18transform_iteratorINS0_17counting_iteratorImlEEZNS1_24adjacent_difference_implIS3_Lb1ELb0EPKiPiN6thrust23THRUST_200600_302600_NS4plusIiEEEE10hipError_tPvRmT2_T3_mT4_P12ihipStream_tbEUlmE_iEESD_NS0_8identityIvEEEESI_SL_SM_mSN_SP_bEUlT_E_NS1_11comp_targetILNS1_3genE8ELNS1_11target_archE1030ELNS1_3gpuE2ELNS1_3repE0EEENS1_30default_config_static_selectorELNS0_4arch9wavefront6targetE1EEEvT1_,comdat
.Lfunc_end582:
	.size	_ZN7rocprim17ROCPRIM_400000_NS6detail17trampoline_kernelINS0_14default_configENS1_25transform_config_selectorIiLb0EEEZNS1_14transform_implILb0ES3_S5_NS0_18transform_iteratorINS0_17counting_iteratorImlEEZNS1_24adjacent_difference_implIS3_Lb1ELb0EPKiPiN6thrust23THRUST_200600_302600_NS4plusIiEEEE10hipError_tPvRmT2_T3_mT4_P12ihipStream_tbEUlmE_iEESD_NS0_8identityIvEEEESI_SL_SM_mSN_SP_bEUlT_E_NS1_11comp_targetILNS1_3genE8ELNS1_11target_archE1030ELNS1_3gpuE2ELNS1_3repE0EEENS1_30default_config_static_selectorELNS0_4arch9wavefront6targetE1EEEvT1_, .Lfunc_end582-_ZN7rocprim17ROCPRIM_400000_NS6detail17trampoline_kernelINS0_14default_configENS1_25transform_config_selectorIiLb0EEEZNS1_14transform_implILb0ES3_S5_NS0_18transform_iteratorINS0_17counting_iteratorImlEEZNS1_24adjacent_difference_implIS3_Lb1ELb0EPKiPiN6thrust23THRUST_200600_302600_NS4plusIiEEEE10hipError_tPvRmT2_T3_mT4_P12ihipStream_tbEUlmE_iEESD_NS0_8identityIvEEEESI_SL_SM_mSN_SP_bEUlT_E_NS1_11comp_targetILNS1_3genE8ELNS1_11target_archE1030ELNS1_3gpuE2ELNS1_3repE0EEENS1_30default_config_static_selectorELNS0_4arch9wavefront6targetE1EEEvT1_
                                        ; -- End function
	.section	.AMDGPU.csdata,"",@progbits
; Kernel info:
; codeLenInByte = 0
; NumSgprs: 6
; NumVgprs: 0
; NumAgprs: 0
; TotalNumVgprs: 0
; ScratchSize: 0
; MemoryBound: 0
; FloatMode: 240
; IeeeMode: 1
; LDSByteSize: 0 bytes/workgroup (compile time only)
; SGPRBlocks: 0
; VGPRBlocks: 0
; NumSGPRsForWavesPerEU: 6
; NumVGPRsForWavesPerEU: 1
; AccumOffset: 4
; Occupancy: 8
; WaveLimiterHint : 0
; COMPUTE_PGM_RSRC2:SCRATCH_EN: 0
; COMPUTE_PGM_RSRC2:USER_SGPR: 2
; COMPUTE_PGM_RSRC2:TRAP_HANDLER: 0
; COMPUTE_PGM_RSRC2:TGID_X_EN: 1
; COMPUTE_PGM_RSRC2:TGID_Y_EN: 0
; COMPUTE_PGM_RSRC2:TGID_Z_EN: 0
; COMPUTE_PGM_RSRC2:TIDIG_COMP_CNT: 0
; COMPUTE_PGM_RSRC3_GFX90A:ACCUM_OFFSET: 0
; COMPUTE_PGM_RSRC3_GFX90A:TG_SPLIT: 0
	.section	.text._ZN7rocprim17ROCPRIM_400000_NS6detail17trampoline_kernelINS0_14default_configENS1_35adjacent_difference_config_selectorILb1EiEEZNS1_24adjacent_difference_implIS3_Lb1ELb0EPKiPiN6thrust23THRUST_200600_302600_NS4plusIiEEEE10hipError_tPvRmT2_T3_mT4_P12ihipStream_tbEUlT_E_NS1_11comp_targetILNS1_3genE0ELNS1_11target_archE4294967295ELNS1_3gpuE0ELNS1_3repE0EEENS1_30default_config_static_selectorELNS0_4arch9wavefront6targetE1EEEvT1_,"axG",@progbits,_ZN7rocprim17ROCPRIM_400000_NS6detail17trampoline_kernelINS0_14default_configENS1_35adjacent_difference_config_selectorILb1EiEEZNS1_24adjacent_difference_implIS3_Lb1ELb0EPKiPiN6thrust23THRUST_200600_302600_NS4plusIiEEEE10hipError_tPvRmT2_T3_mT4_P12ihipStream_tbEUlT_E_NS1_11comp_targetILNS1_3genE0ELNS1_11target_archE4294967295ELNS1_3gpuE0ELNS1_3repE0EEENS1_30default_config_static_selectorELNS0_4arch9wavefront6targetE1EEEvT1_,comdat
	.protected	_ZN7rocprim17ROCPRIM_400000_NS6detail17trampoline_kernelINS0_14default_configENS1_35adjacent_difference_config_selectorILb1EiEEZNS1_24adjacent_difference_implIS3_Lb1ELb0EPKiPiN6thrust23THRUST_200600_302600_NS4plusIiEEEE10hipError_tPvRmT2_T3_mT4_P12ihipStream_tbEUlT_E_NS1_11comp_targetILNS1_3genE0ELNS1_11target_archE4294967295ELNS1_3gpuE0ELNS1_3repE0EEENS1_30default_config_static_selectorELNS0_4arch9wavefront6targetE1EEEvT1_ ; -- Begin function _ZN7rocprim17ROCPRIM_400000_NS6detail17trampoline_kernelINS0_14default_configENS1_35adjacent_difference_config_selectorILb1EiEEZNS1_24adjacent_difference_implIS3_Lb1ELb0EPKiPiN6thrust23THRUST_200600_302600_NS4plusIiEEEE10hipError_tPvRmT2_T3_mT4_P12ihipStream_tbEUlT_E_NS1_11comp_targetILNS1_3genE0ELNS1_11target_archE4294967295ELNS1_3gpuE0ELNS1_3repE0EEENS1_30default_config_static_selectorELNS0_4arch9wavefront6targetE1EEEvT1_
	.globl	_ZN7rocprim17ROCPRIM_400000_NS6detail17trampoline_kernelINS0_14default_configENS1_35adjacent_difference_config_selectorILb1EiEEZNS1_24adjacent_difference_implIS3_Lb1ELb0EPKiPiN6thrust23THRUST_200600_302600_NS4plusIiEEEE10hipError_tPvRmT2_T3_mT4_P12ihipStream_tbEUlT_E_NS1_11comp_targetILNS1_3genE0ELNS1_11target_archE4294967295ELNS1_3gpuE0ELNS1_3repE0EEENS1_30default_config_static_selectorELNS0_4arch9wavefront6targetE1EEEvT1_
	.p2align	8
	.type	_ZN7rocprim17ROCPRIM_400000_NS6detail17trampoline_kernelINS0_14default_configENS1_35adjacent_difference_config_selectorILb1EiEEZNS1_24adjacent_difference_implIS3_Lb1ELb0EPKiPiN6thrust23THRUST_200600_302600_NS4plusIiEEEE10hipError_tPvRmT2_T3_mT4_P12ihipStream_tbEUlT_E_NS1_11comp_targetILNS1_3genE0ELNS1_11target_archE4294967295ELNS1_3gpuE0ELNS1_3repE0EEENS1_30default_config_static_selectorELNS0_4arch9wavefront6targetE1EEEvT1_,@function
_ZN7rocprim17ROCPRIM_400000_NS6detail17trampoline_kernelINS0_14default_configENS1_35adjacent_difference_config_selectorILb1EiEEZNS1_24adjacent_difference_implIS3_Lb1ELb0EPKiPiN6thrust23THRUST_200600_302600_NS4plusIiEEEE10hipError_tPvRmT2_T3_mT4_P12ihipStream_tbEUlT_E_NS1_11comp_targetILNS1_3genE0ELNS1_11target_archE4294967295ELNS1_3gpuE0ELNS1_3repE0EEENS1_30default_config_static_selectorELNS0_4arch9wavefront6targetE1EEEvT1_: ; @_ZN7rocprim17ROCPRIM_400000_NS6detail17trampoline_kernelINS0_14default_configENS1_35adjacent_difference_config_selectorILb1EiEEZNS1_24adjacent_difference_implIS3_Lb1ELb0EPKiPiN6thrust23THRUST_200600_302600_NS4plusIiEEEE10hipError_tPvRmT2_T3_mT4_P12ihipStream_tbEUlT_E_NS1_11comp_targetILNS1_3genE0ELNS1_11target_archE4294967295ELNS1_3gpuE0ELNS1_3repE0EEENS1_30default_config_static_selectorELNS0_4arch9wavefront6targetE1EEEvT1_
; %bb.0:
	.section	.rodata,"a",@progbits
	.p2align	6, 0x0
	.amdhsa_kernel _ZN7rocprim17ROCPRIM_400000_NS6detail17trampoline_kernelINS0_14default_configENS1_35adjacent_difference_config_selectorILb1EiEEZNS1_24adjacent_difference_implIS3_Lb1ELb0EPKiPiN6thrust23THRUST_200600_302600_NS4plusIiEEEE10hipError_tPvRmT2_T3_mT4_P12ihipStream_tbEUlT_E_NS1_11comp_targetILNS1_3genE0ELNS1_11target_archE4294967295ELNS1_3gpuE0ELNS1_3repE0EEENS1_30default_config_static_selectorELNS0_4arch9wavefront6targetE1EEEvT1_
		.amdhsa_group_segment_fixed_size 0
		.amdhsa_private_segment_fixed_size 0
		.amdhsa_kernarg_size 56
		.amdhsa_user_sgpr_count 2
		.amdhsa_user_sgpr_dispatch_ptr 0
		.amdhsa_user_sgpr_queue_ptr 0
		.amdhsa_user_sgpr_kernarg_segment_ptr 1
		.amdhsa_user_sgpr_dispatch_id 0
		.amdhsa_user_sgpr_kernarg_preload_length 0
		.amdhsa_user_sgpr_kernarg_preload_offset 0
		.amdhsa_user_sgpr_private_segment_size 0
		.amdhsa_uses_dynamic_stack 0
		.amdhsa_enable_private_segment 0
		.amdhsa_system_sgpr_workgroup_id_x 1
		.amdhsa_system_sgpr_workgroup_id_y 0
		.amdhsa_system_sgpr_workgroup_id_z 0
		.amdhsa_system_sgpr_workgroup_info 0
		.amdhsa_system_vgpr_workitem_id 0
		.amdhsa_next_free_vgpr 1
		.amdhsa_next_free_sgpr 0
		.amdhsa_accum_offset 4
		.amdhsa_reserve_vcc 0
		.amdhsa_float_round_mode_32 0
		.amdhsa_float_round_mode_16_64 0
		.amdhsa_float_denorm_mode_32 3
		.amdhsa_float_denorm_mode_16_64 3
		.amdhsa_dx10_clamp 1
		.amdhsa_ieee_mode 1
		.amdhsa_fp16_overflow 0
		.amdhsa_tg_split 0
		.amdhsa_exception_fp_ieee_invalid_op 0
		.amdhsa_exception_fp_denorm_src 0
		.amdhsa_exception_fp_ieee_div_zero 0
		.amdhsa_exception_fp_ieee_overflow 0
		.amdhsa_exception_fp_ieee_underflow 0
		.amdhsa_exception_fp_ieee_inexact 0
		.amdhsa_exception_int_div_zero 0
	.end_amdhsa_kernel
	.section	.text._ZN7rocprim17ROCPRIM_400000_NS6detail17trampoline_kernelINS0_14default_configENS1_35adjacent_difference_config_selectorILb1EiEEZNS1_24adjacent_difference_implIS3_Lb1ELb0EPKiPiN6thrust23THRUST_200600_302600_NS4plusIiEEEE10hipError_tPvRmT2_T3_mT4_P12ihipStream_tbEUlT_E_NS1_11comp_targetILNS1_3genE0ELNS1_11target_archE4294967295ELNS1_3gpuE0ELNS1_3repE0EEENS1_30default_config_static_selectorELNS0_4arch9wavefront6targetE1EEEvT1_,"axG",@progbits,_ZN7rocprim17ROCPRIM_400000_NS6detail17trampoline_kernelINS0_14default_configENS1_35adjacent_difference_config_selectorILb1EiEEZNS1_24adjacent_difference_implIS3_Lb1ELb0EPKiPiN6thrust23THRUST_200600_302600_NS4plusIiEEEE10hipError_tPvRmT2_T3_mT4_P12ihipStream_tbEUlT_E_NS1_11comp_targetILNS1_3genE0ELNS1_11target_archE4294967295ELNS1_3gpuE0ELNS1_3repE0EEENS1_30default_config_static_selectorELNS0_4arch9wavefront6targetE1EEEvT1_,comdat
.Lfunc_end583:
	.size	_ZN7rocprim17ROCPRIM_400000_NS6detail17trampoline_kernelINS0_14default_configENS1_35adjacent_difference_config_selectorILb1EiEEZNS1_24adjacent_difference_implIS3_Lb1ELb0EPKiPiN6thrust23THRUST_200600_302600_NS4plusIiEEEE10hipError_tPvRmT2_T3_mT4_P12ihipStream_tbEUlT_E_NS1_11comp_targetILNS1_3genE0ELNS1_11target_archE4294967295ELNS1_3gpuE0ELNS1_3repE0EEENS1_30default_config_static_selectorELNS0_4arch9wavefront6targetE1EEEvT1_, .Lfunc_end583-_ZN7rocprim17ROCPRIM_400000_NS6detail17trampoline_kernelINS0_14default_configENS1_35adjacent_difference_config_selectorILb1EiEEZNS1_24adjacent_difference_implIS3_Lb1ELb0EPKiPiN6thrust23THRUST_200600_302600_NS4plusIiEEEE10hipError_tPvRmT2_T3_mT4_P12ihipStream_tbEUlT_E_NS1_11comp_targetILNS1_3genE0ELNS1_11target_archE4294967295ELNS1_3gpuE0ELNS1_3repE0EEENS1_30default_config_static_selectorELNS0_4arch9wavefront6targetE1EEEvT1_
                                        ; -- End function
	.section	.AMDGPU.csdata,"",@progbits
; Kernel info:
; codeLenInByte = 0
; NumSgprs: 6
; NumVgprs: 0
; NumAgprs: 0
; TotalNumVgprs: 0
; ScratchSize: 0
; MemoryBound: 0
; FloatMode: 240
; IeeeMode: 1
; LDSByteSize: 0 bytes/workgroup (compile time only)
; SGPRBlocks: 0
; VGPRBlocks: 0
; NumSGPRsForWavesPerEU: 6
; NumVGPRsForWavesPerEU: 1
; AccumOffset: 4
; Occupancy: 8
; WaveLimiterHint : 0
; COMPUTE_PGM_RSRC2:SCRATCH_EN: 0
; COMPUTE_PGM_RSRC2:USER_SGPR: 2
; COMPUTE_PGM_RSRC2:TRAP_HANDLER: 0
; COMPUTE_PGM_RSRC2:TGID_X_EN: 1
; COMPUTE_PGM_RSRC2:TGID_Y_EN: 0
; COMPUTE_PGM_RSRC2:TGID_Z_EN: 0
; COMPUTE_PGM_RSRC2:TIDIG_COMP_CNT: 0
; COMPUTE_PGM_RSRC3_GFX90A:ACCUM_OFFSET: 0
; COMPUTE_PGM_RSRC3_GFX90A:TG_SPLIT: 0
	.section	.text._ZN7rocprim17ROCPRIM_400000_NS6detail17trampoline_kernelINS0_14default_configENS1_35adjacent_difference_config_selectorILb1EiEEZNS1_24adjacent_difference_implIS3_Lb1ELb0EPKiPiN6thrust23THRUST_200600_302600_NS4plusIiEEEE10hipError_tPvRmT2_T3_mT4_P12ihipStream_tbEUlT_E_NS1_11comp_targetILNS1_3genE10ELNS1_11target_archE1201ELNS1_3gpuE5ELNS1_3repE0EEENS1_30default_config_static_selectorELNS0_4arch9wavefront6targetE1EEEvT1_,"axG",@progbits,_ZN7rocprim17ROCPRIM_400000_NS6detail17trampoline_kernelINS0_14default_configENS1_35adjacent_difference_config_selectorILb1EiEEZNS1_24adjacent_difference_implIS3_Lb1ELb0EPKiPiN6thrust23THRUST_200600_302600_NS4plusIiEEEE10hipError_tPvRmT2_T3_mT4_P12ihipStream_tbEUlT_E_NS1_11comp_targetILNS1_3genE10ELNS1_11target_archE1201ELNS1_3gpuE5ELNS1_3repE0EEENS1_30default_config_static_selectorELNS0_4arch9wavefront6targetE1EEEvT1_,comdat
	.protected	_ZN7rocprim17ROCPRIM_400000_NS6detail17trampoline_kernelINS0_14default_configENS1_35adjacent_difference_config_selectorILb1EiEEZNS1_24adjacent_difference_implIS3_Lb1ELb0EPKiPiN6thrust23THRUST_200600_302600_NS4plusIiEEEE10hipError_tPvRmT2_T3_mT4_P12ihipStream_tbEUlT_E_NS1_11comp_targetILNS1_3genE10ELNS1_11target_archE1201ELNS1_3gpuE5ELNS1_3repE0EEENS1_30default_config_static_selectorELNS0_4arch9wavefront6targetE1EEEvT1_ ; -- Begin function _ZN7rocprim17ROCPRIM_400000_NS6detail17trampoline_kernelINS0_14default_configENS1_35adjacent_difference_config_selectorILb1EiEEZNS1_24adjacent_difference_implIS3_Lb1ELb0EPKiPiN6thrust23THRUST_200600_302600_NS4plusIiEEEE10hipError_tPvRmT2_T3_mT4_P12ihipStream_tbEUlT_E_NS1_11comp_targetILNS1_3genE10ELNS1_11target_archE1201ELNS1_3gpuE5ELNS1_3repE0EEENS1_30default_config_static_selectorELNS0_4arch9wavefront6targetE1EEEvT1_
	.globl	_ZN7rocprim17ROCPRIM_400000_NS6detail17trampoline_kernelINS0_14default_configENS1_35adjacent_difference_config_selectorILb1EiEEZNS1_24adjacent_difference_implIS3_Lb1ELb0EPKiPiN6thrust23THRUST_200600_302600_NS4plusIiEEEE10hipError_tPvRmT2_T3_mT4_P12ihipStream_tbEUlT_E_NS1_11comp_targetILNS1_3genE10ELNS1_11target_archE1201ELNS1_3gpuE5ELNS1_3repE0EEENS1_30default_config_static_selectorELNS0_4arch9wavefront6targetE1EEEvT1_
	.p2align	8
	.type	_ZN7rocprim17ROCPRIM_400000_NS6detail17trampoline_kernelINS0_14default_configENS1_35adjacent_difference_config_selectorILb1EiEEZNS1_24adjacent_difference_implIS3_Lb1ELb0EPKiPiN6thrust23THRUST_200600_302600_NS4plusIiEEEE10hipError_tPvRmT2_T3_mT4_P12ihipStream_tbEUlT_E_NS1_11comp_targetILNS1_3genE10ELNS1_11target_archE1201ELNS1_3gpuE5ELNS1_3repE0EEENS1_30default_config_static_selectorELNS0_4arch9wavefront6targetE1EEEvT1_,@function
_ZN7rocprim17ROCPRIM_400000_NS6detail17trampoline_kernelINS0_14default_configENS1_35adjacent_difference_config_selectorILb1EiEEZNS1_24adjacent_difference_implIS3_Lb1ELb0EPKiPiN6thrust23THRUST_200600_302600_NS4plusIiEEEE10hipError_tPvRmT2_T3_mT4_P12ihipStream_tbEUlT_E_NS1_11comp_targetILNS1_3genE10ELNS1_11target_archE1201ELNS1_3gpuE5ELNS1_3repE0EEENS1_30default_config_static_selectorELNS0_4arch9wavefront6targetE1EEEvT1_: ; @_ZN7rocprim17ROCPRIM_400000_NS6detail17trampoline_kernelINS0_14default_configENS1_35adjacent_difference_config_selectorILb1EiEEZNS1_24adjacent_difference_implIS3_Lb1ELb0EPKiPiN6thrust23THRUST_200600_302600_NS4plusIiEEEE10hipError_tPvRmT2_T3_mT4_P12ihipStream_tbEUlT_E_NS1_11comp_targetILNS1_3genE10ELNS1_11target_archE1201ELNS1_3gpuE5ELNS1_3repE0EEENS1_30default_config_static_selectorELNS0_4arch9wavefront6targetE1EEEvT1_
; %bb.0:
	.section	.rodata,"a",@progbits
	.p2align	6, 0x0
	.amdhsa_kernel _ZN7rocprim17ROCPRIM_400000_NS6detail17trampoline_kernelINS0_14default_configENS1_35adjacent_difference_config_selectorILb1EiEEZNS1_24adjacent_difference_implIS3_Lb1ELb0EPKiPiN6thrust23THRUST_200600_302600_NS4plusIiEEEE10hipError_tPvRmT2_T3_mT4_P12ihipStream_tbEUlT_E_NS1_11comp_targetILNS1_3genE10ELNS1_11target_archE1201ELNS1_3gpuE5ELNS1_3repE0EEENS1_30default_config_static_selectorELNS0_4arch9wavefront6targetE1EEEvT1_
		.amdhsa_group_segment_fixed_size 0
		.amdhsa_private_segment_fixed_size 0
		.amdhsa_kernarg_size 56
		.amdhsa_user_sgpr_count 2
		.amdhsa_user_sgpr_dispatch_ptr 0
		.amdhsa_user_sgpr_queue_ptr 0
		.amdhsa_user_sgpr_kernarg_segment_ptr 1
		.amdhsa_user_sgpr_dispatch_id 0
		.amdhsa_user_sgpr_kernarg_preload_length 0
		.amdhsa_user_sgpr_kernarg_preload_offset 0
		.amdhsa_user_sgpr_private_segment_size 0
		.amdhsa_uses_dynamic_stack 0
		.amdhsa_enable_private_segment 0
		.amdhsa_system_sgpr_workgroup_id_x 1
		.amdhsa_system_sgpr_workgroup_id_y 0
		.amdhsa_system_sgpr_workgroup_id_z 0
		.amdhsa_system_sgpr_workgroup_info 0
		.amdhsa_system_vgpr_workitem_id 0
		.amdhsa_next_free_vgpr 1
		.amdhsa_next_free_sgpr 0
		.amdhsa_accum_offset 4
		.amdhsa_reserve_vcc 0
		.amdhsa_float_round_mode_32 0
		.amdhsa_float_round_mode_16_64 0
		.amdhsa_float_denorm_mode_32 3
		.amdhsa_float_denorm_mode_16_64 3
		.amdhsa_dx10_clamp 1
		.amdhsa_ieee_mode 1
		.amdhsa_fp16_overflow 0
		.amdhsa_tg_split 0
		.amdhsa_exception_fp_ieee_invalid_op 0
		.amdhsa_exception_fp_denorm_src 0
		.amdhsa_exception_fp_ieee_div_zero 0
		.amdhsa_exception_fp_ieee_overflow 0
		.amdhsa_exception_fp_ieee_underflow 0
		.amdhsa_exception_fp_ieee_inexact 0
		.amdhsa_exception_int_div_zero 0
	.end_amdhsa_kernel
	.section	.text._ZN7rocprim17ROCPRIM_400000_NS6detail17trampoline_kernelINS0_14default_configENS1_35adjacent_difference_config_selectorILb1EiEEZNS1_24adjacent_difference_implIS3_Lb1ELb0EPKiPiN6thrust23THRUST_200600_302600_NS4plusIiEEEE10hipError_tPvRmT2_T3_mT4_P12ihipStream_tbEUlT_E_NS1_11comp_targetILNS1_3genE10ELNS1_11target_archE1201ELNS1_3gpuE5ELNS1_3repE0EEENS1_30default_config_static_selectorELNS0_4arch9wavefront6targetE1EEEvT1_,"axG",@progbits,_ZN7rocprim17ROCPRIM_400000_NS6detail17trampoline_kernelINS0_14default_configENS1_35adjacent_difference_config_selectorILb1EiEEZNS1_24adjacent_difference_implIS3_Lb1ELb0EPKiPiN6thrust23THRUST_200600_302600_NS4plusIiEEEE10hipError_tPvRmT2_T3_mT4_P12ihipStream_tbEUlT_E_NS1_11comp_targetILNS1_3genE10ELNS1_11target_archE1201ELNS1_3gpuE5ELNS1_3repE0EEENS1_30default_config_static_selectorELNS0_4arch9wavefront6targetE1EEEvT1_,comdat
.Lfunc_end584:
	.size	_ZN7rocprim17ROCPRIM_400000_NS6detail17trampoline_kernelINS0_14default_configENS1_35adjacent_difference_config_selectorILb1EiEEZNS1_24adjacent_difference_implIS3_Lb1ELb0EPKiPiN6thrust23THRUST_200600_302600_NS4plusIiEEEE10hipError_tPvRmT2_T3_mT4_P12ihipStream_tbEUlT_E_NS1_11comp_targetILNS1_3genE10ELNS1_11target_archE1201ELNS1_3gpuE5ELNS1_3repE0EEENS1_30default_config_static_selectorELNS0_4arch9wavefront6targetE1EEEvT1_, .Lfunc_end584-_ZN7rocprim17ROCPRIM_400000_NS6detail17trampoline_kernelINS0_14default_configENS1_35adjacent_difference_config_selectorILb1EiEEZNS1_24adjacent_difference_implIS3_Lb1ELb0EPKiPiN6thrust23THRUST_200600_302600_NS4plusIiEEEE10hipError_tPvRmT2_T3_mT4_P12ihipStream_tbEUlT_E_NS1_11comp_targetILNS1_3genE10ELNS1_11target_archE1201ELNS1_3gpuE5ELNS1_3repE0EEENS1_30default_config_static_selectorELNS0_4arch9wavefront6targetE1EEEvT1_
                                        ; -- End function
	.section	.AMDGPU.csdata,"",@progbits
; Kernel info:
; codeLenInByte = 0
; NumSgprs: 6
; NumVgprs: 0
; NumAgprs: 0
; TotalNumVgprs: 0
; ScratchSize: 0
; MemoryBound: 0
; FloatMode: 240
; IeeeMode: 1
; LDSByteSize: 0 bytes/workgroup (compile time only)
; SGPRBlocks: 0
; VGPRBlocks: 0
; NumSGPRsForWavesPerEU: 6
; NumVGPRsForWavesPerEU: 1
; AccumOffset: 4
; Occupancy: 8
; WaveLimiterHint : 0
; COMPUTE_PGM_RSRC2:SCRATCH_EN: 0
; COMPUTE_PGM_RSRC2:USER_SGPR: 2
; COMPUTE_PGM_RSRC2:TRAP_HANDLER: 0
; COMPUTE_PGM_RSRC2:TGID_X_EN: 1
; COMPUTE_PGM_RSRC2:TGID_Y_EN: 0
; COMPUTE_PGM_RSRC2:TGID_Z_EN: 0
; COMPUTE_PGM_RSRC2:TIDIG_COMP_CNT: 0
; COMPUTE_PGM_RSRC3_GFX90A:ACCUM_OFFSET: 0
; COMPUTE_PGM_RSRC3_GFX90A:TG_SPLIT: 0
	.section	.text._ZN7rocprim17ROCPRIM_400000_NS6detail17trampoline_kernelINS0_14default_configENS1_35adjacent_difference_config_selectorILb1EiEEZNS1_24adjacent_difference_implIS3_Lb1ELb0EPKiPiN6thrust23THRUST_200600_302600_NS4plusIiEEEE10hipError_tPvRmT2_T3_mT4_P12ihipStream_tbEUlT_E_NS1_11comp_targetILNS1_3genE5ELNS1_11target_archE942ELNS1_3gpuE9ELNS1_3repE0EEENS1_30default_config_static_selectorELNS0_4arch9wavefront6targetE1EEEvT1_,"axG",@progbits,_ZN7rocprim17ROCPRIM_400000_NS6detail17trampoline_kernelINS0_14default_configENS1_35adjacent_difference_config_selectorILb1EiEEZNS1_24adjacent_difference_implIS3_Lb1ELb0EPKiPiN6thrust23THRUST_200600_302600_NS4plusIiEEEE10hipError_tPvRmT2_T3_mT4_P12ihipStream_tbEUlT_E_NS1_11comp_targetILNS1_3genE5ELNS1_11target_archE942ELNS1_3gpuE9ELNS1_3repE0EEENS1_30default_config_static_selectorELNS0_4arch9wavefront6targetE1EEEvT1_,comdat
	.protected	_ZN7rocprim17ROCPRIM_400000_NS6detail17trampoline_kernelINS0_14default_configENS1_35adjacent_difference_config_selectorILb1EiEEZNS1_24adjacent_difference_implIS3_Lb1ELb0EPKiPiN6thrust23THRUST_200600_302600_NS4plusIiEEEE10hipError_tPvRmT2_T3_mT4_P12ihipStream_tbEUlT_E_NS1_11comp_targetILNS1_3genE5ELNS1_11target_archE942ELNS1_3gpuE9ELNS1_3repE0EEENS1_30default_config_static_selectorELNS0_4arch9wavefront6targetE1EEEvT1_ ; -- Begin function _ZN7rocprim17ROCPRIM_400000_NS6detail17trampoline_kernelINS0_14default_configENS1_35adjacent_difference_config_selectorILb1EiEEZNS1_24adjacent_difference_implIS3_Lb1ELb0EPKiPiN6thrust23THRUST_200600_302600_NS4plusIiEEEE10hipError_tPvRmT2_T3_mT4_P12ihipStream_tbEUlT_E_NS1_11comp_targetILNS1_3genE5ELNS1_11target_archE942ELNS1_3gpuE9ELNS1_3repE0EEENS1_30default_config_static_selectorELNS0_4arch9wavefront6targetE1EEEvT1_
	.globl	_ZN7rocprim17ROCPRIM_400000_NS6detail17trampoline_kernelINS0_14default_configENS1_35adjacent_difference_config_selectorILb1EiEEZNS1_24adjacent_difference_implIS3_Lb1ELb0EPKiPiN6thrust23THRUST_200600_302600_NS4plusIiEEEE10hipError_tPvRmT2_T3_mT4_P12ihipStream_tbEUlT_E_NS1_11comp_targetILNS1_3genE5ELNS1_11target_archE942ELNS1_3gpuE9ELNS1_3repE0EEENS1_30default_config_static_selectorELNS0_4arch9wavefront6targetE1EEEvT1_
	.p2align	8
	.type	_ZN7rocprim17ROCPRIM_400000_NS6detail17trampoline_kernelINS0_14default_configENS1_35adjacent_difference_config_selectorILb1EiEEZNS1_24adjacent_difference_implIS3_Lb1ELb0EPKiPiN6thrust23THRUST_200600_302600_NS4plusIiEEEE10hipError_tPvRmT2_T3_mT4_P12ihipStream_tbEUlT_E_NS1_11comp_targetILNS1_3genE5ELNS1_11target_archE942ELNS1_3gpuE9ELNS1_3repE0EEENS1_30default_config_static_selectorELNS0_4arch9wavefront6targetE1EEEvT1_,@function
_ZN7rocprim17ROCPRIM_400000_NS6detail17trampoline_kernelINS0_14default_configENS1_35adjacent_difference_config_selectorILb1EiEEZNS1_24adjacent_difference_implIS3_Lb1ELb0EPKiPiN6thrust23THRUST_200600_302600_NS4plusIiEEEE10hipError_tPvRmT2_T3_mT4_P12ihipStream_tbEUlT_E_NS1_11comp_targetILNS1_3genE5ELNS1_11target_archE942ELNS1_3gpuE9ELNS1_3repE0EEENS1_30default_config_static_selectorELNS0_4arch9wavefront6targetE1EEEvT1_: ; @_ZN7rocprim17ROCPRIM_400000_NS6detail17trampoline_kernelINS0_14default_configENS1_35adjacent_difference_config_selectorILb1EiEEZNS1_24adjacent_difference_implIS3_Lb1ELb0EPKiPiN6thrust23THRUST_200600_302600_NS4plusIiEEEE10hipError_tPvRmT2_T3_mT4_P12ihipStream_tbEUlT_E_NS1_11comp_targetILNS1_3genE5ELNS1_11target_archE942ELNS1_3gpuE9ELNS1_3repE0EEENS1_30default_config_static_selectorELNS0_4arch9wavefront6targetE1EEEvT1_
; %bb.0:
	s_load_dwordx8 s[4:11], s[0:1], 0x0
	s_load_dwordx4 s[12:15], s[0:1], 0x28
	s_mov_b32 s0, 0x59999780
	s_movk_i32 s16, 0xa00
	s_mov_b32 s3, 0
	s_waitcnt lgkmcnt(0)
	s_lshl_b64 s[6:7], s[6:7], 2
	s_add_u32 s26, s4, s6
	s_addc_u32 s27, s5, s7
	s_add_u32 s0, 0xe0, s0
	s_addc_u32 s5, 0, 0
	v_add_co_u32_e64 v1, s[0:1], s0, 2.0
	s_cmp_lg_u64 s[0:1], 0
	s_addc_u32 s0, s5, 0x199999
	v_readfirstlane_b32 s5, v1
	s_mul_hi_u32 s17, s5, 0xfffff600
	s_mul_i32 s1, s0, 0xfffff600
	s_sub_i32 s17, s17, s5
	s_add_i32 s17, s17, s1
	s_mul_i32 s19, s5, 0xfffff600
	s_mul_hi_u32 s1, s5, s17
	s_mul_i32 s18, s5, s17
	s_mul_hi_u32 s5, s5, s19
	s_add_u32 s5, s5, s18
	s_addc_u32 s1, 0, s1
	s_mul_hi_u32 s20, s0, s19
	s_mul_i32 s19, s0, s19
	s_add_u32 s5, s5, s19
	s_mul_hi_u32 s18, s0, s17
	s_addc_u32 s1, s1, s20
	s_addc_u32 s5, s18, 0
	s_mul_i32 s17, s0, s17
	s_add_u32 s1, s1, s17
	s_addc_u32 s5, 0, s5
	v_add_co_u32_e32 v1, vcc, s1, v1
	s_cmp_lg_u64 vcc, 0
	s_addc_u32 s0, s0, s5
	v_readfirstlane_b32 s17, v1
	s_mul_i32 s5, s10, s0
	s_mul_hi_u32 s18, s10, s17
	s_mul_hi_u32 s1, s10, s0
	s_add_u32 s5, s18, s5
	s_addc_u32 s1, 0, s1
	s_mul_hi_u32 s19, s11, s17
	s_mul_i32 s17, s11, s17
	s_add_u32 s5, s5, s17
	s_mul_hi_u32 s18, s11, s0
	s_addc_u32 s1, s1, s19
	s_addc_u32 s5, s18, 0
	s_mul_i32 s0, s11, s0
	s_add_u32 s0, s1, s0
	s_addc_u32 s1, 0, s5
	s_add_u32 s5, s0, 1
	s_addc_u32 s17, s1, 0
	s_add_u32 s18, s0, 2
	s_mul_i32 s20, s1, 0xa00
	s_mul_hi_u32 s21, s0, 0xa00
	s_addc_u32 s19, s1, 0
	s_add_i32 s21, s21, s20
	s_mul_i32 s20, s0, 0xa00
	v_mov_b32_e32 v1, s20
	v_sub_co_u32_e32 v1, vcc, s10, v1
	s_cmp_lg_u64 vcc, 0
	s_subb_u32 s20, s11, s21
	v_subrev_co_u32_e32 v2, vcc, s16, v1
	s_cmp_lg_u64 vcc, 0
	s_subb_u32 s16, s20, 0
	v_readfirstlane_b32 s21, v2
	s_cmpk_gt_u32 s21, 0x9ff
	s_cselect_b32 s21, -1, 0
	s_cmp_eq_u32 s16, 0
	s_cselect_b32 s16, s21, -1
	s_cmp_lg_u32 s16, 0
	s_cselect_b32 s16, s19, s17
	v_readfirstlane_b32 s17, v1
	s_cselect_b32 s5, s18, s5
	s_cmpk_gt_u32 s17, 0x9ff
	s_cselect_b32 s17, -1, 0
	s_cmp_eq_u32 s20, 0
	s_cselect_b32 s17, s17, -1
	s_cmp_lg_u32 s17, 0
	s_cselect_b32 s17, s16, s1
	s_cselect_b32 s5, s5, s0
	s_mul_i32 s0, s17, 0xa00
	s_mul_hi_u32 s1, s5, 0xa00
	s_add_i32 s1, s1, s0
	s_mul_i32 s0, s5, 0xa00
	s_sub_u32 s0, s10, s0
	s_subb_u32 s1, s11, s1
	s_cmp_lg_u64 s[0:1], 0
	s_cselect_b64 s[0:1], -1, 0
	v_cndmask_b32_e64 v1, 0, 1, s[0:1]
	s_mul_i32 s4, s2, 0xa00
	v_readfirstlane_b32 s0, v1
	s_add_u32 s16, s5, s0
	s_addc_u32 s17, s17, 0
	s_add_u32 s18, s14, s2
	s_addc_u32 s19, s15, 0
	s_add_u32 s20, s16, -1
	s_addc_u32 s21, s17, -1
	v_mov_b64_e32 v[2:3], s[20:21]
	v_cmp_ge_u64_e64 s[0:1], s[18:19], v[2:3]
	s_mov_b64 s[22:23], -1
	s_and_b64 vcc, exec, s[0:1]
	s_mul_i32 s11, s20, 0xfffff600
	s_cbranch_vccz .LBB585_12
; %bb.1:
	s_mov_b32 s5, s3
	s_add_i32 s28, s11, s10
	s_lshl_b64 s[22:23], s[4:5], 2
	s_add_u32 s22, s26, s22
	s_addc_u32 s23, s27, s23
	v_cmp_gt_u32_e32 vcc, s28, v0
                                        ; implicit-def: $vgpr2_vgpr3_vgpr4_vgpr5_vgpr6
	s_and_saveexec_b64 s[24:25], vcc
	s_cbranch_execz .LBB585_3
; %bb.2:
	v_lshlrev_b32_e32 v1, 2, v0
	global_load_dword v2, v1, s[22:23]
.LBB585_3:
	s_or_b64 exec, exec, s[24:25]
	v_or_b32_e32 v1, 0x200, v0
	v_cmp_gt_u32_e32 vcc, s28, v1
	s_and_saveexec_b64 s[24:25], vcc
	s_cbranch_execz .LBB585_5
; %bb.4:
	v_lshlrev_b32_e32 v1, 2, v0
	global_load_dword v3, v1, s[22:23] offset:2048
.LBB585_5:
	s_or_b64 exec, exec, s[24:25]
	v_or_b32_e32 v1, 0x400, v0
	v_cmp_gt_u32_e32 vcc, s28, v1
	s_and_saveexec_b64 s[24:25], vcc
	s_cbranch_execz .LBB585_7
; %bb.6:
	v_lshlrev_b32_e32 v1, 2, v1
	global_load_dword v4, v1, s[22:23]
.LBB585_7:
	s_or_b64 exec, exec, s[24:25]
	v_or_b32_e32 v1, 0x600, v0
	v_cmp_gt_u32_e32 vcc, s28, v1
	s_and_saveexec_b64 s[24:25], vcc
	s_cbranch_execz .LBB585_9
; %bb.8:
	v_lshlrev_b32_e32 v1, 2, v1
	global_load_dword v5, v1, s[22:23]
.LBB585_9:
	s_or_b64 exec, exec, s[24:25]
	v_or_b32_e32 v1, 0x800, v0
	v_cmp_gt_u32_e32 vcc, s28, v1
	s_and_saveexec_b64 s[24:25], vcc
	s_cbranch_execz .LBB585_11
; %bb.10:
	v_lshlrev_b32_e32 v1, 2, v1
	global_load_dword v6, v1, s[22:23]
.LBB585_11:
	s_or_b64 exec, exec, s[24:25]
	v_lshlrev_b32_e32 v1, 2, v0
	s_mov_b64 s[22:23], 0
	s_waitcnt vmcnt(0)
	ds_write2st64_b32 v1, v2, v3 offset1:8
	ds_write2st64_b32 v1, v4, v5 offset0:16 offset1:24
	ds_write_b32 v1, v6 offset:8192
	s_waitcnt lgkmcnt(0)
	s_barrier
.LBB585_12:
	s_and_b64 vcc, exec, s[22:23]
	v_lshlrev_b32_e32 v20, 2, v0
	s_cbranch_vccz .LBB585_14
; %bb.13:
	s_mov_b32 s5, 0
	s_lshl_b64 s[22:23], s[4:5], 2
	s_add_u32 s22, s26, s22
	s_addc_u32 s23, s27, s23
	v_mov_b32_e32 v21, 0
	v_lshl_add_u64 v[2:3], s[22:23], 0, v[20:21]
	v_add_co_u32_e32 v4, vcc, 0x1000, v2
	global_load_dword v1, v20, s[22:23]
	global_load_dword v6, v20, s[22:23] offset:2048
	v_addc_co_u32_e32 v5, vcc, 0, v3, vcc
	global_load_dword v7, v[4:5], off
	global_load_dword v8, v[4:5], off offset:2048
	v_add_co_u32_e32 v2, vcc, 0x2000, v2
	s_nop 1
	v_addc_co_u32_e32 v3, vcc, 0, v3, vcc
	global_load_dword v2, v[2:3], off
	s_waitcnt vmcnt(3)
	ds_write2st64_b32 v20, v1, v6 offset1:8
	s_waitcnt vmcnt(1)
	ds_write2st64_b32 v20, v7, v8 offset0:16 offset1:24
	s_waitcnt vmcnt(0)
	ds_write_b32 v20, v2 offset:8192
	s_waitcnt lgkmcnt(0)
	s_barrier
.LBB585_14:
	v_mul_u32_u24_e32 v1, 5, v0
	v_lshlrev_b32_e32 v1, 2, v1
	ds_read_b32 v2, v1
	ds_read2_b32 v[22:23], v1 offset0:1 offset1:2
	ds_read2_b32 v[24:25], v1 offset0:3 offset1:4
	s_cmp_eq_u64 s[18:19], 0
	s_waitcnt lgkmcnt(0)
	s_barrier
	s_cbranch_scc1 .LBB585_19
; %bb.15:
	s_lshl_b64 s[14:15], s[14:15], 2
	s_add_u32 s5, s12, s14
	s_addc_u32 s12, s13, s15
	s_lshl_b64 s[2:3], s[2:3], 2
	s_add_u32 s2, s5, s2
	s_addc_u32 s3, s12, s3
	s_add_u32 s2, s2, -4
	s_addc_u32 s3, s3, -1
	s_load_dword s5, s[2:3], 0x0
	s_cmp_eq_u64 s[18:19], s[20:21]
	s_cbranch_scc1 .LBB585_20
; %bb.16:
	v_cmp_ne_u32_e32 vcc, 0, v0
	s_waitcnt lgkmcnt(0)
	v_mov_b32_e32 v1, s5
	ds_write_b32 v20, v25
	s_waitcnt lgkmcnt(0)
	s_barrier
	s_and_saveexec_b64 s[2:3], vcc
	s_cbranch_execz .LBB585_18
; %bb.17:
	v_add_u32_e32 v1, -4, v20
	ds_read_b32 v1, v1
.LBB585_18:
	s_or_b64 exec, exec, s[2:3]
	v_add_u32_e32 v8, v25, v24
	v_add_u32_e32 v9, v24, v23
	;; [unrolled: 1-line block ×4, first 2 shown]
	s_cbranch_execz .LBB585_21
	s_branch .LBB585_24
.LBB585_19:
                                        ; implicit-def: $vgpr14_vgpr15_vgpr16_vgpr17_vgpr18
                                        ; implicit-def: $vgpr10_vgpr11_vgpr12_vgpr13_vgpr14
	s_mov_b64 s[12:13], 0
                                        ; implicit-def: $vgpr6_vgpr7_vgpr8_vgpr9_vgpr10
                                        ; implicit-def: $vgpr1
                                        ; implicit-def: $vgpr4_vgpr5_vgpr6_vgpr7_vgpr8
	s_branch .LBB585_25
.LBB585_20:
                                        ; implicit-def: $vgpr14_vgpr15_vgpr16_vgpr17_vgpr18
                                        ; implicit-def: $vgpr10_vgpr11_vgpr12_vgpr13_vgpr14
                                        ; implicit-def: $vgpr1
                                        ; implicit-def: $vgpr6_vgpr7_vgpr8_vgpr9_vgpr10
                                        ; implicit-def: $vgpr4_vgpr5_vgpr6_vgpr7_vgpr8
.LBB585_21:
	s_waitcnt lgkmcnt(0)
	v_mul_u32_u24_e32 v1, 5, v0
	v_cmp_ne_u32_e32 vcc, 0, v0
	v_mov_b32_e32 v3, s5
	ds_write_b32 v20, v25
	s_waitcnt lgkmcnt(0)
	s_barrier
	s_and_saveexec_b64 s[2:3], vcc
	s_cbranch_execz .LBB585_23
; %bb.22:
	v_add_u32_e32 v3, -4, v20
	ds_read_b32 v3, v3
.LBB585_23:
	s_or_b64 exec, exec, s[2:3]
	s_mul_i32 s2, s18, 0xfffff600
	s_add_i32 s2, s2, s10
	v_add_u32_e32 v4, 4, v1
	v_add_u32_e32 v5, v25, v24
	v_cmp_gt_u32_e32 vcc, s2, v4
	v_add_u32_e32 v4, 3, v1
	s_nop 0
	v_cndmask_b32_e32 v8, v25, v5, vcc
	v_add_u32_e32 v5, v24, v23
	v_cmp_gt_u32_e32 vcc, s2, v4
	v_add_u32_e32 v4, 2, v1
	s_nop 0
	v_cndmask_b32_e32 v9, v24, v5, vcc
	v_add_u32_e32 v5, v23, v22
	v_cmp_gt_u32_e32 vcc, s2, v4
	v_add_u32_e32 v4, 1, v1
	s_nop 0
	v_cndmask_b32_e32 v12, v23, v5, vcc
	v_add_u32_e32 v5, v22, v2
	v_cmp_gt_u32_e32 vcc, s2, v4
	s_nop 1
	v_cndmask_b32_e32 v15, v22, v5, vcc
	v_cmp_gt_u32_e32 vcc, s2, v1
	s_waitcnt lgkmcnt(0)
	s_nop 0
	v_cndmask_b32_e32 v1, 0, v3, vcc
.LBB585_24:
	s_mov_b64 s[12:13], -1
	s_cbranch_execnz .LBB585_33
.LBB585_25:
	s_cmp_lg_u64 s[16:17], 1
	v_add_u32_e32 v9, v24, v23
	v_add_u32_e32 v8, v25, v24
	;; [unrolled: 1-line block ×4, first 2 shown]
	v_cmp_ne_u32_e32 vcc, 0, v0
	s_cbranch_scc0 .LBB585_29
; %bb.26:
	ds_write_b32 v20, v25
	s_waitcnt lgkmcnt(0)
	s_barrier
	s_waitcnt lgkmcnt(0)
                                        ; implicit-def: $vgpr1
	s_and_saveexec_b64 s[2:3], vcc
	s_cbranch_execz .LBB585_28
; %bb.27:
	v_add_u32_e32 v1, -4, v20
	ds_read_b32 v1, v1
	s_or_b64 s[12:13], s[12:13], exec
.LBB585_28:
	s_or_b64 exec, exec, s[2:3]
	s_branch .LBB585_33
.LBB585_29:
                                        ; implicit-def: $vgpr1
	s_cbranch_execz .LBB585_33
; %bb.30:
	v_mad_u32_u24 v3, v0, 5, 4
	v_cmp_gt_u32_e32 vcc, s10, v3
	v_mad_u32_u24 v3, v0, 5, 3
	s_waitcnt lgkmcnt(0)
	v_mul_u32_u24_e32 v1, 5, v0
	v_cndmask_b32_e32 v8, v25, v8, vcc
	v_cmp_gt_u32_e32 vcc, s10, v3
	v_mad_u32_u24 v3, v0, 5, 2
	v_cmp_gt_u32_e64 s[2:3], s10, v1
	v_cndmask_b32_e32 v9, v24, v9, vcc
	v_cmp_gt_u32_e32 vcc, s10, v3
	v_mad_u32_u24 v3, v0, 5, 1
	ds_write_b32 v20, v25
	v_cndmask_b32_e32 v12, v23, v12, vcc
	v_cmp_gt_u32_e32 vcc, s10, v3
	s_waitcnt lgkmcnt(0)
	s_barrier
	v_cndmask_b32_e32 v15, v22, v15, vcc
	v_cmp_ne_u32_e32 vcc, 0, v0
	s_and_b64 s[14:15], vcc, s[2:3]
	s_waitcnt lgkmcnt(0)
                                        ; implicit-def: $vgpr1
	s_and_saveexec_b64 s[2:3], s[14:15]
	s_cbranch_execz .LBB585_32
; %bb.31:
	v_add_u32_e32 v1, -4, v20
	ds_read_b32 v1, v1
	s_or_b64 s[12:13], s[12:13], exec
.LBB585_32:
	s_or_b64 exec, exec, s[2:3]
.LBB585_33:
	s_and_saveexec_b64 s[2:3], s[12:13]
	s_cbranch_execz .LBB585_35
; %bb.34:
	s_waitcnt lgkmcnt(0)
	v_add_u32_e32 v2, v1, v2
.LBB585_35:
	s_or_b64 exec, exec, s[2:3]
	s_add_u32 s6, s8, s6
	s_addc_u32 s7, s9, s7
	s_and_b64 vcc, exec, s[0:1]
	s_waitcnt lgkmcnt(0)
	v_mul_u32_u24_e32 v1, 20, v0
	v_lshlrev_b32_e32 v3, 4, v0
	s_barrier
	s_cbranch_vccz .LBB585_45
; %bb.36:
	v_sub_u32_e32 v4, v1, v3
	s_mov_b32 s5, 0
	ds_write2_b32 v1, v2, v15 offset1:1
	ds_write2_b32 v1, v12, v9 offset0:2 offset1:3
	ds_write_b32 v1, v8 offset:16
	s_waitcnt lgkmcnt(0)
	s_barrier
	ds_read2st64_b32 v[10:11], v4 offset0:8 offset1:16
	ds_read2st64_b32 v[4:5], v4 offset0:24 offset1:32
	s_add_i32 s11, s11, s10
	s_lshl_b64 s[0:1], s[4:5], 2
	s_add_u32 s0, s6, s0
	s_addc_u32 s1, s7, s1
	v_mov_b32_e32 v21, 0
	v_lshl_add_u64 v[6:7], s[0:1], 0, v[20:21]
	v_cmp_gt_u32_e32 vcc, s11, v0
	s_and_saveexec_b64 s[0:1], vcc
	s_cbranch_execz .LBB585_38
; %bb.37:
	v_sub_u32_e32 v13, 0, v3
	v_add_u32_e32 v13, v1, v13
	ds_read_b32 v13, v13
	s_waitcnt lgkmcnt(0)
	global_store_dword v[6:7], v13, off
.LBB585_38:
	s_or_b64 exec, exec, s[0:1]
	v_or_b32_e32 v13, 0x200, v0
	v_cmp_gt_u32_e32 vcc, s11, v13
	s_and_saveexec_b64 s[0:1], vcc
	s_cbranch_execz .LBB585_40
; %bb.39:
	s_waitcnt lgkmcnt(1)
	global_store_dword v[6:7], v10, off offset:2048
.LBB585_40:
	s_or_b64 exec, exec, s[0:1]
	s_waitcnt lgkmcnt(1)
	v_or_b32_e32 v10, 0x400, v0
	v_cmp_gt_u32_e32 vcc, s11, v10
	s_and_saveexec_b64 s[0:1], vcc
	s_cbranch_execz .LBB585_42
; %bb.41:
	v_add_co_u32_e32 v16, vcc, 0x1000, v6
	s_nop 1
	v_addc_co_u32_e32 v17, vcc, 0, v7, vcc
	global_store_dword v[16:17], v11, off
.LBB585_42:
	s_or_b64 exec, exec, s[0:1]
	v_or_b32_e32 v10, 0x600, v0
	v_cmp_gt_u32_e32 vcc, s11, v10
	s_and_saveexec_b64 s[0:1], vcc
	s_cbranch_execz .LBB585_44
; %bb.43:
	v_add_co_u32_e32 v10, vcc, 0x1000, v6
	s_nop 1
	v_addc_co_u32_e32 v11, vcc, 0, v7, vcc
	s_waitcnt lgkmcnt(0)
	global_store_dword v[10:11], v4, off offset:2048
.LBB585_44:
	s_or_b64 exec, exec, s[0:1]
	v_or_b32_e32 v0, 0x800, v0
	v_cmp_gt_u32_e64 s[0:1], s11, v0
	s_branch .LBB585_47
.LBB585_45:
	s_mov_b64 s[0:1], 0
                                        ; implicit-def: $vgpr5
                                        ; implicit-def: $vgpr6_vgpr7
	s_cbranch_execz .LBB585_47
; %bb.46:
	s_mov_b32 s5, 0
	s_lshl_b64 s[2:3], s[4:5], 2
	s_waitcnt lgkmcnt(0)
	v_sub_u32_e32 v4, v1, v3
	s_add_u32 s2, s6, s2
	ds_write2_b32 v1, v2, v15 offset1:1
	ds_write2_b32 v1, v12, v9 offset0:2 offset1:3
	ds_write_b32 v1, v8 offset:16
	s_waitcnt lgkmcnt(0)
	s_barrier
	ds_read2st64_b32 v[0:1], v4 offset1:8
	ds_read2st64_b32 v[2:3], v4 offset0:16 offset1:24
	ds_read_b32 v5, v4 offset:8192
	s_addc_u32 s3, s7, s3
	v_mov_b32_e32 v21, 0
	v_lshl_add_u64 v[6:7], s[2:3], 0, v[20:21]
	s_waitcnt lgkmcnt(2)
	global_store_dword v20, v0, s[2:3]
	global_store_dword v20, v1, s[2:3] offset:2048
	v_add_co_u32_e32 v0, vcc, 0x1000, v6
	s_or_b64 s[0:1], s[0:1], exec
	s_nop 0
	v_addc_co_u32_e32 v1, vcc, 0, v7, vcc
	s_waitcnt lgkmcnt(1)
	global_store_dword v[0:1], v2, off
	global_store_dword v[0:1], v3, off offset:2048
.LBB585_47:
	s_and_saveexec_b64 s[2:3], s[0:1]
	s_cbranch_execnz .LBB585_49
; %bb.48:
	s_endpgm
.LBB585_49:
	v_add_co_u32_e32 v0, vcc, 0x2000, v6
	s_nop 1
	v_addc_co_u32_e32 v1, vcc, 0, v7, vcc
	s_waitcnt lgkmcnt(0)
	global_store_dword v[0:1], v5, off
	s_endpgm
	.section	.rodata,"a",@progbits
	.p2align	6, 0x0
	.amdhsa_kernel _ZN7rocprim17ROCPRIM_400000_NS6detail17trampoline_kernelINS0_14default_configENS1_35adjacent_difference_config_selectorILb1EiEEZNS1_24adjacent_difference_implIS3_Lb1ELb0EPKiPiN6thrust23THRUST_200600_302600_NS4plusIiEEEE10hipError_tPvRmT2_T3_mT4_P12ihipStream_tbEUlT_E_NS1_11comp_targetILNS1_3genE5ELNS1_11target_archE942ELNS1_3gpuE9ELNS1_3repE0EEENS1_30default_config_static_selectorELNS0_4arch9wavefront6targetE1EEEvT1_
		.amdhsa_group_segment_fixed_size 10240
		.amdhsa_private_segment_fixed_size 0
		.amdhsa_kernarg_size 56
		.amdhsa_user_sgpr_count 2
		.amdhsa_user_sgpr_dispatch_ptr 0
		.amdhsa_user_sgpr_queue_ptr 0
		.amdhsa_user_sgpr_kernarg_segment_ptr 1
		.amdhsa_user_sgpr_dispatch_id 0
		.amdhsa_user_sgpr_kernarg_preload_length 0
		.amdhsa_user_sgpr_kernarg_preload_offset 0
		.amdhsa_user_sgpr_private_segment_size 0
		.amdhsa_uses_dynamic_stack 0
		.amdhsa_enable_private_segment 0
		.amdhsa_system_sgpr_workgroup_id_x 1
		.amdhsa_system_sgpr_workgroup_id_y 0
		.amdhsa_system_sgpr_workgroup_id_z 0
		.amdhsa_system_sgpr_workgroup_info 0
		.amdhsa_system_vgpr_workitem_id 0
		.amdhsa_next_free_vgpr 26
		.amdhsa_next_free_sgpr 29
		.amdhsa_accum_offset 28
		.amdhsa_reserve_vcc 1
		.amdhsa_float_round_mode_32 0
		.amdhsa_float_round_mode_16_64 0
		.amdhsa_float_denorm_mode_32 3
		.amdhsa_float_denorm_mode_16_64 3
		.amdhsa_dx10_clamp 1
		.amdhsa_ieee_mode 1
		.amdhsa_fp16_overflow 0
		.amdhsa_tg_split 0
		.amdhsa_exception_fp_ieee_invalid_op 0
		.amdhsa_exception_fp_denorm_src 0
		.amdhsa_exception_fp_ieee_div_zero 0
		.amdhsa_exception_fp_ieee_overflow 0
		.amdhsa_exception_fp_ieee_underflow 0
		.amdhsa_exception_fp_ieee_inexact 0
		.amdhsa_exception_int_div_zero 0
	.end_amdhsa_kernel
	.section	.text._ZN7rocprim17ROCPRIM_400000_NS6detail17trampoline_kernelINS0_14default_configENS1_35adjacent_difference_config_selectorILb1EiEEZNS1_24adjacent_difference_implIS3_Lb1ELb0EPKiPiN6thrust23THRUST_200600_302600_NS4plusIiEEEE10hipError_tPvRmT2_T3_mT4_P12ihipStream_tbEUlT_E_NS1_11comp_targetILNS1_3genE5ELNS1_11target_archE942ELNS1_3gpuE9ELNS1_3repE0EEENS1_30default_config_static_selectorELNS0_4arch9wavefront6targetE1EEEvT1_,"axG",@progbits,_ZN7rocprim17ROCPRIM_400000_NS6detail17trampoline_kernelINS0_14default_configENS1_35adjacent_difference_config_selectorILb1EiEEZNS1_24adjacent_difference_implIS3_Lb1ELb0EPKiPiN6thrust23THRUST_200600_302600_NS4plusIiEEEE10hipError_tPvRmT2_T3_mT4_P12ihipStream_tbEUlT_E_NS1_11comp_targetILNS1_3genE5ELNS1_11target_archE942ELNS1_3gpuE9ELNS1_3repE0EEENS1_30default_config_static_selectorELNS0_4arch9wavefront6targetE1EEEvT1_,comdat
.Lfunc_end585:
	.size	_ZN7rocprim17ROCPRIM_400000_NS6detail17trampoline_kernelINS0_14default_configENS1_35adjacent_difference_config_selectorILb1EiEEZNS1_24adjacent_difference_implIS3_Lb1ELb0EPKiPiN6thrust23THRUST_200600_302600_NS4plusIiEEEE10hipError_tPvRmT2_T3_mT4_P12ihipStream_tbEUlT_E_NS1_11comp_targetILNS1_3genE5ELNS1_11target_archE942ELNS1_3gpuE9ELNS1_3repE0EEENS1_30default_config_static_selectorELNS0_4arch9wavefront6targetE1EEEvT1_, .Lfunc_end585-_ZN7rocprim17ROCPRIM_400000_NS6detail17trampoline_kernelINS0_14default_configENS1_35adjacent_difference_config_selectorILb1EiEEZNS1_24adjacent_difference_implIS3_Lb1ELb0EPKiPiN6thrust23THRUST_200600_302600_NS4plusIiEEEE10hipError_tPvRmT2_T3_mT4_P12ihipStream_tbEUlT_E_NS1_11comp_targetILNS1_3genE5ELNS1_11target_archE942ELNS1_3gpuE9ELNS1_3repE0EEENS1_30default_config_static_selectorELNS0_4arch9wavefront6targetE1EEEvT1_
                                        ; -- End function
	.section	.AMDGPU.csdata,"",@progbits
; Kernel info:
; codeLenInByte = 2004
; NumSgprs: 35
; NumVgprs: 26
; NumAgprs: 0
; TotalNumVgprs: 26
; ScratchSize: 0
; MemoryBound: 0
; FloatMode: 240
; IeeeMode: 1
; LDSByteSize: 10240 bytes/workgroup (compile time only)
; SGPRBlocks: 4
; VGPRBlocks: 3
; NumSGPRsForWavesPerEU: 35
; NumVGPRsForWavesPerEU: 26
; AccumOffset: 28
; Occupancy: 8
; WaveLimiterHint : 1
; COMPUTE_PGM_RSRC2:SCRATCH_EN: 0
; COMPUTE_PGM_RSRC2:USER_SGPR: 2
; COMPUTE_PGM_RSRC2:TRAP_HANDLER: 0
; COMPUTE_PGM_RSRC2:TGID_X_EN: 1
; COMPUTE_PGM_RSRC2:TGID_Y_EN: 0
; COMPUTE_PGM_RSRC2:TGID_Z_EN: 0
; COMPUTE_PGM_RSRC2:TIDIG_COMP_CNT: 0
; COMPUTE_PGM_RSRC3_GFX90A:ACCUM_OFFSET: 6
; COMPUTE_PGM_RSRC3_GFX90A:TG_SPLIT: 0
	.section	.text._ZN7rocprim17ROCPRIM_400000_NS6detail17trampoline_kernelINS0_14default_configENS1_35adjacent_difference_config_selectorILb1EiEEZNS1_24adjacent_difference_implIS3_Lb1ELb0EPKiPiN6thrust23THRUST_200600_302600_NS4plusIiEEEE10hipError_tPvRmT2_T3_mT4_P12ihipStream_tbEUlT_E_NS1_11comp_targetILNS1_3genE4ELNS1_11target_archE910ELNS1_3gpuE8ELNS1_3repE0EEENS1_30default_config_static_selectorELNS0_4arch9wavefront6targetE1EEEvT1_,"axG",@progbits,_ZN7rocprim17ROCPRIM_400000_NS6detail17trampoline_kernelINS0_14default_configENS1_35adjacent_difference_config_selectorILb1EiEEZNS1_24adjacent_difference_implIS3_Lb1ELb0EPKiPiN6thrust23THRUST_200600_302600_NS4plusIiEEEE10hipError_tPvRmT2_T3_mT4_P12ihipStream_tbEUlT_E_NS1_11comp_targetILNS1_3genE4ELNS1_11target_archE910ELNS1_3gpuE8ELNS1_3repE0EEENS1_30default_config_static_selectorELNS0_4arch9wavefront6targetE1EEEvT1_,comdat
	.protected	_ZN7rocprim17ROCPRIM_400000_NS6detail17trampoline_kernelINS0_14default_configENS1_35adjacent_difference_config_selectorILb1EiEEZNS1_24adjacent_difference_implIS3_Lb1ELb0EPKiPiN6thrust23THRUST_200600_302600_NS4plusIiEEEE10hipError_tPvRmT2_T3_mT4_P12ihipStream_tbEUlT_E_NS1_11comp_targetILNS1_3genE4ELNS1_11target_archE910ELNS1_3gpuE8ELNS1_3repE0EEENS1_30default_config_static_selectorELNS0_4arch9wavefront6targetE1EEEvT1_ ; -- Begin function _ZN7rocprim17ROCPRIM_400000_NS6detail17trampoline_kernelINS0_14default_configENS1_35adjacent_difference_config_selectorILb1EiEEZNS1_24adjacent_difference_implIS3_Lb1ELb0EPKiPiN6thrust23THRUST_200600_302600_NS4plusIiEEEE10hipError_tPvRmT2_T3_mT4_P12ihipStream_tbEUlT_E_NS1_11comp_targetILNS1_3genE4ELNS1_11target_archE910ELNS1_3gpuE8ELNS1_3repE0EEENS1_30default_config_static_selectorELNS0_4arch9wavefront6targetE1EEEvT1_
	.globl	_ZN7rocprim17ROCPRIM_400000_NS6detail17trampoline_kernelINS0_14default_configENS1_35adjacent_difference_config_selectorILb1EiEEZNS1_24adjacent_difference_implIS3_Lb1ELb0EPKiPiN6thrust23THRUST_200600_302600_NS4plusIiEEEE10hipError_tPvRmT2_T3_mT4_P12ihipStream_tbEUlT_E_NS1_11comp_targetILNS1_3genE4ELNS1_11target_archE910ELNS1_3gpuE8ELNS1_3repE0EEENS1_30default_config_static_selectorELNS0_4arch9wavefront6targetE1EEEvT1_
	.p2align	8
	.type	_ZN7rocprim17ROCPRIM_400000_NS6detail17trampoline_kernelINS0_14default_configENS1_35adjacent_difference_config_selectorILb1EiEEZNS1_24adjacent_difference_implIS3_Lb1ELb0EPKiPiN6thrust23THRUST_200600_302600_NS4plusIiEEEE10hipError_tPvRmT2_T3_mT4_P12ihipStream_tbEUlT_E_NS1_11comp_targetILNS1_3genE4ELNS1_11target_archE910ELNS1_3gpuE8ELNS1_3repE0EEENS1_30default_config_static_selectorELNS0_4arch9wavefront6targetE1EEEvT1_,@function
_ZN7rocprim17ROCPRIM_400000_NS6detail17trampoline_kernelINS0_14default_configENS1_35adjacent_difference_config_selectorILb1EiEEZNS1_24adjacent_difference_implIS3_Lb1ELb0EPKiPiN6thrust23THRUST_200600_302600_NS4plusIiEEEE10hipError_tPvRmT2_T3_mT4_P12ihipStream_tbEUlT_E_NS1_11comp_targetILNS1_3genE4ELNS1_11target_archE910ELNS1_3gpuE8ELNS1_3repE0EEENS1_30default_config_static_selectorELNS0_4arch9wavefront6targetE1EEEvT1_: ; @_ZN7rocprim17ROCPRIM_400000_NS6detail17trampoline_kernelINS0_14default_configENS1_35adjacent_difference_config_selectorILb1EiEEZNS1_24adjacent_difference_implIS3_Lb1ELb0EPKiPiN6thrust23THRUST_200600_302600_NS4plusIiEEEE10hipError_tPvRmT2_T3_mT4_P12ihipStream_tbEUlT_E_NS1_11comp_targetILNS1_3genE4ELNS1_11target_archE910ELNS1_3gpuE8ELNS1_3repE0EEENS1_30default_config_static_selectorELNS0_4arch9wavefront6targetE1EEEvT1_
; %bb.0:
	.section	.rodata,"a",@progbits
	.p2align	6, 0x0
	.amdhsa_kernel _ZN7rocprim17ROCPRIM_400000_NS6detail17trampoline_kernelINS0_14default_configENS1_35adjacent_difference_config_selectorILb1EiEEZNS1_24adjacent_difference_implIS3_Lb1ELb0EPKiPiN6thrust23THRUST_200600_302600_NS4plusIiEEEE10hipError_tPvRmT2_T3_mT4_P12ihipStream_tbEUlT_E_NS1_11comp_targetILNS1_3genE4ELNS1_11target_archE910ELNS1_3gpuE8ELNS1_3repE0EEENS1_30default_config_static_selectorELNS0_4arch9wavefront6targetE1EEEvT1_
		.amdhsa_group_segment_fixed_size 0
		.amdhsa_private_segment_fixed_size 0
		.amdhsa_kernarg_size 56
		.amdhsa_user_sgpr_count 2
		.amdhsa_user_sgpr_dispatch_ptr 0
		.amdhsa_user_sgpr_queue_ptr 0
		.amdhsa_user_sgpr_kernarg_segment_ptr 1
		.amdhsa_user_sgpr_dispatch_id 0
		.amdhsa_user_sgpr_kernarg_preload_length 0
		.amdhsa_user_sgpr_kernarg_preload_offset 0
		.amdhsa_user_sgpr_private_segment_size 0
		.amdhsa_uses_dynamic_stack 0
		.amdhsa_enable_private_segment 0
		.amdhsa_system_sgpr_workgroup_id_x 1
		.amdhsa_system_sgpr_workgroup_id_y 0
		.amdhsa_system_sgpr_workgroup_id_z 0
		.amdhsa_system_sgpr_workgroup_info 0
		.amdhsa_system_vgpr_workitem_id 0
		.amdhsa_next_free_vgpr 1
		.amdhsa_next_free_sgpr 0
		.amdhsa_accum_offset 4
		.amdhsa_reserve_vcc 0
		.amdhsa_float_round_mode_32 0
		.amdhsa_float_round_mode_16_64 0
		.amdhsa_float_denorm_mode_32 3
		.amdhsa_float_denorm_mode_16_64 3
		.amdhsa_dx10_clamp 1
		.amdhsa_ieee_mode 1
		.amdhsa_fp16_overflow 0
		.amdhsa_tg_split 0
		.amdhsa_exception_fp_ieee_invalid_op 0
		.amdhsa_exception_fp_denorm_src 0
		.amdhsa_exception_fp_ieee_div_zero 0
		.amdhsa_exception_fp_ieee_overflow 0
		.amdhsa_exception_fp_ieee_underflow 0
		.amdhsa_exception_fp_ieee_inexact 0
		.amdhsa_exception_int_div_zero 0
	.end_amdhsa_kernel
	.section	.text._ZN7rocprim17ROCPRIM_400000_NS6detail17trampoline_kernelINS0_14default_configENS1_35adjacent_difference_config_selectorILb1EiEEZNS1_24adjacent_difference_implIS3_Lb1ELb0EPKiPiN6thrust23THRUST_200600_302600_NS4plusIiEEEE10hipError_tPvRmT2_T3_mT4_P12ihipStream_tbEUlT_E_NS1_11comp_targetILNS1_3genE4ELNS1_11target_archE910ELNS1_3gpuE8ELNS1_3repE0EEENS1_30default_config_static_selectorELNS0_4arch9wavefront6targetE1EEEvT1_,"axG",@progbits,_ZN7rocprim17ROCPRIM_400000_NS6detail17trampoline_kernelINS0_14default_configENS1_35adjacent_difference_config_selectorILb1EiEEZNS1_24adjacent_difference_implIS3_Lb1ELb0EPKiPiN6thrust23THRUST_200600_302600_NS4plusIiEEEE10hipError_tPvRmT2_T3_mT4_P12ihipStream_tbEUlT_E_NS1_11comp_targetILNS1_3genE4ELNS1_11target_archE910ELNS1_3gpuE8ELNS1_3repE0EEENS1_30default_config_static_selectorELNS0_4arch9wavefront6targetE1EEEvT1_,comdat
.Lfunc_end586:
	.size	_ZN7rocprim17ROCPRIM_400000_NS6detail17trampoline_kernelINS0_14default_configENS1_35adjacent_difference_config_selectorILb1EiEEZNS1_24adjacent_difference_implIS3_Lb1ELb0EPKiPiN6thrust23THRUST_200600_302600_NS4plusIiEEEE10hipError_tPvRmT2_T3_mT4_P12ihipStream_tbEUlT_E_NS1_11comp_targetILNS1_3genE4ELNS1_11target_archE910ELNS1_3gpuE8ELNS1_3repE0EEENS1_30default_config_static_selectorELNS0_4arch9wavefront6targetE1EEEvT1_, .Lfunc_end586-_ZN7rocprim17ROCPRIM_400000_NS6detail17trampoline_kernelINS0_14default_configENS1_35adjacent_difference_config_selectorILb1EiEEZNS1_24adjacent_difference_implIS3_Lb1ELb0EPKiPiN6thrust23THRUST_200600_302600_NS4plusIiEEEE10hipError_tPvRmT2_T3_mT4_P12ihipStream_tbEUlT_E_NS1_11comp_targetILNS1_3genE4ELNS1_11target_archE910ELNS1_3gpuE8ELNS1_3repE0EEENS1_30default_config_static_selectorELNS0_4arch9wavefront6targetE1EEEvT1_
                                        ; -- End function
	.section	.AMDGPU.csdata,"",@progbits
; Kernel info:
; codeLenInByte = 0
; NumSgprs: 6
; NumVgprs: 0
; NumAgprs: 0
; TotalNumVgprs: 0
; ScratchSize: 0
; MemoryBound: 0
; FloatMode: 240
; IeeeMode: 1
; LDSByteSize: 0 bytes/workgroup (compile time only)
; SGPRBlocks: 0
; VGPRBlocks: 0
; NumSGPRsForWavesPerEU: 6
; NumVGPRsForWavesPerEU: 1
; AccumOffset: 4
; Occupancy: 8
; WaveLimiterHint : 0
; COMPUTE_PGM_RSRC2:SCRATCH_EN: 0
; COMPUTE_PGM_RSRC2:USER_SGPR: 2
; COMPUTE_PGM_RSRC2:TRAP_HANDLER: 0
; COMPUTE_PGM_RSRC2:TGID_X_EN: 1
; COMPUTE_PGM_RSRC2:TGID_Y_EN: 0
; COMPUTE_PGM_RSRC2:TGID_Z_EN: 0
; COMPUTE_PGM_RSRC2:TIDIG_COMP_CNT: 0
; COMPUTE_PGM_RSRC3_GFX90A:ACCUM_OFFSET: 0
; COMPUTE_PGM_RSRC3_GFX90A:TG_SPLIT: 0
	.section	.text._ZN7rocprim17ROCPRIM_400000_NS6detail17trampoline_kernelINS0_14default_configENS1_35adjacent_difference_config_selectorILb1EiEEZNS1_24adjacent_difference_implIS3_Lb1ELb0EPKiPiN6thrust23THRUST_200600_302600_NS4plusIiEEEE10hipError_tPvRmT2_T3_mT4_P12ihipStream_tbEUlT_E_NS1_11comp_targetILNS1_3genE3ELNS1_11target_archE908ELNS1_3gpuE7ELNS1_3repE0EEENS1_30default_config_static_selectorELNS0_4arch9wavefront6targetE1EEEvT1_,"axG",@progbits,_ZN7rocprim17ROCPRIM_400000_NS6detail17trampoline_kernelINS0_14default_configENS1_35adjacent_difference_config_selectorILb1EiEEZNS1_24adjacent_difference_implIS3_Lb1ELb0EPKiPiN6thrust23THRUST_200600_302600_NS4plusIiEEEE10hipError_tPvRmT2_T3_mT4_P12ihipStream_tbEUlT_E_NS1_11comp_targetILNS1_3genE3ELNS1_11target_archE908ELNS1_3gpuE7ELNS1_3repE0EEENS1_30default_config_static_selectorELNS0_4arch9wavefront6targetE1EEEvT1_,comdat
	.protected	_ZN7rocprim17ROCPRIM_400000_NS6detail17trampoline_kernelINS0_14default_configENS1_35adjacent_difference_config_selectorILb1EiEEZNS1_24adjacent_difference_implIS3_Lb1ELb0EPKiPiN6thrust23THRUST_200600_302600_NS4plusIiEEEE10hipError_tPvRmT2_T3_mT4_P12ihipStream_tbEUlT_E_NS1_11comp_targetILNS1_3genE3ELNS1_11target_archE908ELNS1_3gpuE7ELNS1_3repE0EEENS1_30default_config_static_selectorELNS0_4arch9wavefront6targetE1EEEvT1_ ; -- Begin function _ZN7rocprim17ROCPRIM_400000_NS6detail17trampoline_kernelINS0_14default_configENS1_35adjacent_difference_config_selectorILb1EiEEZNS1_24adjacent_difference_implIS3_Lb1ELb0EPKiPiN6thrust23THRUST_200600_302600_NS4plusIiEEEE10hipError_tPvRmT2_T3_mT4_P12ihipStream_tbEUlT_E_NS1_11comp_targetILNS1_3genE3ELNS1_11target_archE908ELNS1_3gpuE7ELNS1_3repE0EEENS1_30default_config_static_selectorELNS0_4arch9wavefront6targetE1EEEvT1_
	.globl	_ZN7rocprim17ROCPRIM_400000_NS6detail17trampoline_kernelINS0_14default_configENS1_35adjacent_difference_config_selectorILb1EiEEZNS1_24adjacent_difference_implIS3_Lb1ELb0EPKiPiN6thrust23THRUST_200600_302600_NS4plusIiEEEE10hipError_tPvRmT2_T3_mT4_P12ihipStream_tbEUlT_E_NS1_11comp_targetILNS1_3genE3ELNS1_11target_archE908ELNS1_3gpuE7ELNS1_3repE0EEENS1_30default_config_static_selectorELNS0_4arch9wavefront6targetE1EEEvT1_
	.p2align	8
	.type	_ZN7rocprim17ROCPRIM_400000_NS6detail17trampoline_kernelINS0_14default_configENS1_35adjacent_difference_config_selectorILb1EiEEZNS1_24adjacent_difference_implIS3_Lb1ELb0EPKiPiN6thrust23THRUST_200600_302600_NS4plusIiEEEE10hipError_tPvRmT2_T3_mT4_P12ihipStream_tbEUlT_E_NS1_11comp_targetILNS1_3genE3ELNS1_11target_archE908ELNS1_3gpuE7ELNS1_3repE0EEENS1_30default_config_static_selectorELNS0_4arch9wavefront6targetE1EEEvT1_,@function
_ZN7rocprim17ROCPRIM_400000_NS6detail17trampoline_kernelINS0_14default_configENS1_35adjacent_difference_config_selectorILb1EiEEZNS1_24adjacent_difference_implIS3_Lb1ELb0EPKiPiN6thrust23THRUST_200600_302600_NS4plusIiEEEE10hipError_tPvRmT2_T3_mT4_P12ihipStream_tbEUlT_E_NS1_11comp_targetILNS1_3genE3ELNS1_11target_archE908ELNS1_3gpuE7ELNS1_3repE0EEENS1_30default_config_static_selectorELNS0_4arch9wavefront6targetE1EEEvT1_: ; @_ZN7rocprim17ROCPRIM_400000_NS6detail17trampoline_kernelINS0_14default_configENS1_35adjacent_difference_config_selectorILb1EiEEZNS1_24adjacent_difference_implIS3_Lb1ELb0EPKiPiN6thrust23THRUST_200600_302600_NS4plusIiEEEE10hipError_tPvRmT2_T3_mT4_P12ihipStream_tbEUlT_E_NS1_11comp_targetILNS1_3genE3ELNS1_11target_archE908ELNS1_3gpuE7ELNS1_3repE0EEENS1_30default_config_static_selectorELNS0_4arch9wavefront6targetE1EEEvT1_
; %bb.0:
	.section	.rodata,"a",@progbits
	.p2align	6, 0x0
	.amdhsa_kernel _ZN7rocprim17ROCPRIM_400000_NS6detail17trampoline_kernelINS0_14default_configENS1_35adjacent_difference_config_selectorILb1EiEEZNS1_24adjacent_difference_implIS3_Lb1ELb0EPKiPiN6thrust23THRUST_200600_302600_NS4plusIiEEEE10hipError_tPvRmT2_T3_mT4_P12ihipStream_tbEUlT_E_NS1_11comp_targetILNS1_3genE3ELNS1_11target_archE908ELNS1_3gpuE7ELNS1_3repE0EEENS1_30default_config_static_selectorELNS0_4arch9wavefront6targetE1EEEvT1_
		.amdhsa_group_segment_fixed_size 0
		.amdhsa_private_segment_fixed_size 0
		.amdhsa_kernarg_size 56
		.amdhsa_user_sgpr_count 2
		.amdhsa_user_sgpr_dispatch_ptr 0
		.amdhsa_user_sgpr_queue_ptr 0
		.amdhsa_user_sgpr_kernarg_segment_ptr 1
		.amdhsa_user_sgpr_dispatch_id 0
		.amdhsa_user_sgpr_kernarg_preload_length 0
		.amdhsa_user_sgpr_kernarg_preload_offset 0
		.amdhsa_user_sgpr_private_segment_size 0
		.amdhsa_uses_dynamic_stack 0
		.amdhsa_enable_private_segment 0
		.amdhsa_system_sgpr_workgroup_id_x 1
		.amdhsa_system_sgpr_workgroup_id_y 0
		.amdhsa_system_sgpr_workgroup_id_z 0
		.amdhsa_system_sgpr_workgroup_info 0
		.amdhsa_system_vgpr_workitem_id 0
		.amdhsa_next_free_vgpr 1
		.amdhsa_next_free_sgpr 0
		.amdhsa_accum_offset 4
		.amdhsa_reserve_vcc 0
		.amdhsa_float_round_mode_32 0
		.amdhsa_float_round_mode_16_64 0
		.amdhsa_float_denorm_mode_32 3
		.amdhsa_float_denorm_mode_16_64 3
		.amdhsa_dx10_clamp 1
		.amdhsa_ieee_mode 1
		.amdhsa_fp16_overflow 0
		.amdhsa_tg_split 0
		.amdhsa_exception_fp_ieee_invalid_op 0
		.amdhsa_exception_fp_denorm_src 0
		.amdhsa_exception_fp_ieee_div_zero 0
		.amdhsa_exception_fp_ieee_overflow 0
		.amdhsa_exception_fp_ieee_underflow 0
		.amdhsa_exception_fp_ieee_inexact 0
		.amdhsa_exception_int_div_zero 0
	.end_amdhsa_kernel
	.section	.text._ZN7rocprim17ROCPRIM_400000_NS6detail17trampoline_kernelINS0_14default_configENS1_35adjacent_difference_config_selectorILb1EiEEZNS1_24adjacent_difference_implIS3_Lb1ELb0EPKiPiN6thrust23THRUST_200600_302600_NS4plusIiEEEE10hipError_tPvRmT2_T3_mT4_P12ihipStream_tbEUlT_E_NS1_11comp_targetILNS1_3genE3ELNS1_11target_archE908ELNS1_3gpuE7ELNS1_3repE0EEENS1_30default_config_static_selectorELNS0_4arch9wavefront6targetE1EEEvT1_,"axG",@progbits,_ZN7rocprim17ROCPRIM_400000_NS6detail17trampoline_kernelINS0_14default_configENS1_35adjacent_difference_config_selectorILb1EiEEZNS1_24adjacent_difference_implIS3_Lb1ELb0EPKiPiN6thrust23THRUST_200600_302600_NS4plusIiEEEE10hipError_tPvRmT2_T3_mT4_P12ihipStream_tbEUlT_E_NS1_11comp_targetILNS1_3genE3ELNS1_11target_archE908ELNS1_3gpuE7ELNS1_3repE0EEENS1_30default_config_static_selectorELNS0_4arch9wavefront6targetE1EEEvT1_,comdat
.Lfunc_end587:
	.size	_ZN7rocprim17ROCPRIM_400000_NS6detail17trampoline_kernelINS0_14default_configENS1_35adjacent_difference_config_selectorILb1EiEEZNS1_24adjacent_difference_implIS3_Lb1ELb0EPKiPiN6thrust23THRUST_200600_302600_NS4plusIiEEEE10hipError_tPvRmT2_T3_mT4_P12ihipStream_tbEUlT_E_NS1_11comp_targetILNS1_3genE3ELNS1_11target_archE908ELNS1_3gpuE7ELNS1_3repE0EEENS1_30default_config_static_selectorELNS0_4arch9wavefront6targetE1EEEvT1_, .Lfunc_end587-_ZN7rocprim17ROCPRIM_400000_NS6detail17trampoline_kernelINS0_14default_configENS1_35adjacent_difference_config_selectorILb1EiEEZNS1_24adjacent_difference_implIS3_Lb1ELb0EPKiPiN6thrust23THRUST_200600_302600_NS4plusIiEEEE10hipError_tPvRmT2_T3_mT4_P12ihipStream_tbEUlT_E_NS1_11comp_targetILNS1_3genE3ELNS1_11target_archE908ELNS1_3gpuE7ELNS1_3repE0EEENS1_30default_config_static_selectorELNS0_4arch9wavefront6targetE1EEEvT1_
                                        ; -- End function
	.section	.AMDGPU.csdata,"",@progbits
; Kernel info:
; codeLenInByte = 0
; NumSgprs: 6
; NumVgprs: 0
; NumAgprs: 0
; TotalNumVgprs: 0
; ScratchSize: 0
; MemoryBound: 0
; FloatMode: 240
; IeeeMode: 1
; LDSByteSize: 0 bytes/workgroup (compile time only)
; SGPRBlocks: 0
; VGPRBlocks: 0
; NumSGPRsForWavesPerEU: 6
; NumVGPRsForWavesPerEU: 1
; AccumOffset: 4
; Occupancy: 8
; WaveLimiterHint : 0
; COMPUTE_PGM_RSRC2:SCRATCH_EN: 0
; COMPUTE_PGM_RSRC2:USER_SGPR: 2
; COMPUTE_PGM_RSRC2:TRAP_HANDLER: 0
; COMPUTE_PGM_RSRC2:TGID_X_EN: 1
; COMPUTE_PGM_RSRC2:TGID_Y_EN: 0
; COMPUTE_PGM_RSRC2:TGID_Z_EN: 0
; COMPUTE_PGM_RSRC2:TIDIG_COMP_CNT: 0
; COMPUTE_PGM_RSRC3_GFX90A:ACCUM_OFFSET: 0
; COMPUTE_PGM_RSRC3_GFX90A:TG_SPLIT: 0
	.section	.text._ZN7rocprim17ROCPRIM_400000_NS6detail17trampoline_kernelINS0_14default_configENS1_35adjacent_difference_config_selectorILb1EiEEZNS1_24adjacent_difference_implIS3_Lb1ELb0EPKiPiN6thrust23THRUST_200600_302600_NS4plusIiEEEE10hipError_tPvRmT2_T3_mT4_P12ihipStream_tbEUlT_E_NS1_11comp_targetILNS1_3genE2ELNS1_11target_archE906ELNS1_3gpuE6ELNS1_3repE0EEENS1_30default_config_static_selectorELNS0_4arch9wavefront6targetE1EEEvT1_,"axG",@progbits,_ZN7rocprim17ROCPRIM_400000_NS6detail17trampoline_kernelINS0_14default_configENS1_35adjacent_difference_config_selectorILb1EiEEZNS1_24adjacent_difference_implIS3_Lb1ELb0EPKiPiN6thrust23THRUST_200600_302600_NS4plusIiEEEE10hipError_tPvRmT2_T3_mT4_P12ihipStream_tbEUlT_E_NS1_11comp_targetILNS1_3genE2ELNS1_11target_archE906ELNS1_3gpuE6ELNS1_3repE0EEENS1_30default_config_static_selectorELNS0_4arch9wavefront6targetE1EEEvT1_,comdat
	.protected	_ZN7rocprim17ROCPRIM_400000_NS6detail17trampoline_kernelINS0_14default_configENS1_35adjacent_difference_config_selectorILb1EiEEZNS1_24adjacent_difference_implIS3_Lb1ELb0EPKiPiN6thrust23THRUST_200600_302600_NS4plusIiEEEE10hipError_tPvRmT2_T3_mT4_P12ihipStream_tbEUlT_E_NS1_11comp_targetILNS1_3genE2ELNS1_11target_archE906ELNS1_3gpuE6ELNS1_3repE0EEENS1_30default_config_static_selectorELNS0_4arch9wavefront6targetE1EEEvT1_ ; -- Begin function _ZN7rocprim17ROCPRIM_400000_NS6detail17trampoline_kernelINS0_14default_configENS1_35adjacent_difference_config_selectorILb1EiEEZNS1_24adjacent_difference_implIS3_Lb1ELb0EPKiPiN6thrust23THRUST_200600_302600_NS4plusIiEEEE10hipError_tPvRmT2_T3_mT4_P12ihipStream_tbEUlT_E_NS1_11comp_targetILNS1_3genE2ELNS1_11target_archE906ELNS1_3gpuE6ELNS1_3repE0EEENS1_30default_config_static_selectorELNS0_4arch9wavefront6targetE1EEEvT1_
	.globl	_ZN7rocprim17ROCPRIM_400000_NS6detail17trampoline_kernelINS0_14default_configENS1_35adjacent_difference_config_selectorILb1EiEEZNS1_24adjacent_difference_implIS3_Lb1ELb0EPKiPiN6thrust23THRUST_200600_302600_NS4plusIiEEEE10hipError_tPvRmT2_T3_mT4_P12ihipStream_tbEUlT_E_NS1_11comp_targetILNS1_3genE2ELNS1_11target_archE906ELNS1_3gpuE6ELNS1_3repE0EEENS1_30default_config_static_selectorELNS0_4arch9wavefront6targetE1EEEvT1_
	.p2align	8
	.type	_ZN7rocprim17ROCPRIM_400000_NS6detail17trampoline_kernelINS0_14default_configENS1_35adjacent_difference_config_selectorILb1EiEEZNS1_24adjacent_difference_implIS3_Lb1ELb0EPKiPiN6thrust23THRUST_200600_302600_NS4plusIiEEEE10hipError_tPvRmT2_T3_mT4_P12ihipStream_tbEUlT_E_NS1_11comp_targetILNS1_3genE2ELNS1_11target_archE906ELNS1_3gpuE6ELNS1_3repE0EEENS1_30default_config_static_selectorELNS0_4arch9wavefront6targetE1EEEvT1_,@function
_ZN7rocprim17ROCPRIM_400000_NS6detail17trampoline_kernelINS0_14default_configENS1_35adjacent_difference_config_selectorILb1EiEEZNS1_24adjacent_difference_implIS3_Lb1ELb0EPKiPiN6thrust23THRUST_200600_302600_NS4plusIiEEEE10hipError_tPvRmT2_T3_mT4_P12ihipStream_tbEUlT_E_NS1_11comp_targetILNS1_3genE2ELNS1_11target_archE906ELNS1_3gpuE6ELNS1_3repE0EEENS1_30default_config_static_selectorELNS0_4arch9wavefront6targetE1EEEvT1_: ; @_ZN7rocprim17ROCPRIM_400000_NS6detail17trampoline_kernelINS0_14default_configENS1_35adjacent_difference_config_selectorILb1EiEEZNS1_24adjacent_difference_implIS3_Lb1ELb0EPKiPiN6thrust23THRUST_200600_302600_NS4plusIiEEEE10hipError_tPvRmT2_T3_mT4_P12ihipStream_tbEUlT_E_NS1_11comp_targetILNS1_3genE2ELNS1_11target_archE906ELNS1_3gpuE6ELNS1_3repE0EEENS1_30default_config_static_selectorELNS0_4arch9wavefront6targetE1EEEvT1_
; %bb.0:
	.section	.rodata,"a",@progbits
	.p2align	6, 0x0
	.amdhsa_kernel _ZN7rocprim17ROCPRIM_400000_NS6detail17trampoline_kernelINS0_14default_configENS1_35adjacent_difference_config_selectorILb1EiEEZNS1_24adjacent_difference_implIS3_Lb1ELb0EPKiPiN6thrust23THRUST_200600_302600_NS4plusIiEEEE10hipError_tPvRmT2_T3_mT4_P12ihipStream_tbEUlT_E_NS1_11comp_targetILNS1_3genE2ELNS1_11target_archE906ELNS1_3gpuE6ELNS1_3repE0EEENS1_30default_config_static_selectorELNS0_4arch9wavefront6targetE1EEEvT1_
		.amdhsa_group_segment_fixed_size 0
		.amdhsa_private_segment_fixed_size 0
		.amdhsa_kernarg_size 56
		.amdhsa_user_sgpr_count 2
		.amdhsa_user_sgpr_dispatch_ptr 0
		.amdhsa_user_sgpr_queue_ptr 0
		.amdhsa_user_sgpr_kernarg_segment_ptr 1
		.amdhsa_user_sgpr_dispatch_id 0
		.amdhsa_user_sgpr_kernarg_preload_length 0
		.amdhsa_user_sgpr_kernarg_preload_offset 0
		.amdhsa_user_sgpr_private_segment_size 0
		.amdhsa_uses_dynamic_stack 0
		.amdhsa_enable_private_segment 0
		.amdhsa_system_sgpr_workgroup_id_x 1
		.amdhsa_system_sgpr_workgroup_id_y 0
		.amdhsa_system_sgpr_workgroup_id_z 0
		.amdhsa_system_sgpr_workgroup_info 0
		.amdhsa_system_vgpr_workitem_id 0
		.amdhsa_next_free_vgpr 1
		.amdhsa_next_free_sgpr 0
		.amdhsa_accum_offset 4
		.amdhsa_reserve_vcc 0
		.amdhsa_float_round_mode_32 0
		.amdhsa_float_round_mode_16_64 0
		.amdhsa_float_denorm_mode_32 3
		.amdhsa_float_denorm_mode_16_64 3
		.amdhsa_dx10_clamp 1
		.amdhsa_ieee_mode 1
		.amdhsa_fp16_overflow 0
		.amdhsa_tg_split 0
		.amdhsa_exception_fp_ieee_invalid_op 0
		.amdhsa_exception_fp_denorm_src 0
		.amdhsa_exception_fp_ieee_div_zero 0
		.amdhsa_exception_fp_ieee_overflow 0
		.amdhsa_exception_fp_ieee_underflow 0
		.amdhsa_exception_fp_ieee_inexact 0
		.amdhsa_exception_int_div_zero 0
	.end_amdhsa_kernel
	.section	.text._ZN7rocprim17ROCPRIM_400000_NS6detail17trampoline_kernelINS0_14default_configENS1_35adjacent_difference_config_selectorILb1EiEEZNS1_24adjacent_difference_implIS3_Lb1ELb0EPKiPiN6thrust23THRUST_200600_302600_NS4plusIiEEEE10hipError_tPvRmT2_T3_mT4_P12ihipStream_tbEUlT_E_NS1_11comp_targetILNS1_3genE2ELNS1_11target_archE906ELNS1_3gpuE6ELNS1_3repE0EEENS1_30default_config_static_selectorELNS0_4arch9wavefront6targetE1EEEvT1_,"axG",@progbits,_ZN7rocprim17ROCPRIM_400000_NS6detail17trampoline_kernelINS0_14default_configENS1_35adjacent_difference_config_selectorILb1EiEEZNS1_24adjacent_difference_implIS3_Lb1ELb0EPKiPiN6thrust23THRUST_200600_302600_NS4plusIiEEEE10hipError_tPvRmT2_T3_mT4_P12ihipStream_tbEUlT_E_NS1_11comp_targetILNS1_3genE2ELNS1_11target_archE906ELNS1_3gpuE6ELNS1_3repE0EEENS1_30default_config_static_selectorELNS0_4arch9wavefront6targetE1EEEvT1_,comdat
.Lfunc_end588:
	.size	_ZN7rocprim17ROCPRIM_400000_NS6detail17trampoline_kernelINS0_14default_configENS1_35adjacent_difference_config_selectorILb1EiEEZNS1_24adjacent_difference_implIS3_Lb1ELb0EPKiPiN6thrust23THRUST_200600_302600_NS4plusIiEEEE10hipError_tPvRmT2_T3_mT4_P12ihipStream_tbEUlT_E_NS1_11comp_targetILNS1_3genE2ELNS1_11target_archE906ELNS1_3gpuE6ELNS1_3repE0EEENS1_30default_config_static_selectorELNS0_4arch9wavefront6targetE1EEEvT1_, .Lfunc_end588-_ZN7rocprim17ROCPRIM_400000_NS6detail17trampoline_kernelINS0_14default_configENS1_35adjacent_difference_config_selectorILb1EiEEZNS1_24adjacent_difference_implIS3_Lb1ELb0EPKiPiN6thrust23THRUST_200600_302600_NS4plusIiEEEE10hipError_tPvRmT2_T3_mT4_P12ihipStream_tbEUlT_E_NS1_11comp_targetILNS1_3genE2ELNS1_11target_archE906ELNS1_3gpuE6ELNS1_3repE0EEENS1_30default_config_static_selectorELNS0_4arch9wavefront6targetE1EEEvT1_
                                        ; -- End function
	.section	.AMDGPU.csdata,"",@progbits
; Kernel info:
; codeLenInByte = 0
; NumSgprs: 6
; NumVgprs: 0
; NumAgprs: 0
; TotalNumVgprs: 0
; ScratchSize: 0
; MemoryBound: 0
; FloatMode: 240
; IeeeMode: 1
; LDSByteSize: 0 bytes/workgroup (compile time only)
; SGPRBlocks: 0
; VGPRBlocks: 0
; NumSGPRsForWavesPerEU: 6
; NumVGPRsForWavesPerEU: 1
; AccumOffset: 4
; Occupancy: 8
; WaveLimiterHint : 0
; COMPUTE_PGM_RSRC2:SCRATCH_EN: 0
; COMPUTE_PGM_RSRC2:USER_SGPR: 2
; COMPUTE_PGM_RSRC2:TRAP_HANDLER: 0
; COMPUTE_PGM_RSRC2:TGID_X_EN: 1
; COMPUTE_PGM_RSRC2:TGID_Y_EN: 0
; COMPUTE_PGM_RSRC2:TGID_Z_EN: 0
; COMPUTE_PGM_RSRC2:TIDIG_COMP_CNT: 0
; COMPUTE_PGM_RSRC3_GFX90A:ACCUM_OFFSET: 0
; COMPUTE_PGM_RSRC3_GFX90A:TG_SPLIT: 0
	.section	.text._ZN7rocprim17ROCPRIM_400000_NS6detail17trampoline_kernelINS0_14default_configENS1_35adjacent_difference_config_selectorILb1EiEEZNS1_24adjacent_difference_implIS3_Lb1ELb0EPKiPiN6thrust23THRUST_200600_302600_NS4plusIiEEEE10hipError_tPvRmT2_T3_mT4_P12ihipStream_tbEUlT_E_NS1_11comp_targetILNS1_3genE9ELNS1_11target_archE1100ELNS1_3gpuE3ELNS1_3repE0EEENS1_30default_config_static_selectorELNS0_4arch9wavefront6targetE1EEEvT1_,"axG",@progbits,_ZN7rocprim17ROCPRIM_400000_NS6detail17trampoline_kernelINS0_14default_configENS1_35adjacent_difference_config_selectorILb1EiEEZNS1_24adjacent_difference_implIS3_Lb1ELb0EPKiPiN6thrust23THRUST_200600_302600_NS4plusIiEEEE10hipError_tPvRmT2_T3_mT4_P12ihipStream_tbEUlT_E_NS1_11comp_targetILNS1_3genE9ELNS1_11target_archE1100ELNS1_3gpuE3ELNS1_3repE0EEENS1_30default_config_static_selectorELNS0_4arch9wavefront6targetE1EEEvT1_,comdat
	.protected	_ZN7rocprim17ROCPRIM_400000_NS6detail17trampoline_kernelINS0_14default_configENS1_35adjacent_difference_config_selectorILb1EiEEZNS1_24adjacent_difference_implIS3_Lb1ELb0EPKiPiN6thrust23THRUST_200600_302600_NS4plusIiEEEE10hipError_tPvRmT2_T3_mT4_P12ihipStream_tbEUlT_E_NS1_11comp_targetILNS1_3genE9ELNS1_11target_archE1100ELNS1_3gpuE3ELNS1_3repE0EEENS1_30default_config_static_selectorELNS0_4arch9wavefront6targetE1EEEvT1_ ; -- Begin function _ZN7rocprim17ROCPRIM_400000_NS6detail17trampoline_kernelINS0_14default_configENS1_35adjacent_difference_config_selectorILb1EiEEZNS1_24adjacent_difference_implIS3_Lb1ELb0EPKiPiN6thrust23THRUST_200600_302600_NS4plusIiEEEE10hipError_tPvRmT2_T3_mT4_P12ihipStream_tbEUlT_E_NS1_11comp_targetILNS1_3genE9ELNS1_11target_archE1100ELNS1_3gpuE3ELNS1_3repE0EEENS1_30default_config_static_selectorELNS0_4arch9wavefront6targetE1EEEvT1_
	.globl	_ZN7rocprim17ROCPRIM_400000_NS6detail17trampoline_kernelINS0_14default_configENS1_35adjacent_difference_config_selectorILb1EiEEZNS1_24adjacent_difference_implIS3_Lb1ELb0EPKiPiN6thrust23THRUST_200600_302600_NS4plusIiEEEE10hipError_tPvRmT2_T3_mT4_P12ihipStream_tbEUlT_E_NS1_11comp_targetILNS1_3genE9ELNS1_11target_archE1100ELNS1_3gpuE3ELNS1_3repE0EEENS1_30default_config_static_selectorELNS0_4arch9wavefront6targetE1EEEvT1_
	.p2align	8
	.type	_ZN7rocprim17ROCPRIM_400000_NS6detail17trampoline_kernelINS0_14default_configENS1_35adjacent_difference_config_selectorILb1EiEEZNS1_24adjacent_difference_implIS3_Lb1ELb0EPKiPiN6thrust23THRUST_200600_302600_NS4plusIiEEEE10hipError_tPvRmT2_T3_mT4_P12ihipStream_tbEUlT_E_NS1_11comp_targetILNS1_3genE9ELNS1_11target_archE1100ELNS1_3gpuE3ELNS1_3repE0EEENS1_30default_config_static_selectorELNS0_4arch9wavefront6targetE1EEEvT1_,@function
_ZN7rocprim17ROCPRIM_400000_NS6detail17trampoline_kernelINS0_14default_configENS1_35adjacent_difference_config_selectorILb1EiEEZNS1_24adjacent_difference_implIS3_Lb1ELb0EPKiPiN6thrust23THRUST_200600_302600_NS4plusIiEEEE10hipError_tPvRmT2_T3_mT4_P12ihipStream_tbEUlT_E_NS1_11comp_targetILNS1_3genE9ELNS1_11target_archE1100ELNS1_3gpuE3ELNS1_3repE0EEENS1_30default_config_static_selectorELNS0_4arch9wavefront6targetE1EEEvT1_: ; @_ZN7rocprim17ROCPRIM_400000_NS6detail17trampoline_kernelINS0_14default_configENS1_35adjacent_difference_config_selectorILb1EiEEZNS1_24adjacent_difference_implIS3_Lb1ELb0EPKiPiN6thrust23THRUST_200600_302600_NS4plusIiEEEE10hipError_tPvRmT2_T3_mT4_P12ihipStream_tbEUlT_E_NS1_11comp_targetILNS1_3genE9ELNS1_11target_archE1100ELNS1_3gpuE3ELNS1_3repE0EEENS1_30default_config_static_selectorELNS0_4arch9wavefront6targetE1EEEvT1_
; %bb.0:
	.section	.rodata,"a",@progbits
	.p2align	6, 0x0
	.amdhsa_kernel _ZN7rocprim17ROCPRIM_400000_NS6detail17trampoline_kernelINS0_14default_configENS1_35adjacent_difference_config_selectorILb1EiEEZNS1_24adjacent_difference_implIS3_Lb1ELb0EPKiPiN6thrust23THRUST_200600_302600_NS4plusIiEEEE10hipError_tPvRmT2_T3_mT4_P12ihipStream_tbEUlT_E_NS1_11comp_targetILNS1_3genE9ELNS1_11target_archE1100ELNS1_3gpuE3ELNS1_3repE0EEENS1_30default_config_static_selectorELNS0_4arch9wavefront6targetE1EEEvT1_
		.amdhsa_group_segment_fixed_size 0
		.amdhsa_private_segment_fixed_size 0
		.amdhsa_kernarg_size 56
		.amdhsa_user_sgpr_count 2
		.amdhsa_user_sgpr_dispatch_ptr 0
		.amdhsa_user_sgpr_queue_ptr 0
		.amdhsa_user_sgpr_kernarg_segment_ptr 1
		.amdhsa_user_sgpr_dispatch_id 0
		.amdhsa_user_sgpr_kernarg_preload_length 0
		.amdhsa_user_sgpr_kernarg_preload_offset 0
		.amdhsa_user_sgpr_private_segment_size 0
		.amdhsa_uses_dynamic_stack 0
		.amdhsa_enable_private_segment 0
		.amdhsa_system_sgpr_workgroup_id_x 1
		.amdhsa_system_sgpr_workgroup_id_y 0
		.amdhsa_system_sgpr_workgroup_id_z 0
		.amdhsa_system_sgpr_workgroup_info 0
		.amdhsa_system_vgpr_workitem_id 0
		.amdhsa_next_free_vgpr 1
		.amdhsa_next_free_sgpr 0
		.amdhsa_accum_offset 4
		.amdhsa_reserve_vcc 0
		.amdhsa_float_round_mode_32 0
		.amdhsa_float_round_mode_16_64 0
		.amdhsa_float_denorm_mode_32 3
		.amdhsa_float_denorm_mode_16_64 3
		.amdhsa_dx10_clamp 1
		.amdhsa_ieee_mode 1
		.amdhsa_fp16_overflow 0
		.amdhsa_tg_split 0
		.amdhsa_exception_fp_ieee_invalid_op 0
		.amdhsa_exception_fp_denorm_src 0
		.amdhsa_exception_fp_ieee_div_zero 0
		.amdhsa_exception_fp_ieee_overflow 0
		.amdhsa_exception_fp_ieee_underflow 0
		.amdhsa_exception_fp_ieee_inexact 0
		.amdhsa_exception_int_div_zero 0
	.end_amdhsa_kernel
	.section	.text._ZN7rocprim17ROCPRIM_400000_NS6detail17trampoline_kernelINS0_14default_configENS1_35adjacent_difference_config_selectorILb1EiEEZNS1_24adjacent_difference_implIS3_Lb1ELb0EPKiPiN6thrust23THRUST_200600_302600_NS4plusIiEEEE10hipError_tPvRmT2_T3_mT4_P12ihipStream_tbEUlT_E_NS1_11comp_targetILNS1_3genE9ELNS1_11target_archE1100ELNS1_3gpuE3ELNS1_3repE0EEENS1_30default_config_static_selectorELNS0_4arch9wavefront6targetE1EEEvT1_,"axG",@progbits,_ZN7rocprim17ROCPRIM_400000_NS6detail17trampoline_kernelINS0_14default_configENS1_35adjacent_difference_config_selectorILb1EiEEZNS1_24adjacent_difference_implIS3_Lb1ELb0EPKiPiN6thrust23THRUST_200600_302600_NS4plusIiEEEE10hipError_tPvRmT2_T3_mT4_P12ihipStream_tbEUlT_E_NS1_11comp_targetILNS1_3genE9ELNS1_11target_archE1100ELNS1_3gpuE3ELNS1_3repE0EEENS1_30default_config_static_selectorELNS0_4arch9wavefront6targetE1EEEvT1_,comdat
.Lfunc_end589:
	.size	_ZN7rocprim17ROCPRIM_400000_NS6detail17trampoline_kernelINS0_14default_configENS1_35adjacent_difference_config_selectorILb1EiEEZNS1_24adjacent_difference_implIS3_Lb1ELb0EPKiPiN6thrust23THRUST_200600_302600_NS4plusIiEEEE10hipError_tPvRmT2_T3_mT4_P12ihipStream_tbEUlT_E_NS1_11comp_targetILNS1_3genE9ELNS1_11target_archE1100ELNS1_3gpuE3ELNS1_3repE0EEENS1_30default_config_static_selectorELNS0_4arch9wavefront6targetE1EEEvT1_, .Lfunc_end589-_ZN7rocprim17ROCPRIM_400000_NS6detail17trampoline_kernelINS0_14default_configENS1_35adjacent_difference_config_selectorILb1EiEEZNS1_24adjacent_difference_implIS3_Lb1ELb0EPKiPiN6thrust23THRUST_200600_302600_NS4plusIiEEEE10hipError_tPvRmT2_T3_mT4_P12ihipStream_tbEUlT_E_NS1_11comp_targetILNS1_3genE9ELNS1_11target_archE1100ELNS1_3gpuE3ELNS1_3repE0EEENS1_30default_config_static_selectorELNS0_4arch9wavefront6targetE1EEEvT1_
                                        ; -- End function
	.section	.AMDGPU.csdata,"",@progbits
; Kernel info:
; codeLenInByte = 0
; NumSgprs: 6
; NumVgprs: 0
; NumAgprs: 0
; TotalNumVgprs: 0
; ScratchSize: 0
; MemoryBound: 0
; FloatMode: 240
; IeeeMode: 1
; LDSByteSize: 0 bytes/workgroup (compile time only)
; SGPRBlocks: 0
; VGPRBlocks: 0
; NumSGPRsForWavesPerEU: 6
; NumVGPRsForWavesPerEU: 1
; AccumOffset: 4
; Occupancy: 8
; WaveLimiterHint : 0
; COMPUTE_PGM_RSRC2:SCRATCH_EN: 0
; COMPUTE_PGM_RSRC2:USER_SGPR: 2
; COMPUTE_PGM_RSRC2:TRAP_HANDLER: 0
; COMPUTE_PGM_RSRC2:TGID_X_EN: 1
; COMPUTE_PGM_RSRC2:TGID_Y_EN: 0
; COMPUTE_PGM_RSRC2:TGID_Z_EN: 0
; COMPUTE_PGM_RSRC2:TIDIG_COMP_CNT: 0
; COMPUTE_PGM_RSRC3_GFX90A:ACCUM_OFFSET: 0
; COMPUTE_PGM_RSRC3_GFX90A:TG_SPLIT: 0
	.section	.text._ZN7rocprim17ROCPRIM_400000_NS6detail17trampoline_kernelINS0_14default_configENS1_35adjacent_difference_config_selectorILb1EiEEZNS1_24adjacent_difference_implIS3_Lb1ELb0EPKiPiN6thrust23THRUST_200600_302600_NS4plusIiEEEE10hipError_tPvRmT2_T3_mT4_P12ihipStream_tbEUlT_E_NS1_11comp_targetILNS1_3genE8ELNS1_11target_archE1030ELNS1_3gpuE2ELNS1_3repE0EEENS1_30default_config_static_selectorELNS0_4arch9wavefront6targetE1EEEvT1_,"axG",@progbits,_ZN7rocprim17ROCPRIM_400000_NS6detail17trampoline_kernelINS0_14default_configENS1_35adjacent_difference_config_selectorILb1EiEEZNS1_24adjacent_difference_implIS3_Lb1ELb0EPKiPiN6thrust23THRUST_200600_302600_NS4plusIiEEEE10hipError_tPvRmT2_T3_mT4_P12ihipStream_tbEUlT_E_NS1_11comp_targetILNS1_3genE8ELNS1_11target_archE1030ELNS1_3gpuE2ELNS1_3repE0EEENS1_30default_config_static_selectorELNS0_4arch9wavefront6targetE1EEEvT1_,comdat
	.protected	_ZN7rocprim17ROCPRIM_400000_NS6detail17trampoline_kernelINS0_14default_configENS1_35adjacent_difference_config_selectorILb1EiEEZNS1_24adjacent_difference_implIS3_Lb1ELb0EPKiPiN6thrust23THRUST_200600_302600_NS4plusIiEEEE10hipError_tPvRmT2_T3_mT4_P12ihipStream_tbEUlT_E_NS1_11comp_targetILNS1_3genE8ELNS1_11target_archE1030ELNS1_3gpuE2ELNS1_3repE0EEENS1_30default_config_static_selectorELNS0_4arch9wavefront6targetE1EEEvT1_ ; -- Begin function _ZN7rocprim17ROCPRIM_400000_NS6detail17trampoline_kernelINS0_14default_configENS1_35adjacent_difference_config_selectorILb1EiEEZNS1_24adjacent_difference_implIS3_Lb1ELb0EPKiPiN6thrust23THRUST_200600_302600_NS4plusIiEEEE10hipError_tPvRmT2_T3_mT4_P12ihipStream_tbEUlT_E_NS1_11comp_targetILNS1_3genE8ELNS1_11target_archE1030ELNS1_3gpuE2ELNS1_3repE0EEENS1_30default_config_static_selectorELNS0_4arch9wavefront6targetE1EEEvT1_
	.globl	_ZN7rocprim17ROCPRIM_400000_NS6detail17trampoline_kernelINS0_14default_configENS1_35adjacent_difference_config_selectorILb1EiEEZNS1_24adjacent_difference_implIS3_Lb1ELb0EPKiPiN6thrust23THRUST_200600_302600_NS4plusIiEEEE10hipError_tPvRmT2_T3_mT4_P12ihipStream_tbEUlT_E_NS1_11comp_targetILNS1_3genE8ELNS1_11target_archE1030ELNS1_3gpuE2ELNS1_3repE0EEENS1_30default_config_static_selectorELNS0_4arch9wavefront6targetE1EEEvT1_
	.p2align	8
	.type	_ZN7rocprim17ROCPRIM_400000_NS6detail17trampoline_kernelINS0_14default_configENS1_35adjacent_difference_config_selectorILb1EiEEZNS1_24adjacent_difference_implIS3_Lb1ELb0EPKiPiN6thrust23THRUST_200600_302600_NS4plusIiEEEE10hipError_tPvRmT2_T3_mT4_P12ihipStream_tbEUlT_E_NS1_11comp_targetILNS1_3genE8ELNS1_11target_archE1030ELNS1_3gpuE2ELNS1_3repE0EEENS1_30default_config_static_selectorELNS0_4arch9wavefront6targetE1EEEvT1_,@function
_ZN7rocprim17ROCPRIM_400000_NS6detail17trampoline_kernelINS0_14default_configENS1_35adjacent_difference_config_selectorILb1EiEEZNS1_24adjacent_difference_implIS3_Lb1ELb0EPKiPiN6thrust23THRUST_200600_302600_NS4plusIiEEEE10hipError_tPvRmT2_T3_mT4_P12ihipStream_tbEUlT_E_NS1_11comp_targetILNS1_3genE8ELNS1_11target_archE1030ELNS1_3gpuE2ELNS1_3repE0EEENS1_30default_config_static_selectorELNS0_4arch9wavefront6targetE1EEEvT1_: ; @_ZN7rocprim17ROCPRIM_400000_NS6detail17trampoline_kernelINS0_14default_configENS1_35adjacent_difference_config_selectorILb1EiEEZNS1_24adjacent_difference_implIS3_Lb1ELb0EPKiPiN6thrust23THRUST_200600_302600_NS4plusIiEEEE10hipError_tPvRmT2_T3_mT4_P12ihipStream_tbEUlT_E_NS1_11comp_targetILNS1_3genE8ELNS1_11target_archE1030ELNS1_3gpuE2ELNS1_3repE0EEENS1_30default_config_static_selectorELNS0_4arch9wavefront6targetE1EEEvT1_
; %bb.0:
	.section	.rodata,"a",@progbits
	.p2align	6, 0x0
	.amdhsa_kernel _ZN7rocprim17ROCPRIM_400000_NS6detail17trampoline_kernelINS0_14default_configENS1_35adjacent_difference_config_selectorILb1EiEEZNS1_24adjacent_difference_implIS3_Lb1ELb0EPKiPiN6thrust23THRUST_200600_302600_NS4plusIiEEEE10hipError_tPvRmT2_T3_mT4_P12ihipStream_tbEUlT_E_NS1_11comp_targetILNS1_3genE8ELNS1_11target_archE1030ELNS1_3gpuE2ELNS1_3repE0EEENS1_30default_config_static_selectorELNS0_4arch9wavefront6targetE1EEEvT1_
		.amdhsa_group_segment_fixed_size 0
		.amdhsa_private_segment_fixed_size 0
		.amdhsa_kernarg_size 56
		.amdhsa_user_sgpr_count 2
		.amdhsa_user_sgpr_dispatch_ptr 0
		.amdhsa_user_sgpr_queue_ptr 0
		.amdhsa_user_sgpr_kernarg_segment_ptr 1
		.amdhsa_user_sgpr_dispatch_id 0
		.amdhsa_user_sgpr_kernarg_preload_length 0
		.amdhsa_user_sgpr_kernarg_preload_offset 0
		.amdhsa_user_sgpr_private_segment_size 0
		.amdhsa_uses_dynamic_stack 0
		.amdhsa_enable_private_segment 0
		.amdhsa_system_sgpr_workgroup_id_x 1
		.amdhsa_system_sgpr_workgroup_id_y 0
		.amdhsa_system_sgpr_workgroup_id_z 0
		.amdhsa_system_sgpr_workgroup_info 0
		.amdhsa_system_vgpr_workitem_id 0
		.amdhsa_next_free_vgpr 1
		.amdhsa_next_free_sgpr 0
		.amdhsa_accum_offset 4
		.amdhsa_reserve_vcc 0
		.amdhsa_float_round_mode_32 0
		.amdhsa_float_round_mode_16_64 0
		.amdhsa_float_denorm_mode_32 3
		.amdhsa_float_denorm_mode_16_64 3
		.amdhsa_dx10_clamp 1
		.amdhsa_ieee_mode 1
		.amdhsa_fp16_overflow 0
		.amdhsa_tg_split 0
		.amdhsa_exception_fp_ieee_invalid_op 0
		.amdhsa_exception_fp_denorm_src 0
		.amdhsa_exception_fp_ieee_div_zero 0
		.amdhsa_exception_fp_ieee_overflow 0
		.amdhsa_exception_fp_ieee_underflow 0
		.amdhsa_exception_fp_ieee_inexact 0
		.amdhsa_exception_int_div_zero 0
	.end_amdhsa_kernel
	.section	.text._ZN7rocprim17ROCPRIM_400000_NS6detail17trampoline_kernelINS0_14default_configENS1_35adjacent_difference_config_selectorILb1EiEEZNS1_24adjacent_difference_implIS3_Lb1ELb0EPKiPiN6thrust23THRUST_200600_302600_NS4plusIiEEEE10hipError_tPvRmT2_T3_mT4_P12ihipStream_tbEUlT_E_NS1_11comp_targetILNS1_3genE8ELNS1_11target_archE1030ELNS1_3gpuE2ELNS1_3repE0EEENS1_30default_config_static_selectorELNS0_4arch9wavefront6targetE1EEEvT1_,"axG",@progbits,_ZN7rocprim17ROCPRIM_400000_NS6detail17trampoline_kernelINS0_14default_configENS1_35adjacent_difference_config_selectorILb1EiEEZNS1_24adjacent_difference_implIS3_Lb1ELb0EPKiPiN6thrust23THRUST_200600_302600_NS4plusIiEEEE10hipError_tPvRmT2_T3_mT4_P12ihipStream_tbEUlT_E_NS1_11comp_targetILNS1_3genE8ELNS1_11target_archE1030ELNS1_3gpuE2ELNS1_3repE0EEENS1_30default_config_static_selectorELNS0_4arch9wavefront6targetE1EEEvT1_,comdat
.Lfunc_end590:
	.size	_ZN7rocprim17ROCPRIM_400000_NS6detail17trampoline_kernelINS0_14default_configENS1_35adjacent_difference_config_selectorILb1EiEEZNS1_24adjacent_difference_implIS3_Lb1ELb0EPKiPiN6thrust23THRUST_200600_302600_NS4plusIiEEEE10hipError_tPvRmT2_T3_mT4_P12ihipStream_tbEUlT_E_NS1_11comp_targetILNS1_3genE8ELNS1_11target_archE1030ELNS1_3gpuE2ELNS1_3repE0EEENS1_30default_config_static_selectorELNS0_4arch9wavefront6targetE1EEEvT1_, .Lfunc_end590-_ZN7rocprim17ROCPRIM_400000_NS6detail17trampoline_kernelINS0_14default_configENS1_35adjacent_difference_config_selectorILb1EiEEZNS1_24adjacent_difference_implIS3_Lb1ELb0EPKiPiN6thrust23THRUST_200600_302600_NS4plusIiEEEE10hipError_tPvRmT2_T3_mT4_P12ihipStream_tbEUlT_E_NS1_11comp_targetILNS1_3genE8ELNS1_11target_archE1030ELNS1_3gpuE2ELNS1_3repE0EEENS1_30default_config_static_selectorELNS0_4arch9wavefront6targetE1EEEvT1_
                                        ; -- End function
	.section	.AMDGPU.csdata,"",@progbits
; Kernel info:
; codeLenInByte = 0
; NumSgprs: 6
; NumVgprs: 0
; NumAgprs: 0
; TotalNumVgprs: 0
; ScratchSize: 0
; MemoryBound: 0
; FloatMode: 240
; IeeeMode: 1
; LDSByteSize: 0 bytes/workgroup (compile time only)
; SGPRBlocks: 0
; VGPRBlocks: 0
; NumSGPRsForWavesPerEU: 6
; NumVGPRsForWavesPerEU: 1
; AccumOffset: 4
; Occupancy: 8
; WaveLimiterHint : 0
; COMPUTE_PGM_RSRC2:SCRATCH_EN: 0
; COMPUTE_PGM_RSRC2:USER_SGPR: 2
; COMPUTE_PGM_RSRC2:TRAP_HANDLER: 0
; COMPUTE_PGM_RSRC2:TGID_X_EN: 1
; COMPUTE_PGM_RSRC2:TGID_Y_EN: 0
; COMPUTE_PGM_RSRC2:TGID_Z_EN: 0
; COMPUTE_PGM_RSRC2:TIDIG_COMP_CNT: 0
; COMPUTE_PGM_RSRC3_GFX90A:ACCUM_OFFSET: 0
; COMPUTE_PGM_RSRC3_GFX90A:TG_SPLIT: 0
	.section	.text._ZN7rocprim17ROCPRIM_400000_NS6detail17trampoline_kernelINS0_14default_configENS1_35adjacent_difference_config_selectorILb0EjEEZNS1_24adjacent_difference_implIS3_Lb0ELb0EPKjPjN6thrust23THRUST_200600_302600_NS4plusIjEEEE10hipError_tPvRmT2_T3_mT4_P12ihipStream_tbEUlT_E_NS1_11comp_targetILNS1_3genE0ELNS1_11target_archE4294967295ELNS1_3gpuE0ELNS1_3repE0EEENS1_30default_config_static_selectorELNS0_4arch9wavefront6targetE1EEEvT1_,"axG",@progbits,_ZN7rocprim17ROCPRIM_400000_NS6detail17trampoline_kernelINS0_14default_configENS1_35adjacent_difference_config_selectorILb0EjEEZNS1_24adjacent_difference_implIS3_Lb0ELb0EPKjPjN6thrust23THRUST_200600_302600_NS4plusIjEEEE10hipError_tPvRmT2_T3_mT4_P12ihipStream_tbEUlT_E_NS1_11comp_targetILNS1_3genE0ELNS1_11target_archE4294967295ELNS1_3gpuE0ELNS1_3repE0EEENS1_30default_config_static_selectorELNS0_4arch9wavefront6targetE1EEEvT1_,comdat
	.protected	_ZN7rocprim17ROCPRIM_400000_NS6detail17trampoline_kernelINS0_14default_configENS1_35adjacent_difference_config_selectorILb0EjEEZNS1_24adjacent_difference_implIS3_Lb0ELb0EPKjPjN6thrust23THRUST_200600_302600_NS4plusIjEEEE10hipError_tPvRmT2_T3_mT4_P12ihipStream_tbEUlT_E_NS1_11comp_targetILNS1_3genE0ELNS1_11target_archE4294967295ELNS1_3gpuE0ELNS1_3repE0EEENS1_30default_config_static_selectorELNS0_4arch9wavefront6targetE1EEEvT1_ ; -- Begin function _ZN7rocprim17ROCPRIM_400000_NS6detail17trampoline_kernelINS0_14default_configENS1_35adjacent_difference_config_selectorILb0EjEEZNS1_24adjacent_difference_implIS3_Lb0ELb0EPKjPjN6thrust23THRUST_200600_302600_NS4plusIjEEEE10hipError_tPvRmT2_T3_mT4_P12ihipStream_tbEUlT_E_NS1_11comp_targetILNS1_3genE0ELNS1_11target_archE4294967295ELNS1_3gpuE0ELNS1_3repE0EEENS1_30default_config_static_selectorELNS0_4arch9wavefront6targetE1EEEvT1_
	.globl	_ZN7rocprim17ROCPRIM_400000_NS6detail17trampoline_kernelINS0_14default_configENS1_35adjacent_difference_config_selectorILb0EjEEZNS1_24adjacent_difference_implIS3_Lb0ELb0EPKjPjN6thrust23THRUST_200600_302600_NS4plusIjEEEE10hipError_tPvRmT2_T3_mT4_P12ihipStream_tbEUlT_E_NS1_11comp_targetILNS1_3genE0ELNS1_11target_archE4294967295ELNS1_3gpuE0ELNS1_3repE0EEENS1_30default_config_static_selectorELNS0_4arch9wavefront6targetE1EEEvT1_
	.p2align	8
	.type	_ZN7rocprim17ROCPRIM_400000_NS6detail17trampoline_kernelINS0_14default_configENS1_35adjacent_difference_config_selectorILb0EjEEZNS1_24adjacent_difference_implIS3_Lb0ELb0EPKjPjN6thrust23THRUST_200600_302600_NS4plusIjEEEE10hipError_tPvRmT2_T3_mT4_P12ihipStream_tbEUlT_E_NS1_11comp_targetILNS1_3genE0ELNS1_11target_archE4294967295ELNS1_3gpuE0ELNS1_3repE0EEENS1_30default_config_static_selectorELNS0_4arch9wavefront6targetE1EEEvT1_,@function
_ZN7rocprim17ROCPRIM_400000_NS6detail17trampoline_kernelINS0_14default_configENS1_35adjacent_difference_config_selectorILb0EjEEZNS1_24adjacent_difference_implIS3_Lb0ELb0EPKjPjN6thrust23THRUST_200600_302600_NS4plusIjEEEE10hipError_tPvRmT2_T3_mT4_P12ihipStream_tbEUlT_E_NS1_11comp_targetILNS1_3genE0ELNS1_11target_archE4294967295ELNS1_3gpuE0ELNS1_3repE0EEENS1_30default_config_static_selectorELNS0_4arch9wavefront6targetE1EEEvT1_: ; @_ZN7rocprim17ROCPRIM_400000_NS6detail17trampoline_kernelINS0_14default_configENS1_35adjacent_difference_config_selectorILb0EjEEZNS1_24adjacent_difference_implIS3_Lb0ELb0EPKjPjN6thrust23THRUST_200600_302600_NS4plusIjEEEE10hipError_tPvRmT2_T3_mT4_P12ihipStream_tbEUlT_E_NS1_11comp_targetILNS1_3genE0ELNS1_11target_archE4294967295ELNS1_3gpuE0ELNS1_3repE0EEENS1_30default_config_static_selectorELNS0_4arch9wavefront6targetE1EEEvT1_
; %bb.0:
	.section	.rodata,"a",@progbits
	.p2align	6, 0x0
	.amdhsa_kernel _ZN7rocprim17ROCPRIM_400000_NS6detail17trampoline_kernelINS0_14default_configENS1_35adjacent_difference_config_selectorILb0EjEEZNS1_24adjacent_difference_implIS3_Lb0ELb0EPKjPjN6thrust23THRUST_200600_302600_NS4plusIjEEEE10hipError_tPvRmT2_T3_mT4_P12ihipStream_tbEUlT_E_NS1_11comp_targetILNS1_3genE0ELNS1_11target_archE4294967295ELNS1_3gpuE0ELNS1_3repE0EEENS1_30default_config_static_selectorELNS0_4arch9wavefront6targetE1EEEvT1_
		.amdhsa_group_segment_fixed_size 0
		.amdhsa_private_segment_fixed_size 0
		.amdhsa_kernarg_size 56
		.amdhsa_user_sgpr_count 2
		.amdhsa_user_sgpr_dispatch_ptr 0
		.amdhsa_user_sgpr_queue_ptr 0
		.amdhsa_user_sgpr_kernarg_segment_ptr 1
		.amdhsa_user_sgpr_dispatch_id 0
		.amdhsa_user_sgpr_kernarg_preload_length 0
		.amdhsa_user_sgpr_kernarg_preload_offset 0
		.amdhsa_user_sgpr_private_segment_size 0
		.amdhsa_uses_dynamic_stack 0
		.amdhsa_enable_private_segment 0
		.amdhsa_system_sgpr_workgroup_id_x 1
		.amdhsa_system_sgpr_workgroup_id_y 0
		.amdhsa_system_sgpr_workgroup_id_z 0
		.amdhsa_system_sgpr_workgroup_info 0
		.amdhsa_system_vgpr_workitem_id 0
		.amdhsa_next_free_vgpr 1
		.amdhsa_next_free_sgpr 0
		.amdhsa_accum_offset 4
		.amdhsa_reserve_vcc 0
		.amdhsa_float_round_mode_32 0
		.amdhsa_float_round_mode_16_64 0
		.amdhsa_float_denorm_mode_32 3
		.amdhsa_float_denorm_mode_16_64 3
		.amdhsa_dx10_clamp 1
		.amdhsa_ieee_mode 1
		.amdhsa_fp16_overflow 0
		.amdhsa_tg_split 0
		.amdhsa_exception_fp_ieee_invalid_op 0
		.amdhsa_exception_fp_denorm_src 0
		.amdhsa_exception_fp_ieee_div_zero 0
		.amdhsa_exception_fp_ieee_overflow 0
		.amdhsa_exception_fp_ieee_underflow 0
		.amdhsa_exception_fp_ieee_inexact 0
		.amdhsa_exception_int_div_zero 0
	.end_amdhsa_kernel
	.section	.text._ZN7rocprim17ROCPRIM_400000_NS6detail17trampoline_kernelINS0_14default_configENS1_35adjacent_difference_config_selectorILb0EjEEZNS1_24adjacent_difference_implIS3_Lb0ELb0EPKjPjN6thrust23THRUST_200600_302600_NS4plusIjEEEE10hipError_tPvRmT2_T3_mT4_P12ihipStream_tbEUlT_E_NS1_11comp_targetILNS1_3genE0ELNS1_11target_archE4294967295ELNS1_3gpuE0ELNS1_3repE0EEENS1_30default_config_static_selectorELNS0_4arch9wavefront6targetE1EEEvT1_,"axG",@progbits,_ZN7rocprim17ROCPRIM_400000_NS6detail17trampoline_kernelINS0_14default_configENS1_35adjacent_difference_config_selectorILb0EjEEZNS1_24adjacent_difference_implIS3_Lb0ELb0EPKjPjN6thrust23THRUST_200600_302600_NS4plusIjEEEE10hipError_tPvRmT2_T3_mT4_P12ihipStream_tbEUlT_E_NS1_11comp_targetILNS1_3genE0ELNS1_11target_archE4294967295ELNS1_3gpuE0ELNS1_3repE0EEENS1_30default_config_static_selectorELNS0_4arch9wavefront6targetE1EEEvT1_,comdat
.Lfunc_end591:
	.size	_ZN7rocprim17ROCPRIM_400000_NS6detail17trampoline_kernelINS0_14default_configENS1_35adjacent_difference_config_selectorILb0EjEEZNS1_24adjacent_difference_implIS3_Lb0ELb0EPKjPjN6thrust23THRUST_200600_302600_NS4plusIjEEEE10hipError_tPvRmT2_T3_mT4_P12ihipStream_tbEUlT_E_NS1_11comp_targetILNS1_3genE0ELNS1_11target_archE4294967295ELNS1_3gpuE0ELNS1_3repE0EEENS1_30default_config_static_selectorELNS0_4arch9wavefront6targetE1EEEvT1_, .Lfunc_end591-_ZN7rocprim17ROCPRIM_400000_NS6detail17trampoline_kernelINS0_14default_configENS1_35adjacent_difference_config_selectorILb0EjEEZNS1_24adjacent_difference_implIS3_Lb0ELb0EPKjPjN6thrust23THRUST_200600_302600_NS4plusIjEEEE10hipError_tPvRmT2_T3_mT4_P12ihipStream_tbEUlT_E_NS1_11comp_targetILNS1_3genE0ELNS1_11target_archE4294967295ELNS1_3gpuE0ELNS1_3repE0EEENS1_30default_config_static_selectorELNS0_4arch9wavefront6targetE1EEEvT1_
                                        ; -- End function
	.section	.AMDGPU.csdata,"",@progbits
; Kernel info:
; codeLenInByte = 0
; NumSgprs: 6
; NumVgprs: 0
; NumAgprs: 0
; TotalNumVgprs: 0
; ScratchSize: 0
; MemoryBound: 0
; FloatMode: 240
; IeeeMode: 1
; LDSByteSize: 0 bytes/workgroup (compile time only)
; SGPRBlocks: 0
; VGPRBlocks: 0
; NumSGPRsForWavesPerEU: 6
; NumVGPRsForWavesPerEU: 1
; AccumOffset: 4
; Occupancy: 8
; WaveLimiterHint : 0
; COMPUTE_PGM_RSRC2:SCRATCH_EN: 0
; COMPUTE_PGM_RSRC2:USER_SGPR: 2
; COMPUTE_PGM_RSRC2:TRAP_HANDLER: 0
; COMPUTE_PGM_RSRC2:TGID_X_EN: 1
; COMPUTE_PGM_RSRC2:TGID_Y_EN: 0
; COMPUTE_PGM_RSRC2:TGID_Z_EN: 0
; COMPUTE_PGM_RSRC2:TIDIG_COMP_CNT: 0
; COMPUTE_PGM_RSRC3_GFX90A:ACCUM_OFFSET: 0
; COMPUTE_PGM_RSRC3_GFX90A:TG_SPLIT: 0
	.section	.text._ZN7rocprim17ROCPRIM_400000_NS6detail17trampoline_kernelINS0_14default_configENS1_35adjacent_difference_config_selectorILb0EjEEZNS1_24adjacent_difference_implIS3_Lb0ELb0EPKjPjN6thrust23THRUST_200600_302600_NS4plusIjEEEE10hipError_tPvRmT2_T3_mT4_P12ihipStream_tbEUlT_E_NS1_11comp_targetILNS1_3genE10ELNS1_11target_archE1201ELNS1_3gpuE5ELNS1_3repE0EEENS1_30default_config_static_selectorELNS0_4arch9wavefront6targetE1EEEvT1_,"axG",@progbits,_ZN7rocprim17ROCPRIM_400000_NS6detail17trampoline_kernelINS0_14default_configENS1_35adjacent_difference_config_selectorILb0EjEEZNS1_24adjacent_difference_implIS3_Lb0ELb0EPKjPjN6thrust23THRUST_200600_302600_NS4plusIjEEEE10hipError_tPvRmT2_T3_mT4_P12ihipStream_tbEUlT_E_NS1_11comp_targetILNS1_3genE10ELNS1_11target_archE1201ELNS1_3gpuE5ELNS1_3repE0EEENS1_30default_config_static_selectorELNS0_4arch9wavefront6targetE1EEEvT1_,comdat
	.protected	_ZN7rocprim17ROCPRIM_400000_NS6detail17trampoline_kernelINS0_14default_configENS1_35adjacent_difference_config_selectorILb0EjEEZNS1_24adjacent_difference_implIS3_Lb0ELb0EPKjPjN6thrust23THRUST_200600_302600_NS4plusIjEEEE10hipError_tPvRmT2_T3_mT4_P12ihipStream_tbEUlT_E_NS1_11comp_targetILNS1_3genE10ELNS1_11target_archE1201ELNS1_3gpuE5ELNS1_3repE0EEENS1_30default_config_static_selectorELNS0_4arch9wavefront6targetE1EEEvT1_ ; -- Begin function _ZN7rocprim17ROCPRIM_400000_NS6detail17trampoline_kernelINS0_14default_configENS1_35adjacent_difference_config_selectorILb0EjEEZNS1_24adjacent_difference_implIS3_Lb0ELb0EPKjPjN6thrust23THRUST_200600_302600_NS4plusIjEEEE10hipError_tPvRmT2_T3_mT4_P12ihipStream_tbEUlT_E_NS1_11comp_targetILNS1_3genE10ELNS1_11target_archE1201ELNS1_3gpuE5ELNS1_3repE0EEENS1_30default_config_static_selectorELNS0_4arch9wavefront6targetE1EEEvT1_
	.globl	_ZN7rocprim17ROCPRIM_400000_NS6detail17trampoline_kernelINS0_14default_configENS1_35adjacent_difference_config_selectorILb0EjEEZNS1_24adjacent_difference_implIS3_Lb0ELb0EPKjPjN6thrust23THRUST_200600_302600_NS4plusIjEEEE10hipError_tPvRmT2_T3_mT4_P12ihipStream_tbEUlT_E_NS1_11comp_targetILNS1_3genE10ELNS1_11target_archE1201ELNS1_3gpuE5ELNS1_3repE0EEENS1_30default_config_static_selectorELNS0_4arch9wavefront6targetE1EEEvT1_
	.p2align	8
	.type	_ZN7rocprim17ROCPRIM_400000_NS6detail17trampoline_kernelINS0_14default_configENS1_35adjacent_difference_config_selectorILb0EjEEZNS1_24adjacent_difference_implIS3_Lb0ELb0EPKjPjN6thrust23THRUST_200600_302600_NS4plusIjEEEE10hipError_tPvRmT2_T3_mT4_P12ihipStream_tbEUlT_E_NS1_11comp_targetILNS1_3genE10ELNS1_11target_archE1201ELNS1_3gpuE5ELNS1_3repE0EEENS1_30default_config_static_selectorELNS0_4arch9wavefront6targetE1EEEvT1_,@function
_ZN7rocprim17ROCPRIM_400000_NS6detail17trampoline_kernelINS0_14default_configENS1_35adjacent_difference_config_selectorILb0EjEEZNS1_24adjacent_difference_implIS3_Lb0ELb0EPKjPjN6thrust23THRUST_200600_302600_NS4plusIjEEEE10hipError_tPvRmT2_T3_mT4_P12ihipStream_tbEUlT_E_NS1_11comp_targetILNS1_3genE10ELNS1_11target_archE1201ELNS1_3gpuE5ELNS1_3repE0EEENS1_30default_config_static_selectorELNS0_4arch9wavefront6targetE1EEEvT1_: ; @_ZN7rocprim17ROCPRIM_400000_NS6detail17trampoline_kernelINS0_14default_configENS1_35adjacent_difference_config_selectorILb0EjEEZNS1_24adjacent_difference_implIS3_Lb0ELb0EPKjPjN6thrust23THRUST_200600_302600_NS4plusIjEEEE10hipError_tPvRmT2_T3_mT4_P12ihipStream_tbEUlT_E_NS1_11comp_targetILNS1_3genE10ELNS1_11target_archE1201ELNS1_3gpuE5ELNS1_3repE0EEENS1_30default_config_static_selectorELNS0_4arch9wavefront6targetE1EEEvT1_
; %bb.0:
	.section	.rodata,"a",@progbits
	.p2align	6, 0x0
	.amdhsa_kernel _ZN7rocprim17ROCPRIM_400000_NS6detail17trampoline_kernelINS0_14default_configENS1_35adjacent_difference_config_selectorILb0EjEEZNS1_24adjacent_difference_implIS3_Lb0ELb0EPKjPjN6thrust23THRUST_200600_302600_NS4plusIjEEEE10hipError_tPvRmT2_T3_mT4_P12ihipStream_tbEUlT_E_NS1_11comp_targetILNS1_3genE10ELNS1_11target_archE1201ELNS1_3gpuE5ELNS1_3repE0EEENS1_30default_config_static_selectorELNS0_4arch9wavefront6targetE1EEEvT1_
		.amdhsa_group_segment_fixed_size 0
		.amdhsa_private_segment_fixed_size 0
		.amdhsa_kernarg_size 56
		.amdhsa_user_sgpr_count 2
		.amdhsa_user_sgpr_dispatch_ptr 0
		.amdhsa_user_sgpr_queue_ptr 0
		.amdhsa_user_sgpr_kernarg_segment_ptr 1
		.amdhsa_user_sgpr_dispatch_id 0
		.amdhsa_user_sgpr_kernarg_preload_length 0
		.amdhsa_user_sgpr_kernarg_preload_offset 0
		.amdhsa_user_sgpr_private_segment_size 0
		.amdhsa_uses_dynamic_stack 0
		.amdhsa_enable_private_segment 0
		.amdhsa_system_sgpr_workgroup_id_x 1
		.amdhsa_system_sgpr_workgroup_id_y 0
		.amdhsa_system_sgpr_workgroup_id_z 0
		.amdhsa_system_sgpr_workgroup_info 0
		.amdhsa_system_vgpr_workitem_id 0
		.amdhsa_next_free_vgpr 1
		.amdhsa_next_free_sgpr 0
		.amdhsa_accum_offset 4
		.amdhsa_reserve_vcc 0
		.amdhsa_float_round_mode_32 0
		.amdhsa_float_round_mode_16_64 0
		.amdhsa_float_denorm_mode_32 3
		.amdhsa_float_denorm_mode_16_64 3
		.amdhsa_dx10_clamp 1
		.amdhsa_ieee_mode 1
		.amdhsa_fp16_overflow 0
		.amdhsa_tg_split 0
		.amdhsa_exception_fp_ieee_invalid_op 0
		.amdhsa_exception_fp_denorm_src 0
		.amdhsa_exception_fp_ieee_div_zero 0
		.amdhsa_exception_fp_ieee_overflow 0
		.amdhsa_exception_fp_ieee_underflow 0
		.amdhsa_exception_fp_ieee_inexact 0
		.amdhsa_exception_int_div_zero 0
	.end_amdhsa_kernel
	.section	.text._ZN7rocprim17ROCPRIM_400000_NS6detail17trampoline_kernelINS0_14default_configENS1_35adjacent_difference_config_selectorILb0EjEEZNS1_24adjacent_difference_implIS3_Lb0ELb0EPKjPjN6thrust23THRUST_200600_302600_NS4plusIjEEEE10hipError_tPvRmT2_T3_mT4_P12ihipStream_tbEUlT_E_NS1_11comp_targetILNS1_3genE10ELNS1_11target_archE1201ELNS1_3gpuE5ELNS1_3repE0EEENS1_30default_config_static_selectorELNS0_4arch9wavefront6targetE1EEEvT1_,"axG",@progbits,_ZN7rocprim17ROCPRIM_400000_NS6detail17trampoline_kernelINS0_14default_configENS1_35adjacent_difference_config_selectorILb0EjEEZNS1_24adjacent_difference_implIS3_Lb0ELb0EPKjPjN6thrust23THRUST_200600_302600_NS4plusIjEEEE10hipError_tPvRmT2_T3_mT4_P12ihipStream_tbEUlT_E_NS1_11comp_targetILNS1_3genE10ELNS1_11target_archE1201ELNS1_3gpuE5ELNS1_3repE0EEENS1_30default_config_static_selectorELNS0_4arch9wavefront6targetE1EEEvT1_,comdat
.Lfunc_end592:
	.size	_ZN7rocprim17ROCPRIM_400000_NS6detail17trampoline_kernelINS0_14default_configENS1_35adjacent_difference_config_selectorILb0EjEEZNS1_24adjacent_difference_implIS3_Lb0ELb0EPKjPjN6thrust23THRUST_200600_302600_NS4plusIjEEEE10hipError_tPvRmT2_T3_mT4_P12ihipStream_tbEUlT_E_NS1_11comp_targetILNS1_3genE10ELNS1_11target_archE1201ELNS1_3gpuE5ELNS1_3repE0EEENS1_30default_config_static_selectorELNS0_4arch9wavefront6targetE1EEEvT1_, .Lfunc_end592-_ZN7rocprim17ROCPRIM_400000_NS6detail17trampoline_kernelINS0_14default_configENS1_35adjacent_difference_config_selectorILb0EjEEZNS1_24adjacent_difference_implIS3_Lb0ELb0EPKjPjN6thrust23THRUST_200600_302600_NS4plusIjEEEE10hipError_tPvRmT2_T3_mT4_P12ihipStream_tbEUlT_E_NS1_11comp_targetILNS1_3genE10ELNS1_11target_archE1201ELNS1_3gpuE5ELNS1_3repE0EEENS1_30default_config_static_selectorELNS0_4arch9wavefront6targetE1EEEvT1_
                                        ; -- End function
	.section	.AMDGPU.csdata,"",@progbits
; Kernel info:
; codeLenInByte = 0
; NumSgprs: 6
; NumVgprs: 0
; NumAgprs: 0
; TotalNumVgprs: 0
; ScratchSize: 0
; MemoryBound: 0
; FloatMode: 240
; IeeeMode: 1
; LDSByteSize: 0 bytes/workgroup (compile time only)
; SGPRBlocks: 0
; VGPRBlocks: 0
; NumSGPRsForWavesPerEU: 6
; NumVGPRsForWavesPerEU: 1
; AccumOffset: 4
; Occupancy: 8
; WaveLimiterHint : 0
; COMPUTE_PGM_RSRC2:SCRATCH_EN: 0
; COMPUTE_PGM_RSRC2:USER_SGPR: 2
; COMPUTE_PGM_RSRC2:TRAP_HANDLER: 0
; COMPUTE_PGM_RSRC2:TGID_X_EN: 1
; COMPUTE_PGM_RSRC2:TGID_Y_EN: 0
; COMPUTE_PGM_RSRC2:TGID_Z_EN: 0
; COMPUTE_PGM_RSRC2:TIDIG_COMP_CNT: 0
; COMPUTE_PGM_RSRC3_GFX90A:ACCUM_OFFSET: 0
; COMPUTE_PGM_RSRC3_GFX90A:TG_SPLIT: 0
	.section	.text._ZN7rocprim17ROCPRIM_400000_NS6detail17trampoline_kernelINS0_14default_configENS1_35adjacent_difference_config_selectorILb0EjEEZNS1_24adjacent_difference_implIS3_Lb0ELb0EPKjPjN6thrust23THRUST_200600_302600_NS4plusIjEEEE10hipError_tPvRmT2_T3_mT4_P12ihipStream_tbEUlT_E_NS1_11comp_targetILNS1_3genE5ELNS1_11target_archE942ELNS1_3gpuE9ELNS1_3repE0EEENS1_30default_config_static_selectorELNS0_4arch9wavefront6targetE1EEEvT1_,"axG",@progbits,_ZN7rocprim17ROCPRIM_400000_NS6detail17trampoline_kernelINS0_14default_configENS1_35adjacent_difference_config_selectorILb0EjEEZNS1_24adjacent_difference_implIS3_Lb0ELb0EPKjPjN6thrust23THRUST_200600_302600_NS4plusIjEEEE10hipError_tPvRmT2_T3_mT4_P12ihipStream_tbEUlT_E_NS1_11comp_targetILNS1_3genE5ELNS1_11target_archE942ELNS1_3gpuE9ELNS1_3repE0EEENS1_30default_config_static_selectorELNS0_4arch9wavefront6targetE1EEEvT1_,comdat
	.protected	_ZN7rocprim17ROCPRIM_400000_NS6detail17trampoline_kernelINS0_14default_configENS1_35adjacent_difference_config_selectorILb0EjEEZNS1_24adjacent_difference_implIS3_Lb0ELb0EPKjPjN6thrust23THRUST_200600_302600_NS4plusIjEEEE10hipError_tPvRmT2_T3_mT4_P12ihipStream_tbEUlT_E_NS1_11comp_targetILNS1_3genE5ELNS1_11target_archE942ELNS1_3gpuE9ELNS1_3repE0EEENS1_30default_config_static_selectorELNS0_4arch9wavefront6targetE1EEEvT1_ ; -- Begin function _ZN7rocprim17ROCPRIM_400000_NS6detail17trampoline_kernelINS0_14default_configENS1_35adjacent_difference_config_selectorILb0EjEEZNS1_24adjacent_difference_implIS3_Lb0ELb0EPKjPjN6thrust23THRUST_200600_302600_NS4plusIjEEEE10hipError_tPvRmT2_T3_mT4_P12ihipStream_tbEUlT_E_NS1_11comp_targetILNS1_3genE5ELNS1_11target_archE942ELNS1_3gpuE9ELNS1_3repE0EEENS1_30default_config_static_selectorELNS0_4arch9wavefront6targetE1EEEvT1_
	.globl	_ZN7rocprim17ROCPRIM_400000_NS6detail17trampoline_kernelINS0_14default_configENS1_35adjacent_difference_config_selectorILb0EjEEZNS1_24adjacent_difference_implIS3_Lb0ELb0EPKjPjN6thrust23THRUST_200600_302600_NS4plusIjEEEE10hipError_tPvRmT2_T3_mT4_P12ihipStream_tbEUlT_E_NS1_11comp_targetILNS1_3genE5ELNS1_11target_archE942ELNS1_3gpuE9ELNS1_3repE0EEENS1_30default_config_static_selectorELNS0_4arch9wavefront6targetE1EEEvT1_
	.p2align	8
	.type	_ZN7rocprim17ROCPRIM_400000_NS6detail17trampoline_kernelINS0_14default_configENS1_35adjacent_difference_config_selectorILb0EjEEZNS1_24adjacent_difference_implIS3_Lb0ELb0EPKjPjN6thrust23THRUST_200600_302600_NS4plusIjEEEE10hipError_tPvRmT2_T3_mT4_P12ihipStream_tbEUlT_E_NS1_11comp_targetILNS1_3genE5ELNS1_11target_archE942ELNS1_3gpuE9ELNS1_3repE0EEENS1_30default_config_static_selectorELNS0_4arch9wavefront6targetE1EEEvT1_,@function
_ZN7rocprim17ROCPRIM_400000_NS6detail17trampoline_kernelINS0_14default_configENS1_35adjacent_difference_config_selectorILb0EjEEZNS1_24adjacent_difference_implIS3_Lb0ELb0EPKjPjN6thrust23THRUST_200600_302600_NS4plusIjEEEE10hipError_tPvRmT2_T3_mT4_P12ihipStream_tbEUlT_E_NS1_11comp_targetILNS1_3genE5ELNS1_11target_archE942ELNS1_3gpuE9ELNS1_3repE0EEENS1_30default_config_static_selectorELNS0_4arch9wavefront6targetE1EEEvT1_: ; @_ZN7rocprim17ROCPRIM_400000_NS6detail17trampoline_kernelINS0_14default_configENS1_35adjacent_difference_config_selectorILb0EjEEZNS1_24adjacent_difference_implIS3_Lb0ELb0EPKjPjN6thrust23THRUST_200600_302600_NS4plusIjEEEE10hipError_tPvRmT2_T3_mT4_P12ihipStream_tbEUlT_E_NS1_11comp_targetILNS1_3genE5ELNS1_11target_archE942ELNS1_3gpuE9ELNS1_3repE0EEENS1_30default_config_static_selectorELNS0_4arch9wavefront6targetE1EEEvT1_
; %bb.0:
	s_load_dwordx8 s[4:11], s[0:1], 0x0
	s_mov_b32 s12, 0x8234f460
	s_movk_i32 s3, 0x740
	s_load_dwordx2 s[0:1], s[0:1], 0x30
	s_waitcnt lgkmcnt(0)
	s_lshl_b64 s[6:7], s[6:7], 2
	s_add_u32 s20, s4, s6
	s_addc_u32 s21, s5, s7
	s_add_u32 s12, 0xec, s12
	s_addc_u32 s14, 0, 0
	v_add_co_u32_e64 v1, s[12:13], s12, 2.0
	s_cmp_lg_u64 s[12:13], 0
	s_addc_u32 s12, s14, 0x234f72
	v_readfirstlane_b32 s14, v1
	s_mul_hi_u32 s15, s14, 0xfffff8c0
	s_mul_i32 s13, s12, 0xfffff8c0
	s_sub_i32 s15, s15, s14
	s_add_i32 s15, s15, s13
	s_mul_i32 s17, s14, 0xfffff8c0
	s_mul_hi_u32 s13, s14, s15
	s_mul_i32 s16, s14, s15
	s_mul_hi_u32 s14, s14, s17
	s_add_u32 s14, s14, s16
	s_addc_u32 s13, 0, s13
	s_mul_hi_u32 s18, s12, s17
	s_mul_i32 s17, s12, s17
	s_add_u32 s14, s14, s17
	s_mul_hi_u32 s16, s12, s15
	s_addc_u32 s13, s13, s18
	s_addc_u32 s14, s16, 0
	s_mul_i32 s15, s12, s15
	s_add_u32 s13, s13, s15
	s_addc_u32 s14, 0, s14
	v_add_co_u32_e32 v1, vcc, s13, v1
	s_cmp_lg_u64 vcc, 0
	s_addc_u32 s12, s12, s14
	v_readfirstlane_b32 s15, v1
	s_mul_i32 s14, s10, s12
	s_mul_hi_u32 s16, s10, s15
	s_mul_hi_u32 s13, s10, s12
	s_add_u32 s14, s16, s14
	s_addc_u32 s13, 0, s13
	s_mul_hi_u32 s17, s11, s15
	s_mul_i32 s15, s11, s15
	s_add_u32 s14, s14, s15
	s_mul_hi_u32 s16, s11, s12
	s_addc_u32 s13, s13, s17
	s_addc_u32 s14, s16, 0
	s_mul_i32 s12, s11, s12
	s_add_u32 s12, s13, s12
	s_addc_u32 s13, 0, s14
	s_add_u32 s14, s12, 1
	s_addc_u32 s15, s13, 0
	s_add_u32 s16, s12, 2
	s_mul_i32 s18, s13, 0x740
	s_mul_hi_u32 s19, s12, 0x740
	s_addc_u32 s17, s13, 0
	s_add_i32 s19, s19, s18
	s_mul_i32 s18, s12, 0x740
	v_mov_b32_e32 v1, s18
	v_sub_co_u32_e32 v1, vcc, s10, v1
	s_cmp_lg_u64 vcc, 0
	s_subb_u32 s18, s11, s19
	v_subrev_co_u32_e32 v2, vcc, s3, v1
	s_cmp_lg_u64 vcc, 0
	s_subb_u32 s3, s18, 0
	v_readfirstlane_b32 s19, v2
	s_cmpk_gt_u32 s19, 0x73f
	s_cselect_b32 s19, -1, 0
	s_cmp_eq_u32 s3, 0
	s_cselect_b32 s3, s19, -1
	s_cmp_lg_u32 s3, 0
	s_cselect_b32 s3, s16, s14
	s_cselect_b32 s14, s17, s15
	v_readfirstlane_b32 s15, v1
	s_cmpk_gt_u32 s15, 0x73f
	s_cselect_b32 s15, -1, 0
	s_cmp_eq_u32 s18, 0
	s_cselect_b32 s15, s15, -1
	s_cmp_lg_u32 s15, 0
	s_cselect_b32 s14, s14, s13
	s_cselect_b32 s3, s3, s12
	s_mul_i32 s12, s14, 0x740
	s_mul_hi_u32 s13, s3, 0x740
	s_add_i32 s13, s13, s12
	s_mul_i32 s12, s3, 0x740
	s_sub_u32 s12, s10, s12
	s_subb_u32 s13, s11, s13
	s_cmp_lg_u64 s[12:13], 0
	s_cselect_b64 s[12:13], -1, 0
	v_cndmask_b32_e64 v1, 0, 1, s[12:13]
	s_mul_i32 s4, s2, 0x740
	v_readfirstlane_b32 s11, v1
	s_add_u32 s12, s3, s11
	s_addc_u32 s13, s14, 0
	s_add_u32 s2, s0, s2
	s_addc_u32 s3, s1, 0
	s_add_u32 s14, s12, -1
	s_addc_u32 s15, s13, -1
	v_mov_b64_e32 v[2:3], s[14:15]
	v_cmp_ge_u64_e64 s[0:1], s[2:3], v[2:3]
	s_mov_b32 s5, 0
	s_mov_b64 s[16:17], -1
	s_and_b64 vcc, exec, s[0:1]
	s_mul_i32 s11, s14, 0xfffff8c0
	s_cbranch_vccz .LBB593_60
; %bb.1:
	s_add_i32 s22, s11, s10
	s_lshl_b64 s[16:17], s[4:5], 2
	s_add_u32 s16, s20, s16
	s_addc_u32 s17, s21, s17
	v_cmp_gt_u32_e32 vcc, s22, v0
                                        ; implicit-def: $vgpr1
	s_and_saveexec_b64 s[18:19], vcc
	s_cbranch_execz .LBB593_3
; %bb.2:
	v_lshlrev_b32_e32 v1, 2, v0
	global_load_dword v1, v1, s[16:17]
.LBB593_3:
	s_or_b64 exec, exec, s[18:19]
	v_or_b32_e32 v2, 64, v0
	v_cmp_gt_u32_e32 vcc, s22, v2
                                        ; implicit-def: $vgpr2
	s_and_saveexec_b64 s[18:19], vcc
	s_cbranch_execz .LBB593_5
; %bb.4:
	v_lshlrev_b32_e32 v2, 2, v0
	global_load_dword v2, v2, s[16:17] offset:256
.LBB593_5:
	s_or_b64 exec, exec, s[18:19]
	v_or_b32_e32 v3, 0x80, v0
	v_cmp_gt_u32_e32 vcc, s22, v3
                                        ; implicit-def: $vgpr3
	s_and_saveexec_b64 s[18:19], vcc
	s_cbranch_execz .LBB593_7
; %bb.6:
	v_lshlrev_b32_e32 v3, 2, v0
	global_load_dword v3, v3, s[16:17] offset:512
.LBB593_7:
	s_or_b64 exec, exec, s[18:19]
	v_or_b32_e32 v4, 0xc0, v0
	v_cmp_gt_u32_e32 vcc, s22, v4
                                        ; implicit-def: $vgpr4
	s_and_saveexec_b64 s[18:19], vcc
	s_cbranch_execz .LBB593_9
; %bb.8:
	v_lshlrev_b32_e32 v4, 2, v0
	global_load_dword v4, v4, s[16:17] offset:768
.LBB593_9:
	s_or_b64 exec, exec, s[18:19]
	v_or_b32_e32 v5, 0x100, v0
	v_cmp_gt_u32_e32 vcc, s22, v5
                                        ; implicit-def: $vgpr5
	s_and_saveexec_b64 s[18:19], vcc
	s_cbranch_execz .LBB593_11
; %bb.10:
	v_lshlrev_b32_e32 v5, 2, v0
	global_load_dword v5, v5, s[16:17] offset:1024
.LBB593_11:
	s_or_b64 exec, exec, s[18:19]
	v_or_b32_e32 v6, 0x140, v0
	v_cmp_gt_u32_e32 vcc, s22, v6
                                        ; implicit-def: $vgpr6
	s_and_saveexec_b64 s[18:19], vcc
	s_cbranch_execz .LBB593_13
; %bb.12:
	v_lshlrev_b32_e32 v6, 2, v0
	global_load_dword v6, v6, s[16:17] offset:1280
.LBB593_13:
	s_or_b64 exec, exec, s[18:19]
	v_or_b32_e32 v7, 0x180, v0
	v_cmp_gt_u32_e32 vcc, s22, v7
                                        ; implicit-def: $vgpr7
	s_and_saveexec_b64 s[18:19], vcc
	s_cbranch_execz .LBB593_15
; %bb.14:
	v_lshlrev_b32_e32 v7, 2, v0
	global_load_dword v7, v7, s[16:17] offset:1536
.LBB593_15:
	s_or_b64 exec, exec, s[18:19]
	v_or_b32_e32 v8, 0x1c0, v0
	v_cmp_gt_u32_e32 vcc, s22, v8
                                        ; implicit-def: $vgpr8
	s_and_saveexec_b64 s[18:19], vcc
	s_cbranch_execz .LBB593_17
; %bb.16:
	v_lshlrev_b32_e32 v8, 2, v0
	global_load_dword v8, v8, s[16:17] offset:1792
.LBB593_17:
	s_or_b64 exec, exec, s[18:19]
	v_or_b32_e32 v9, 0x200, v0
	v_cmp_gt_u32_e32 vcc, s22, v9
                                        ; implicit-def: $vgpr9
	s_and_saveexec_b64 s[18:19], vcc
	s_cbranch_execz .LBB593_19
; %bb.18:
	v_lshlrev_b32_e32 v9, 2, v0
	global_load_dword v9, v9, s[16:17] offset:2048
.LBB593_19:
	s_or_b64 exec, exec, s[18:19]
	v_or_b32_e32 v10, 0x240, v0
	v_cmp_gt_u32_e32 vcc, s22, v10
                                        ; implicit-def: $vgpr10
	s_and_saveexec_b64 s[18:19], vcc
	s_cbranch_execz .LBB593_21
; %bb.20:
	v_lshlrev_b32_e32 v10, 2, v0
	global_load_dword v10, v10, s[16:17] offset:2304
.LBB593_21:
	s_or_b64 exec, exec, s[18:19]
	v_or_b32_e32 v11, 0x280, v0
	v_cmp_gt_u32_e32 vcc, s22, v11
                                        ; implicit-def: $vgpr11
	s_and_saveexec_b64 s[18:19], vcc
	s_cbranch_execz .LBB593_23
; %bb.22:
	v_lshlrev_b32_e32 v11, 2, v0
	global_load_dword v11, v11, s[16:17] offset:2560
.LBB593_23:
	s_or_b64 exec, exec, s[18:19]
	v_or_b32_e32 v12, 0x2c0, v0
	v_cmp_gt_u32_e32 vcc, s22, v12
                                        ; implicit-def: $vgpr12
	s_and_saveexec_b64 s[18:19], vcc
	s_cbranch_execz .LBB593_25
; %bb.24:
	v_lshlrev_b32_e32 v12, 2, v0
	global_load_dword v12, v12, s[16:17] offset:2816
.LBB593_25:
	s_or_b64 exec, exec, s[18:19]
	v_or_b32_e32 v13, 0x300, v0
	v_cmp_gt_u32_e32 vcc, s22, v13
                                        ; implicit-def: $vgpr13
	s_and_saveexec_b64 s[18:19], vcc
	s_cbranch_execz .LBB593_27
; %bb.26:
	v_lshlrev_b32_e32 v13, 2, v0
	global_load_dword v13, v13, s[16:17] offset:3072
.LBB593_27:
	s_or_b64 exec, exec, s[18:19]
	v_or_b32_e32 v14, 0x340, v0
	v_cmp_gt_u32_e32 vcc, s22, v14
                                        ; implicit-def: $vgpr14
	s_and_saveexec_b64 s[18:19], vcc
	s_cbranch_execz .LBB593_29
; %bb.28:
	v_lshlrev_b32_e32 v14, 2, v0
	global_load_dword v14, v14, s[16:17] offset:3328
.LBB593_29:
	s_or_b64 exec, exec, s[18:19]
	v_or_b32_e32 v15, 0x380, v0
	v_cmp_gt_u32_e32 vcc, s22, v15
                                        ; implicit-def: $vgpr15
	s_and_saveexec_b64 s[18:19], vcc
	s_cbranch_execz .LBB593_31
; %bb.30:
	v_lshlrev_b32_e32 v15, 2, v0
	global_load_dword v15, v15, s[16:17] offset:3584
.LBB593_31:
	s_or_b64 exec, exec, s[18:19]
	v_or_b32_e32 v16, 0x3c0, v0
	v_cmp_gt_u32_e32 vcc, s22, v16
                                        ; implicit-def: $vgpr16
	s_and_saveexec_b64 s[18:19], vcc
	s_cbranch_execz .LBB593_33
; %bb.32:
	v_lshlrev_b32_e32 v16, 2, v0
	global_load_dword v16, v16, s[16:17] offset:3840
.LBB593_33:
	s_or_b64 exec, exec, s[18:19]
	v_or_b32_e32 v18, 0x400, v0
	v_cmp_gt_u32_e32 vcc, s22, v18
                                        ; implicit-def: $vgpr17
	s_and_saveexec_b64 s[18:19], vcc
	s_cbranch_execz .LBB593_35
; %bb.34:
	v_lshlrev_b32_e32 v17, 2, v18
	global_load_dword v17, v17, s[16:17]
.LBB593_35:
	s_or_b64 exec, exec, s[18:19]
	v_or_b32_e32 v19, 0x440, v0
	v_cmp_gt_u32_e32 vcc, s22, v19
                                        ; implicit-def: $vgpr18
	s_and_saveexec_b64 s[18:19], vcc
	s_cbranch_execz .LBB593_37
; %bb.36:
	v_lshlrev_b32_e32 v18, 2, v19
	global_load_dword v18, v18, s[16:17]
.LBB593_37:
	s_or_b64 exec, exec, s[18:19]
	v_or_b32_e32 v20, 0x480, v0
	v_cmp_gt_u32_e32 vcc, s22, v20
                                        ; implicit-def: $vgpr19
	s_and_saveexec_b64 s[18:19], vcc
	s_cbranch_execz .LBB593_39
; %bb.38:
	v_lshlrev_b32_e32 v19, 2, v20
	global_load_dword v19, v19, s[16:17]
.LBB593_39:
	s_or_b64 exec, exec, s[18:19]
	v_or_b32_e32 v21, 0x4c0, v0
	v_cmp_gt_u32_e32 vcc, s22, v21
                                        ; implicit-def: $vgpr20
	s_and_saveexec_b64 s[18:19], vcc
	s_cbranch_execz .LBB593_41
; %bb.40:
	v_lshlrev_b32_e32 v20, 2, v21
	global_load_dword v20, v20, s[16:17]
.LBB593_41:
	s_or_b64 exec, exec, s[18:19]
	v_or_b32_e32 v22, 0x500, v0
	v_cmp_gt_u32_e32 vcc, s22, v22
                                        ; implicit-def: $vgpr21
	s_and_saveexec_b64 s[18:19], vcc
	s_cbranch_execz .LBB593_43
; %bb.42:
	v_lshlrev_b32_e32 v21, 2, v22
	global_load_dword v21, v21, s[16:17]
.LBB593_43:
	s_or_b64 exec, exec, s[18:19]
	v_or_b32_e32 v23, 0x540, v0
	v_cmp_gt_u32_e32 vcc, s22, v23
                                        ; implicit-def: $vgpr22
	s_and_saveexec_b64 s[18:19], vcc
	s_cbranch_execz .LBB593_45
; %bb.44:
	v_lshlrev_b32_e32 v22, 2, v23
	global_load_dword v22, v22, s[16:17]
.LBB593_45:
	s_or_b64 exec, exec, s[18:19]
	v_or_b32_e32 v24, 0x580, v0
	v_cmp_gt_u32_e32 vcc, s22, v24
                                        ; implicit-def: $vgpr23
	s_and_saveexec_b64 s[18:19], vcc
	s_cbranch_execz .LBB593_47
; %bb.46:
	v_lshlrev_b32_e32 v23, 2, v24
	global_load_dword v23, v23, s[16:17]
.LBB593_47:
	s_or_b64 exec, exec, s[18:19]
	v_or_b32_e32 v25, 0x5c0, v0
	v_cmp_gt_u32_e32 vcc, s22, v25
                                        ; implicit-def: $vgpr24
	s_and_saveexec_b64 s[18:19], vcc
	s_cbranch_execz .LBB593_49
; %bb.48:
	v_lshlrev_b32_e32 v24, 2, v25
	global_load_dword v24, v24, s[16:17]
.LBB593_49:
	s_or_b64 exec, exec, s[18:19]
	v_or_b32_e32 v26, 0x600, v0
	v_cmp_gt_u32_e32 vcc, s22, v26
                                        ; implicit-def: $vgpr25
	s_and_saveexec_b64 s[18:19], vcc
	s_cbranch_execz .LBB593_51
; %bb.50:
	v_lshlrev_b32_e32 v25, 2, v26
	global_load_dword v25, v25, s[16:17]
.LBB593_51:
	s_or_b64 exec, exec, s[18:19]
	v_or_b32_e32 v27, 0x640, v0
	v_cmp_gt_u32_e32 vcc, s22, v27
                                        ; implicit-def: $vgpr26
	s_and_saveexec_b64 s[18:19], vcc
	s_cbranch_execz .LBB593_53
; %bb.52:
	v_lshlrev_b32_e32 v26, 2, v27
	global_load_dword v26, v26, s[16:17]
.LBB593_53:
	s_or_b64 exec, exec, s[18:19]
	v_or_b32_e32 v28, 0x680, v0
	v_cmp_gt_u32_e32 vcc, s22, v28
                                        ; implicit-def: $vgpr27
	s_and_saveexec_b64 s[18:19], vcc
	s_cbranch_execz .LBB593_55
; %bb.54:
	v_lshlrev_b32_e32 v27, 2, v28
	global_load_dword v27, v27, s[16:17]
.LBB593_55:
	s_or_b64 exec, exec, s[18:19]
	v_or_b32_e32 v29, 0x6c0, v0
	v_cmp_gt_u32_e32 vcc, s22, v29
                                        ; implicit-def: $vgpr28
	s_and_saveexec_b64 s[18:19], vcc
	s_cbranch_execz .LBB593_57
; %bb.56:
	v_lshlrev_b32_e32 v28, 2, v29
	global_load_dword v28, v28, s[16:17]
.LBB593_57:
	s_or_b64 exec, exec, s[18:19]
	v_or_b32_e32 v30, 0x700, v0
	v_cmp_gt_u32_e32 vcc, s22, v30
                                        ; implicit-def: $vgpr29
	s_and_saveexec_b64 s[18:19], vcc
	s_cbranch_execz .LBB593_59
; %bb.58:
	v_lshlrev_b32_e32 v29, 2, v30
	global_load_dword v29, v29, s[16:17]
.LBB593_59:
	s_or_b64 exec, exec, s[18:19]
	v_lshlrev_b32_e32 v30, 2, v0
	s_mov_b64 s[16:17], 0
	s_waitcnt vmcnt(0)
	ds_write2st64_b32 v30, v1, v2 offset1:1
	ds_write2st64_b32 v30, v3, v4 offset0:2 offset1:3
	ds_write2st64_b32 v30, v5, v6 offset0:4 offset1:5
	;; [unrolled: 1-line block ×13, first 2 shown]
	ds_write_b32 v30, v29 offset:7168
	s_waitcnt lgkmcnt(0)
	; wave barrier
.LBB593_60:
	s_and_b64 vcc, exec, s[16:17]
	v_lshlrev_b32_e32 v2, 2, v0
	s_cbranch_vccz .LBB593_62
; %bb.61:
	s_lshl_b64 s[16:17], s[4:5], 2
	s_add_u32 s16, s20, s16
	s_addc_u32 s17, s21, s17
	v_mov_b32_e32 v3, 0
	v_lshl_add_u64 v[4:5], s[16:17], 0, v[2:3]
	s_movk_i32 s5, 0x1000
	v_add_co_u32_e32 v4, vcc, s5, v4
	global_load_dword v1, v2, s[16:17]
	global_load_dword v3, v2, s[16:17] offset:256
	global_load_dword v6, v2, s[16:17] offset:512
	;; [unrolled: 1-line block ×15, first 2 shown]
	v_addc_co_u32_e32 v5, vcc, 0, v5, vcc
	global_load_dword v20, v[4:5], off
	global_load_dword v21, v[4:5], off offset:256
	global_load_dword v22, v[4:5], off offset:512
	;; [unrolled: 1-line block ×12, first 2 shown]
	s_waitcnt vmcnt(27)
	ds_write2st64_b32 v2, v1, v3 offset1:1
	s_waitcnt vmcnt(25)
	ds_write2st64_b32 v2, v6, v7 offset0:2 offset1:3
	s_waitcnt vmcnt(23)
	ds_write2st64_b32 v2, v8, v9 offset0:4 offset1:5
	;; [unrolled: 2-line block ×13, first 2 shown]
	s_waitcnt vmcnt(0)
	ds_write_b32 v2, v32 offset:7168
	s_waitcnt lgkmcnt(0)
	; wave barrier
.LBB593_62:
	v_mul_u32_u24_e32 v1, 29, v0
	v_lshlrev_b32_e32 v1, 2, v1
	s_waitcnt lgkmcnt(0)
	ds_read_b32 v3, v1 offset:112
	ds_read2_b32 v[4:5], v1 offset0:26 offset1:27
	ds_read2_b32 v[6:7], v1 offset0:24 offset1:25
	ds_read2_b32 v[30:31], v1 offset1:1
	ds_read2_b32 v[28:29], v1 offset0:2 offset1:3
	ds_read2_b32 v[26:27], v1 offset0:4 offset1:5
	;; [unrolled: 1-line block ×11, first 2 shown]
	s_cmp_eq_u64 s[2:3], 0
	s_waitcnt lgkmcnt(0)
	; wave barrier
	s_waitcnt lgkmcnt(0)
	s_cbranch_scc1 .LBB593_67
; %bb.63:
	s_mov_b32 s5, 0
	s_lshl_b64 s[16:17], s[4:5], 2
	s_add_u32 s5, s20, s16
	s_addc_u32 s17, s21, s17
	s_add_u32 s16, s5, -4
	s_addc_u32 s17, s17, -1
	s_load_dword s5, s[16:17], 0x0
	s_cmp_eq_u64 s[2:3], s[14:15]
	s_cbranch_scc1 .LBB593_68
; %bb.64:
	v_cmp_ne_u32_e32 vcc, 0, v0
	s_waitcnt lgkmcnt(0)
	v_mov_b32_e32 v1, s5
	ds_write_b32 v2, v3
	s_waitcnt lgkmcnt(0)
	; wave barrier
	s_waitcnt lgkmcnt(0)
	s_and_saveexec_b64 s[14:15], vcc
	s_cbranch_execz .LBB593_66
; %bb.65:
	v_add_u32_e32 v1, -4, v2
	ds_read_b32 v1, v1
.LBB593_66:
	s_or_b64 exec, exec, s[14:15]
	s_waitcnt lgkmcnt(0)
	v_add_u32_e32 v1, v1, v30
	s_mov_b64 s[14:15], 0
	s_branch .LBB593_69
.LBB593_67:
                                        ; implicit-def: $vgpr32_vgpr33
                                        ; implicit-def: $vgpr34_vgpr35
                                        ; implicit-def: $vgpr36_vgpr37
                                        ; implicit-def: $vgpr38_vgpr39
                                        ; implicit-def: $vgpr40_vgpr41
                                        ; implicit-def: $vgpr42_vgpr43
                                        ; implicit-def: $vgpr44_vgpr45
                                        ; implicit-def: $vgpr46_vgpr47
                                        ; implicit-def: $vgpr48_vgpr49
                                        ; implicit-def: $vgpr50_vgpr51
                                        ; implicit-def: $vgpr52_vgpr53
                                        ; implicit-def: $vgpr54_vgpr55
                                        ; implicit-def: $vgpr56_vgpr57
                                        ; implicit-def: $vgpr58_vgpr59
                                        ; implicit-def: $vgpr1
	s_branch .LBB593_74
.LBB593_68:
	s_mov_b64 s[14:15], -1
                                        ; implicit-def: $vgpr1
.LBB593_69:
	s_and_b64 vcc, exec, s[14:15]
	v_mov_b64_e32 v[32:33], v[4:5]
	v_mov_b64_e32 v[34:35], v[6:7]
	;; [unrolled: 1-line block ×14, first 2 shown]
	s_cbranch_vccz .LBB593_73
; %bb.70:
	v_mul_u32_u24_e32 v1, 29, v0
	v_cmp_ne_u32_e32 vcc, 0, v0
	s_waitcnt lgkmcnt(0)
	v_mov_b32_e32 v60, s5
	ds_write_b32 v2, v3
	s_waitcnt lgkmcnt(0)
	; wave barrier
	s_waitcnt lgkmcnt(0)
	s_and_saveexec_b64 s[14:15], vcc
	s_cbranch_execz .LBB593_72
; %bb.71:
	v_add_u32_e32 v32, -4, v2
	ds_read_b32 v60, v32
.LBB593_72:
	s_or_b64 exec, exec, s[14:15]
	s_mulk_i32 s2, 0xf8c0
	s_add_i32 s2, s2, s10
	v_add_u32_e32 v32, 28, v1
	v_add_u32_e32 v34, 27, v1
	v_cmp_gt_u32_e32 vcc, s2, v32
	v_add_u32_e32 v36, 25, v1
	v_add_u32_e32 v38, 23, v1
	v_cndmask_b32_e32 v33, 0, v5, vcc
	v_cmp_gt_u32_e32 vcc, s2, v34
	v_add_u32_e32 v34, 26, v1
	v_add_u32_e32 v40, 21, v1
	v_cndmask_b32_e32 v32, 0, v4, vcc
	;; [unrolled: 4-line block ×8, first 2 shown]
	v_cmp_gt_u32_e32 vcc, s2, v40
	v_add_u32_e32 v61, 1, v1
	s_nop 0
	v_cndmask_b32_e32 v41, 0, v13, vcc
	v_cmp_gt_u32_e32 vcc, s2, v42
	v_add_u32_e32 v42, 18, v1
	s_nop 0
	v_cndmask_b32_e32 v40, 0, v12, vcc
	v_cmp_gt_u32_e32 vcc, s2, v42
	s_nop 1
	v_cndmask_b32_e32 v43, 0, v15, vcc
	v_cmp_gt_u32_e32 vcc, s2, v44
	v_add_u32_e32 v44, 16, v1
	s_nop 0
	v_cndmask_b32_e32 v42, 0, v14, vcc
	v_cmp_gt_u32_e32 vcc, s2, v44
	;; [unrolled: 7-line block ×9, first 2 shown]
	s_nop 1
	v_cndmask_b32_e32 v59, 0, v31, vcc
	v_cmp_gt_u32_e32 vcc, s2, v61
	s_nop 1
	v_cndmask_b32_e32 v58, 0, v30, vcc
	v_cmp_gt_u32_e32 vcc, s2, v1
	s_waitcnt lgkmcnt(0)
	s_nop 0
	v_cndmask_b32_e32 v1, 0, v60, vcc
	v_add_u32_e32 v1, v1, v30
.LBB593_73:
	s_cbranch_execnz .LBB593_83
.LBB593_74:
	s_cmp_eq_u64 s[12:13], 1
	v_cmp_ne_u32_e32 vcc, 0, v0
	s_cbranch_scc1 .LBB593_78
; %bb.75:
	v_mov_b32_e32 v1, v30
	ds_write_b32 v2, v3
	s_waitcnt lgkmcnt(0)
	; wave barrier
	s_waitcnt lgkmcnt(0)
	s_and_saveexec_b64 s[2:3], vcc
	s_cbranch_execz .LBB593_77
; %bb.76:
	v_add_u32_e32 v1, -4, v2
	ds_read_b32 v1, v1
	s_waitcnt lgkmcnt(0)
	v_add_u32_e32 v1, v1, v30
.LBB593_77:
	s_or_b64 exec, exec, s[2:3]
	s_mov_b64 s[2:3], 0
	s_branch .LBB593_79
.LBB593_78:
	s_mov_b64 s[2:3], -1
                                        ; implicit-def: $vgpr1
.LBB593_79:
	s_andn2_b64 vcc, exec, s[2:3]
	v_mov_b64_e32 v[32:33], v[4:5]
	v_mov_b64_e32 v[34:35], v[6:7]
	;; [unrolled: 1-line block ×14, first 2 shown]
	s_cbranch_vccnz .LBB593_83
; %bb.80:
	v_mad_u32_u24 v32, v0, 29, 28
	v_mad_u32_u24 v34, v0, 29, 27
	v_cmp_gt_u32_e32 vcc, s10, v32
	v_mad_u32_u24 v36, v0, 29, 25
	v_mad_u32_u24 v38, v0, 29, 23
	v_cndmask_b32_e32 v33, 0, v5, vcc
	v_cmp_gt_u32_e32 vcc, s10, v34
	v_mad_u32_u24 v34, v0, 29, 26
	v_mad_u32_u24 v40, v0, 29, 21
	v_cndmask_b32_e32 v32, 0, v4, vcc
	;; [unrolled: 4-line block ×8, first 2 shown]
	v_cmp_gt_u32_e32 vcc, s10, v40
	v_mad_u32_u24 v60, v0, 29, 1
	v_mul_u32_u24_e32 v1, 29, v0
	v_cndmask_b32_e32 v41, 0, v13, vcc
	v_cmp_gt_u32_e32 vcc, s10, v42
	v_mad_u32_u24 v42, v0, 29, 18
	v_cmp_gt_u32_e64 s[2:3], s10, v1
	v_cndmask_b32_e32 v40, 0, v12, vcc
	v_cmp_gt_u32_e32 vcc, s10, v42
	ds_write_b32 v2, v3
	s_waitcnt lgkmcnt(0)
	v_cndmask_b32_e32 v43, 0, v15, vcc
	v_cmp_gt_u32_e32 vcc, s10, v44
	v_mad_u32_u24 v44, v0, 29, 16
	; wave barrier
	s_nop 0
	v_cndmask_b32_e32 v42, 0, v14, vcc
	v_cmp_gt_u32_e32 vcc, s10, v44
	s_nop 1
	v_cndmask_b32_e32 v45, 0, v17, vcc
	v_cmp_gt_u32_e32 vcc, s10, v46
	v_mad_u32_u24 v46, v0, 29, 14
	s_nop 0
	v_cndmask_b32_e32 v44, 0, v16, vcc
	v_cmp_gt_u32_e32 vcc, s10, v46
	s_nop 1
	v_cndmask_b32_e32 v47, 0, v19, vcc
	v_cmp_gt_u32_e32 vcc, s10, v48
	v_mad_u32_u24 v48, v0, 29, 12
	;; [unrolled: 7-line block ×7, first 2 shown]
	s_nop 0
	v_cndmask_b32_e32 v56, 0, v28, vcc
	v_cmp_gt_u32_e32 vcc, s10, v58
	s_nop 1
	v_cndmask_b32_e32 v59, 0, v31, vcc
	v_cmp_gt_u32_e32 vcc, s10, v60
	s_nop 1
	v_cndmask_b32_e32 v58, 0, v30, vcc
	v_cmp_ne_u32_e32 vcc, 0, v0
	s_and_b64 s[12:13], vcc, s[2:3]
	s_and_saveexec_b64 s[2:3], s[12:13]
	s_cbranch_execz .LBB593_82
; %bb.81:
	v_add_u32_e32 v1, -4, v2
	ds_read_b32 v1, v1
	s_waitcnt lgkmcnt(0)
	v_add_u32_e32 v30, v1, v30
.LBB593_82:
	s_or_b64 exec, exec, s[2:3]
	v_mov_b32_e32 v1, v30
.LBB593_83:
	s_add_u32 s6, s8, s6
	s_addc_u32 s7, s9, s7
	v_add_u32_e32 v59, v59, v28
	v_add_u32_e32 v58, v58, v31
	v_add_u32_e32 v57, v57, v26
	v_add_u32_e32 v56, v56, v29
	v_add_u32_e32 v55, v55, v24
	v_add_u32_e32 v54, v54, v27
	v_add_u32_e32 v53, v53, v22
	v_add_u32_e32 v52, v52, v25
	v_add_u32_e32 v51, v51, v20
	v_add_u32_e32 v50, v50, v23
	v_add_u32_e32 v49, v49, v18
	v_add_u32_e32 v48, v48, v21
	v_add_u32_e32 v47, v47, v16
	v_add_u32_e32 v46, v46, v19
	v_add_u32_e32 v45, v45, v14
	v_add_u32_e32 v44, v44, v17
	v_add_u32_e32 v43, v43, v12
	v_add_u32_e32 v42, v42, v15
	v_add_u32_e32 v41, v41, v10
	v_add_u32_e32 v40, v40, v13
	v_add_u32_e32 v39, v39, v8
	v_add_u32_e32 v38, v38, v11
	v_add_u32_e32 v37, v37, v6
	v_add_u32_e32 v36, v36, v9
	v_add_u32_e32 v35, v35, v4
	v_add_u32_e32 v34, v34, v7
	v_add_u32_e32 v60, v33, v3
	v_add_u32_e32 v61, v32, v5
	s_and_b64 vcc, exec, s[0:1]
	s_waitcnt lgkmcnt(0)
	; wave barrier
	s_waitcnt lgkmcnt(0)
	s_cbranch_vccz .LBB593_141
; %bb.84:
	s_movk_i32 s2, 0x74
	v_mul_i32_i24_e32 v63, 0xffffff90, v0
	v_mul_u32_u24_e32 v62, 0x74, v0
	v_mad_u32_u24 v3, v0, s2, v63
	ds_write_b32 v62, v1
	ds_write2_b32 v62, v58, v59 offset0:1 offset1:2
	ds_write2_b32 v62, v56, v57 offset0:3 offset1:4
	;; [unrolled: 1-line block ×14, first 2 shown]
	s_waitcnt lgkmcnt(0)
	; wave barrier
	s_waitcnt lgkmcnt(0)
	ds_read2st64_b32 v[32:33], v3 offset0:1 offset1:2
	ds_read2st64_b32 v[30:31], v3 offset0:3 offset1:4
	;; [unrolled: 1-line block ×14, first 2 shown]
	s_mov_b32 s5, 0
	s_add_i32 s11, s11, s10
	s_lshl_b64 s[0:1], s[4:5], 2
	s_add_u32 s0, s6, s0
	s_addc_u32 s1, s7, s1
	v_mov_b32_e32 v3, 0
	v_lshl_add_u64 v[6:7], s[0:1], 0, v[2:3]
	v_cmp_gt_u32_e32 vcc, s11, v0
	s_and_saveexec_b64 s[0:1], vcc
	s_cbranch_execz .LBB593_86
; %bb.85:
	v_add_u32_e32 v3, v62, v63
	ds_read_b32 v3, v3
	s_waitcnt lgkmcnt(0)
	global_store_dword v[6:7], v3, off
.LBB593_86:
	s_or_b64 exec, exec, s[0:1]
	v_or_b32_e32 v3, 64, v0
	v_cmp_gt_u32_e32 vcc, s11, v3
	s_and_saveexec_b64 s[0:1], vcc
	s_cbranch_execz .LBB593_88
; %bb.87:
	s_waitcnt lgkmcnt(13)
	global_store_dword v[6:7], v32, off offset:256
.LBB593_88:
	s_or_b64 exec, exec, s[0:1]
	v_or_b32_e32 v3, 0x80, v0
	v_cmp_gt_u32_e32 vcc, s11, v3
	s_and_saveexec_b64 s[0:1], vcc
	s_cbranch_execz .LBB593_90
; %bb.89:
	s_waitcnt lgkmcnt(13)
	global_store_dword v[6:7], v33, off offset:512
.LBB593_90:
	s_or_b64 exec, exec, s[0:1]
	v_or_b32_e32 v3, 0xc0, v0
	v_cmp_gt_u32_e32 vcc, s11, v3
	s_and_saveexec_b64 s[0:1], vcc
	s_cbranch_execz .LBB593_92
; %bb.91:
	s_waitcnt lgkmcnt(12)
	global_store_dword v[6:7], v30, off offset:768
.LBB593_92:
	s_or_b64 exec, exec, s[0:1]
	v_or_b32_e32 v3, 0x100, v0
	v_cmp_gt_u32_e32 vcc, s11, v3
	s_and_saveexec_b64 s[0:1], vcc
	s_cbranch_execz .LBB593_94
; %bb.93:
	s_waitcnt lgkmcnt(12)
	global_store_dword v[6:7], v31, off offset:1024
.LBB593_94:
	s_or_b64 exec, exec, s[0:1]
	v_or_b32_e32 v3, 0x140, v0
	v_cmp_gt_u32_e32 vcc, s11, v3
	s_and_saveexec_b64 s[0:1], vcc
	s_cbranch_execz .LBB593_96
; %bb.95:
	s_waitcnt lgkmcnt(11)
	global_store_dword v[6:7], v28, off offset:1280
.LBB593_96:
	s_or_b64 exec, exec, s[0:1]
	v_or_b32_e32 v3, 0x180, v0
	v_cmp_gt_u32_e32 vcc, s11, v3
	s_and_saveexec_b64 s[0:1], vcc
	s_cbranch_execz .LBB593_98
; %bb.97:
	s_waitcnt lgkmcnt(11)
	global_store_dword v[6:7], v29, off offset:1536
.LBB593_98:
	s_or_b64 exec, exec, s[0:1]
	v_or_b32_e32 v3, 0x1c0, v0
	v_cmp_gt_u32_e32 vcc, s11, v3
	s_and_saveexec_b64 s[0:1], vcc
	s_cbranch_execz .LBB593_100
; %bb.99:
	s_waitcnt lgkmcnt(10)
	global_store_dword v[6:7], v26, off offset:1792
.LBB593_100:
	s_or_b64 exec, exec, s[0:1]
	v_or_b32_e32 v3, 0x200, v0
	v_cmp_gt_u32_e32 vcc, s11, v3
	s_and_saveexec_b64 s[0:1], vcc
	s_cbranch_execz .LBB593_102
; %bb.101:
	s_waitcnt lgkmcnt(10)
	global_store_dword v[6:7], v27, off offset:2048
.LBB593_102:
	s_or_b64 exec, exec, s[0:1]
	v_or_b32_e32 v3, 0x240, v0
	v_cmp_gt_u32_e32 vcc, s11, v3
	s_and_saveexec_b64 s[0:1], vcc
	s_cbranch_execz .LBB593_104
; %bb.103:
	s_waitcnt lgkmcnt(9)
	global_store_dword v[6:7], v24, off offset:2304
.LBB593_104:
	s_or_b64 exec, exec, s[0:1]
	v_or_b32_e32 v3, 0x280, v0
	v_cmp_gt_u32_e32 vcc, s11, v3
	s_and_saveexec_b64 s[0:1], vcc
	s_cbranch_execz .LBB593_106
; %bb.105:
	s_waitcnt lgkmcnt(9)
	global_store_dword v[6:7], v25, off offset:2560
.LBB593_106:
	s_or_b64 exec, exec, s[0:1]
	v_or_b32_e32 v3, 0x2c0, v0
	v_cmp_gt_u32_e32 vcc, s11, v3
	s_and_saveexec_b64 s[0:1], vcc
	s_cbranch_execz .LBB593_108
; %bb.107:
	s_waitcnt lgkmcnt(8)
	global_store_dword v[6:7], v22, off offset:2816
.LBB593_108:
	s_or_b64 exec, exec, s[0:1]
	v_or_b32_e32 v3, 0x300, v0
	v_cmp_gt_u32_e32 vcc, s11, v3
	s_and_saveexec_b64 s[0:1], vcc
	s_cbranch_execz .LBB593_110
; %bb.109:
	s_waitcnt lgkmcnt(8)
	global_store_dword v[6:7], v23, off offset:3072
.LBB593_110:
	s_or_b64 exec, exec, s[0:1]
	v_or_b32_e32 v3, 0x340, v0
	v_cmp_gt_u32_e32 vcc, s11, v3
	s_and_saveexec_b64 s[0:1], vcc
	s_cbranch_execz .LBB593_112
; %bb.111:
	s_waitcnt lgkmcnt(7)
	global_store_dword v[6:7], v20, off offset:3328
.LBB593_112:
	s_or_b64 exec, exec, s[0:1]
	v_or_b32_e32 v3, 0x380, v0
	v_cmp_gt_u32_e32 vcc, s11, v3
	s_and_saveexec_b64 s[0:1], vcc
	s_cbranch_execz .LBB593_114
; %bb.113:
	s_waitcnt lgkmcnt(7)
	global_store_dword v[6:7], v21, off offset:3584
.LBB593_114:
	s_or_b64 exec, exec, s[0:1]
	v_or_b32_e32 v3, 0x3c0, v0
	v_cmp_gt_u32_e32 vcc, s11, v3
	s_and_saveexec_b64 s[0:1], vcc
	s_cbranch_execz .LBB593_116
; %bb.115:
	s_waitcnt lgkmcnt(6)
	global_store_dword v[6:7], v18, off offset:3840
.LBB593_116:
	s_or_b64 exec, exec, s[0:1]
	v_or_b32_e32 v3, 0x400, v0
	v_cmp_gt_u32_e32 vcc, s11, v3
	s_and_saveexec_b64 s[0:1], vcc
	s_cbranch_execz .LBB593_118
; %bb.117:
	s_waitcnt lgkmcnt(7)
	v_add_co_u32_e32 v20, vcc, 0x1000, v6
	s_nop 1
	v_addc_co_u32_e32 v21, vcc, 0, v7, vcc
	s_waitcnt lgkmcnt(6)
	global_store_dword v[20:21], v19, off
.LBB593_118:
	s_or_b64 exec, exec, s[0:1]
	v_or_b32_e32 v3, 0x440, v0
	v_cmp_gt_u32_e32 vcc, s11, v3
	s_and_saveexec_b64 s[0:1], vcc
	s_cbranch_execz .LBB593_120
; %bb.119:
	s_waitcnt lgkmcnt(6)
	v_add_co_u32_e32 v18, vcc, 0x1000, v6
	s_nop 1
	v_addc_co_u32_e32 v19, vcc, 0, v7, vcc
	s_waitcnt lgkmcnt(5)
	global_store_dword v[18:19], v16, off offset:256
.LBB593_120:
	s_or_b64 exec, exec, s[0:1]
	v_or_b32_e32 v3, 0x480, v0
	v_cmp_gt_u32_e32 vcc, s11, v3
	s_and_saveexec_b64 s[0:1], vcc
	s_cbranch_execz .LBB593_122
; %bb.121:
	s_waitcnt lgkmcnt(6)
	v_add_co_u32_e32 v18, vcc, 0x1000, v6
	s_nop 1
	v_addc_co_u32_e32 v19, vcc, 0, v7, vcc
	s_waitcnt lgkmcnt(5)
	global_store_dword v[18:19], v17, off offset:512
.LBB593_122:
	;; [unrolled: 13-line block ×11, first 2 shown]
	s_or_b64 exec, exec, s[0:1]
	v_or_b32_e32 v3, 0x700, v0
	v_cmp_gt_u32_e64 s[0:1], s11, v3
	s_branch .LBB593_143
.LBB593_141:
	s_mov_b64 s[0:1], 0
                                        ; implicit-def: $vgpr5
                                        ; implicit-def: $vgpr6_vgpr7
	s_cbranch_execz .LBB593_143
; %bb.142:
	s_mov_b32 s5, 0
	v_mul_u32_u24_e32 v3, 0x74, v0
	s_lshl_b64 s[2:3], s[4:5], 2
	s_movk_i32 s4, 0x74
	ds_write_b32 v3, v1
	ds_write2_b32 v3, v58, v59 offset0:1 offset1:2
	ds_write2_b32 v3, v56, v57 offset0:3 offset1:4
	;; [unrolled: 1-line block ×14, first 2 shown]
	v_mul_i32_i24_e32 v1, 0xffffff90, v0
	s_add_u32 s2, s6, s2
	v_mad_u32_u24 v3, v0, s4, v1
	s_addc_u32 s3, s7, s3
	s_waitcnt lgkmcnt(0)
	; wave barrier
	s_waitcnt lgkmcnt(0)
	ds_read2st64_b32 v[0:1], v3 offset1:1
	ds_read2st64_b32 v[8:9], v3 offset0:2 offset1:3
	ds_read2st64_b32 v[10:11], v3 offset0:4 offset1:5
	;; [unrolled: 1-line block ×13, first 2 shown]
	ds_read_b32 v5, v3 offset:7168
	v_mov_b32_e32 v3, 0
	v_lshl_add_u64 v[6:7], s[2:3], 0, v[2:3]
	s_waitcnt lgkmcnt(14)
	global_store_dword v2, v0, s[2:3]
	global_store_dword v2, v1, s[2:3] offset:256
	s_waitcnt lgkmcnt(13)
	global_store_dword v2, v8, s[2:3] offset:512
	global_store_dword v2, v9, s[2:3] offset:768
	s_waitcnt lgkmcnt(12)
	global_store_dword v2, v10, s[2:3] offset:1024
	;; [unrolled: 3-line block ×7, first 2 shown]
	global_store_dword v2, v21, s[2:3] offset:3840
	s_movk_i32 s2, 0x1000
	v_add_co_u32_e32 v0, vcc, s2, v6
	s_or_b64 s[0:1], s[0:1], exec
	s_nop 0
	v_addc_co_u32_e32 v1, vcc, 0, v7, vcc
	s_waitcnt lgkmcnt(6)
	global_store_dword v[0:1], v22, off
	global_store_dword v[0:1], v23, off offset:256
	s_waitcnt lgkmcnt(5)
	global_store_dword v[0:1], v24, off offset:512
	global_store_dword v[0:1], v25, off offset:768
	s_waitcnt lgkmcnt(4)
	global_store_dword v[0:1], v26, off offset:1024
	;; [unrolled: 3-line block ×5, first 2 shown]
	global_store_dword v[0:1], v33, off offset:2816
.LBB593_143:
	s_and_saveexec_b64 s[2:3], s[0:1]
	s_cbranch_execnz .LBB593_145
; %bb.144:
	s_endpgm
.LBB593_145:
	v_add_co_u32_e32 v0, vcc, 0x1000, v6
	s_nop 1
	v_addc_co_u32_e32 v1, vcc, 0, v7, vcc
	s_waitcnt lgkmcnt(0)
	global_store_dword v[0:1], v5, off offset:3072
	s_endpgm
	.section	.rodata,"a",@progbits
	.p2align	6, 0x0
	.amdhsa_kernel _ZN7rocprim17ROCPRIM_400000_NS6detail17trampoline_kernelINS0_14default_configENS1_35adjacent_difference_config_selectorILb0EjEEZNS1_24adjacent_difference_implIS3_Lb0ELb0EPKjPjN6thrust23THRUST_200600_302600_NS4plusIjEEEE10hipError_tPvRmT2_T3_mT4_P12ihipStream_tbEUlT_E_NS1_11comp_targetILNS1_3genE5ELNS1_11target_archE942ELNS1_3gpuE9ELNS1_3repE0EEENS1_30default_config_static_selectorELNS0_4arch9wavefront6targetE1EEEvT1_
		.amdhsa_group_segment_fixed_size 7424
		.amdhsa_private_segment_fixed_size 0
		.amdhsa_kernarg_size 56
		.amdhsa_user_sgpr_count 2
		.amdhsa_user_sgpr_dispatch_ptr 0
		.amdhsa_user_sgpr_queue_ptr 0
		.amdhsa_user_sgpr_kernarg_segment_ptr 1
		.amdhsa_user_sgpr_dispatch_id 0
		.amdhsa_user_sgpr_kernarg_preload_length 0
		.amdhsa_user_sgpr_kernarg_preload_offset 0
		.amdhsa_user_sgpr_private_segment_size 0
		.amdhsa_uses_dynamic_stack 0
		.amdhsa_enable_private_segment 0
		.amdhsa_system_sgpr_workgroup_id_x 1
		.amdhsa_system_sgpr_workgroup_id_y 0
		.amdhsa_system_sgpr_workgroup_id_z 0
		.amdhsa_system_sgpr_workgroup_info 0
		.amdhsa_system_vgpr_workitem_id 0
		.amdhsa_next_free_vgpr 64
		.amdhsa_next_free_sgpr 23
		.amdhsa_accum_offset 64
		.amdhsa_reserve_vcc 1
		.amdhsa_float_round_mode_32 0
		.amdhsa_float_round_mode_16_64 0
		.amdhsa_float_denorm_mode_32 3
		.amdhsa_float_denorm_mode_16_64 3
		.amdhsa_dx10_clamp 1
		.amdhsa_ieee_mode 1
		.amdhsa_fp16_overflow 0
		.amdhsa_tg_split 0
		.amdhsa_exception_fp_ieee_invalid_op 0
		.amdhsa_exception_fp_denorm_src 0
		.amdhsa_exception_fp_ieee_div_zero 0
		.amdhsa_exception_fp_ieee_overflow 0
		.amdhsa_exception_fp_ieee_underflow 0
		.amdhsa_exception_fp_ieee_inexact 0
		.amdhsa_exception_int_div_zero 0
	.end_amdhsa_kernel
	.section	.text._ZN7rocprim17ROCPRIM_400000_NS6detail17trampoline_kernelINS0_14default_configENS1_35adjacent_difference_config_selectorILb0EjEEZNS1_24adjacent_difference_implIS3_Lb0ELb0EPKjPjN6thrust23THRUST_200600_302600_NS4plusIjEEEE10hipError_tPvRmT2_T3_mT4_P12ihipStream_tbEUlT_E_NS1_11comp_targetILNS1_3genE5ELNS1_11target_archE942ELNS1_3gpuE9ELNS1_3repE0EEENS1_30default_config_static_selectorELNS0_4arch9wavefront6targetE1EEEvT1_,"axG",@progbits,_ZN7rocprim17ROCPRIM_400000_NS6detail17trampoline_kernelINS0_14default_configENS1_35adjacent_difference_config_selectorILb0EjEEZNS1_24adjacent_difference_implIS3_Lb0ELb0EPKjPjN6thrust23THRUST_200600_302600_NS4plusIjEEEE10hipError_tPvRmT2_T3_mT4_P12ihipStream_tbEUlT_E_NS1_11comp_targetILNS1_3genE5ELNS1_11target_archE942ELNS1_3gpuE9ELNS1_3repE0EEENS1_30default_config_static_selectorELNS0_4arch9wavefront6targetE1EEEvT1_,comdat
.Lfunc_end593:
	.size	_ZN7rocprim17ROCPRIM_400000_NS6detail17trampoline_kernelINS0_14default_configENS1_35adjacent_difference_config_selectorILb0EjEEZNS1_24adjacent_difference_implIS3_Lb0ELb0EPKjPjN6thrust23THRUST_200600_302600_NS4plusIjEEEE10hipError_tPvRmT2_T3_mT4_P12ihipStream_tbEUlT_E_NS1_11comp_targetILNS1_3genE5ELNS1_11target_archE942ELNS1_3gpuE9ELNS1_3repE0EEENS1_30default_config_static_selectorELNS0_4arch9wavefront6targetE1EEEvT1_, .Lfunc_end593-_ZN7rocprim17ROCPRIM_400000_NS6detail17trampoline_kernelINS0_14default_configENS1_35adjacent_difference_config_selectorILb0EjEEZNS1_24adjacent_difference_implIS3_Lb0ELb0EPKjPjN6thrust23THRUST_200600_302600_NS4plusIjEEEE10hipError_tPvRmT2_T3_mT4_P12ihipStream_tbEUlT_E_NS1_11comp_targetILNS1_3genE5ELNS1_11target_archE942ELNS1_3gpuE9ELNS1_3repE0EEENS1_30default_config_static_selectorELNS0_4arch9wavefront6targetE1EEEvT1_
                                        ; -- End function
	.section	.AMDGPU.csdata,"",@progbits
; Kernel info:
; codeLenInByte = 6064
; NumSgprs: 29
; NumVgprs: 64
; NumAgprs: 0
; TotalNumVgprs: 64
; ScratchSize: 0
; MemoryBound: 0
; FloatMode: 240
; IeeeMode: 1
; LDSByteSize: 7424 bytes/workgroup (compile time only)
; SGPRBlocks: 3
; VGPRBlocks: 7
; NumSGPRsForWavesPerEU: 29
; NumVGPRsForWavesPerEU: 64
; AccumOffset: 64
; Occupancy: 2
; WaveLimiterHint : 1
; COMPUTE_PGM_RSRC2:SCRATCH_EN: 0
; COMPUTE_PGM_RSRC2:USER_SGPR: 2
; COMPUTE_PGM_RSRC2:TRAP_HANDLER: 0
; COMPUTE_PGM_RSRC2:TGID_X_EN: 1
; COMPUTE_PGM_RSRC2:TGID_Y_EN: 0
; COMPUTE_PGM_RSRC2:TGID_Z_EN: 0
; COMPUTE_PGM_RSRC2:TIDIG_COMP_CNT: 0
; COMPUTE_PGM_RSRC3_GFX90A:ACCUM_OFFSET: 15
; COMPUTE_PGM_RSRC3_GFX90A:TG_SPLIT: 0
	.section	.text._ZN7rocprim17ROCPRIM_400000_NS6detail17trampoline_kernelINS0_14default_configENS1_35adjacent_difference_config_selectorILb0EjEEZNS1_24adjacent_difference_implIS3_Lb0ELb0EPKjPjN6thrust23THRUST_200600_302600_NS4plusIjEEEE10hipError_tPvRmT2_T3_mT4_P12ihipStream_tbEUlT_E_NS1_11comp_targetILNS1_3genE4ELNS1_11target_archE910ELNS1_3gpuE8ELNS1_3repE0EEENS1_30default_config_static_selectorELNS0_4arch9wavefront6targetE1EEEvT1_,"axG",@progbits,_ZN7rocprim17ROCPRIM_400000_NS6detail17trampoline_kernelINS0_14default_configENS1_35adjacent_difference_config_selectorILb0EjEEZNS1_24adjacent_difference_implIS3_Lb0ELb0EPKjPjN6thrust23THRUST_200600_302600_NS4plusIjEEEE10hipError_tPvRmT2_T3_mT4_P12ihipStream_tbEUlT_E_NS1_11comp_targetILNS1_3genE4ELNS1_11target_archE910ELNS1_3gpuE8ELNS1_3repE0EEENS1_30default_config_static_selectorELNS0_4arch9wavefront6targetE1EEEvT1_,comdat
	.protected	_ZN7rocprim17ROCPRIM_400000_NS6detail17trampoline_kernelINS0_14default_configENS1_35adjacent_difference_config_selectorILb0EjEEZNS1_24adjacent_difference_implIS3_Lb0ELb0EPKjPjN6thrust23THRUST_200600_302600_NS4plusIjEEEE10hipError_tPvRmT2_T3_mT4_P12ihipStream_tbEUlT_E_NS1_11comp_targetILNS1_3genE4ELNS1_11target_archE910ELNS1_3gpuE8ELNS1_3repE0EEENS1_30default_config_static_selectorELNS0_4arch9wavefront6targetE1EEEvT1_ ; -- Begin function _ZN7rocprim17ROCPRIM_400000_NS6detail17trampoline_kernelINS0_14default_configENS1_35adjacent_difference_config_selectorILb0EjEEZNS1_24adjacent_difference_implIS3_Lb0ELb0EPKjPjN6thrust23THRUST_200600_302600_NS4plusIjEEEE10hipError_tPvRmT2_T3_mT4_P12ihipStream_tbEUlT_E_NS1_11comp_targetILNS1_3genE4ELNS1_11target_archE910ELNS1_3gpuE8ELNS1_3repE0EEENS1_30default_config_static_selectorELNS0_4arch9wavefront6targetE1EEEvT1_
	.globl	_ZN7rocprim17ROCPRIM_400000_NS6detail17trampoline_kernelINS0_14default_configENS1_35adjacent_difference_config_selectorILb0EjEEZNS1_24adjacent_difference_implIS3_Lb0ELb0EPKjPjN6thrust23THRUST_200600_302600_NS4plusIjEEEE10hipError_tPvRmT2_T3_mT4_P12ihipStream_tbEUlT_E_NS1_11comp_targetILNS1_3genE4ELNS1_11target_archE910ELNS1_3gpuE8ELNS1_3repE0EEENS1_30default_config_static_selectorELNS0_4arch9wavefront6targetE1EEEvT1_
	.p2align	8
	.type	_ZN7rocprim17ROCPRIM_400000_NS6detail17trampoline_kernelINS0_14default_configENS1_35adjacent_difference_config_selectorILb0EjEEZNS1_24adjacent_difference_implIS3_Lb0ELb0EPKjPjN6thrust23THRUST_200600_302600_NS4plusIjEEEE10hipError_tPvRmT2_T3_mT4_P12ihipStream_tbEUlT_E_NS1_11comp_targetILNS1_3genE4ELNS1_11target_archE910ELNS1_3gpuE8ELNS1_3repE0EEENS1_30default_config_static_selectorELNS0_4arch9wavefront6targetE1EEEvT1_,@function
_ZN7rocprim17ROCPRIM_400000_NS6detail17trampoline_kernelINS0_14default_configENS1_35adjacent_difference_config_selectorILb0EjEEZNS1_24adjacent_difference_implIS3_Lb0ELb0EPKjPjN6thrust23THRUST_200600_302600_NS4plusIjEEEE10hipError_tPvRmT2_T3_mT4_P12ihipStream_tbEUlT_E_NS1_11comp_targetILNS1_3genE4ELNS1_11target_archE910ELNS1_3gpuE8ELNS1_3repE0EEENS1_30default_config_static_selectorELNS0_4arch9wavefront6targetE1EEEvT1_: ; @_ZN7rocprim17ROCPRIM_400000_NS6detail17trampoline_kernelINS0_14default_configENS1_35adjacent_difference_config_selectorILb0EjEEZNS1_24adjacent_difference_implIS3_Lb0ELb0EPKjPjN6thrust23THRUST_200600_302600_NS4plusIjEEEE10hipError_tPvRmT2_T3_mT4_P12ihipStream_tbEUlT_E_NS1_11comp_targetILNS1_3genE4ELNS1_11target_archE910ELNS1_3gpuE8ELNS1_3repE0EEENS1_30default_config_static_selectorELNS0_4arch9wavefront6targetE1EEEvT1_
; %bb.0:
	.section	.rodata,"a",@progbits
	.p2align	6, 0x0
	.amdhsa_kernel _ZN7rocprim17ROCPRIM_400000_NS6detail17trampoline_kernelINS0_14default_configENS1_35adjacent_difference_config_selectorILb0EjEEZNS1_24adjacent_difference_implIS3_Lb0ELb0EPKjPjN6thrust23THRUST_200600_302600_NS4plusIjEEEE10hipError_tPvRmT2_T3_mT4_P12ihipStream_tbEUlT_E_NS1_11comp_targetILNS1_3genE4ELNS1_11target_archE910ELNS1_3gpuE8ELNS1_3repE0EEENS1_30default_config_static_selectorELNS0_4arch9wavefront6targetE1EEEvT1_
		.amdhsa_group_segment_fixed_size 0
		.amdhsa_private_segment_fixed_size 0
		.amdhsa_kernarg_size 56
		.amdhsa_user_sgpr_count 2
		.amdhsa_user_sgpr_dispatch_ptr 0
		.amdhsa_user_sgpr_queue_ptr 0
		.amdhsa_user_sgpr_kernarg_segment_ptr 1
		.amdhsa_user_sgpr_dispatch_id 0
		.amdhsa_user_sgpr_kernarg_preload_length 0
		.amdhsa_user_sgpr_kernarg_preload_offset 0
		.amdhsa_user_sgpr_private_segment_size 0
		.amdhsa_uses_dynamic_stack 0
		.amdhsa_enable_private_segment 0
		.amdhsa_system_sgpr_workgroup_id_x 1
		.amdhsa_system_sgpr_workgroup_id_y 0
		.amdhsa_system_sgpr_workgroup_id_z 0
		.amdhsa_system_sgpr_workgroup_info 0
		.amdhsa_system_vgpr_workitem_id 0
		.amdhsa_next_free_vgpr 1
		.amdhsa_next_free_sgpr 0
		.amdhsa_accum_offset 4
		.amdhsa_reserve_vcc 0
		.amdhsa_float_round_mode_32 0
		.amdhsa_float_round_mode_16_64 0
		.amdhsa_float_denorm_mode_32 3
		.amdhsa_float_denorm_mode_16_64 3
		.amdhsa_dx10_clamp 1
		.amdhsa_ieee_mode 1
		.amdhsa_fp16_overflow 0
		.amdhsa_tg_split 0
		.amdhsa_exception_fp_ieee_invalid_op 0
		.amdhsa_exception_fp_denorm_src 0
		.amdhsa_exception_fp_ieee_div_zero 0
		.amdhsa_exception_fp_ieee_overflow 0
		.amdhsa_exception_fp_ieee_underflow 0
		.amdhsa_exception_fp_ieee_inexact 0
		.amdhsa_exception_int_div_zero 0
	.end_amdhsa_kernel
	.section	.text._ZN7rocprim17ROCPRIM_400000_NS6detail17trampoline_kernelINS0_14default_configENS1_35adjacent_difference_config_selectorILb0EjEEZNS1_24adjacent_difference_implIS3_Lb0ELb0EPKjPjN6thrust23THRUST_200600_302600_NS4plusIjEEEE10hipError_tPvRmT2_T3_mT4_P12ihipStream_tbEUlT_E_NS1_11comp_targetILNS1_3genE4ELNS1_11target_archE910ELNS1_3gpuE8ELNS1_3repE0EEENS1_30default_config_static_selectorELNS0_4arch9wavefront6targetE1EEEvT1_,"axG",@progbits,_ZN7rocprim17ROCPRIM_400000_NS6detail17trampoline_kernelINS0_14default_configENS1_35adjacent_difference_config_selectorILb0EjEEZNS1_24adjacent_difference_implIS3_Lb0ELb0EPKjPjN6thrust23THRUST_200600_302600_NS4plusIjEEEE10hipError_tPvRmT2_T3_mT4_P12ihipStream_tbEUlT_E_NS1_11comp_targetILNS1_3genE4ELNS1_11target_archE910ELNS1_3gpuE8ELNS1_3repE0EEENS1_30default_config_static_selectorELNS0_4arch9wavefront6targetE1EEEvT1_,comdat
.Lfunc_end594:
	.size	_ZN7rocprim17ROCPRIM_400000_NS6detail17trampoline_kernelINS0_14default_configENS1_35adjacent_difference_config_selectorILb0EjEEZNS1_24adjacent_difference_implIS3_Lb0ELb0EPKjPjN6thrust23THRUST_200600_302600_NS4plusIjEEEE10hipError_tPvRmT2_T3_mT4_P12ihipStream_tbEUlT_E_NS1_11comp_targetILNS1_3genE4ELNS1_11target_archE910ELNS1_3gpuE8ELNS1_3repE0EEENS1_30default_config_static_selectorELNS0_4arch9wavefront6targetE1EEEvT1_, .Lfunc_end594-_ZN7rocprim17ROCPRIM_400000_NS6detail17trampoline_kernelINS0_14default_configENS1_35adjacent_difference_config_selectorILb0EjEEZNS1_24adjacent_difference_implIS3_Lb0ELb0EPKjPjN6thrust23THRUST_200600_302600_NS4plusIjEEEE10hipError_tPvRmT2_T3_mT4_P12ihipStream_tbEUlT_E_NS1_11comp_targetILNS1_3genE4ELNS1_11target_archE910ELNS1_3gpuE8ELNS1_3repE0EEENS1_30default_config_static_selectorELNS0_4arch9wavefront6targetE1EEEvT1_
                                        ; -- End function
	.section	.AMDGPU.csdata,"",@progbits
; Kernel info:
; codeLenInByte = 0
; NumSgprs: 6
; NumVgprs: 0
; NumAgprs: 0
; TotalNumVgprs: 0
; ScratchSize: 0
; MemoryBound: 0
; FloatMode: 240
; IeeeMode: 1
; LDSByteSize: 0 bytes/workgroup (compile time only)
; SGPRBlocks: 0
; VGPRBlocks: 0
; NumSGPRsForWavesPerEU: 6
; NumVGPRsForWavesPerEU: 1
; AccumOffset: 4
; Occupancy: 8
; WaveLimiterHint : 0
; COMPUTE_PGM_RSRC2:SCRATCH_EN: 0
; COMPUTE_PGM_RSRC2:USER_SGPR: 2
; COMPUTE_PGM_RSRC2:TRAP_HANDLER: 0
; COMPUTE_PGM_RSRC2:TGID_X_EN: 1
; COMPUTE_PGM_RSRC2:TGID_Y_EN: 0
; COMPUTE_PGM_RSRC2:TGID_Z_EN: 0
; COMPUTE_PGM_RSRC2:TIDIG_COMP_CNT: 0
; COMPUTE_PGM_RSRC3_GFX90A:ACCUM_OFFSET: 0
; COMPUTE_PGM_RSRC3_GFX90A:TG_SPLIT: 0
	.section	.text._ZN7rocprim17ROCPRIM_400000_NS6detail17trampoline_kernelINS0_14default_configENS1_35adjacent_difference_config_selectorILb0EjEEZNS1_24adjacent_difference_implIS3_Lb0ELb0EPKjPjN6thrust23THRUST_200600_302600_NS4plusIjEEEE10hipError_tPvRmT2_T3_mT4_P12ihipStream_tbEUlT_E_NS1_11comp_targetILNS1_3genE3ELNS1_11target_archE908ELNS1_3gpuE7ELNS1_3repE0EEENS1_30default_config_static_selectorELNS0_4arch9wavefront6targetE1EEEvT1_,"axG",@progbits,_ZN7rocprim17ROCPRIM_400000_NS6detail17trampoline_kernelINS0_14default_configENS1_35adjacent_difference_config_selectorILb0EjEEZNS1_24adjacent_difference_implIS3_Lb0ELb0EPKjPjN6thrust23THRUST_200600_302600_NS4plusIjEEEE10hipError_tPvRmT2_T3_mT4_P12ihipStream_tbEUlT_E_NS1_11comp_targetILNS1_3genE3ELNS1_11target_archE908ELNS1_3gpuE7ELNS1_3repE0EEENS1_30default_config_static_selectorELNS0_4arch9wavefront6targetE1EEEvT1_,comdat
	.protected	_ZN7rocprim17ROCPRIM_400000_NS6detail17trampoline_kernelINS0_14default_configENS1_35adjacent_difference_config_selectorILb0EjEEZNS1_24adjacent_difference_implIS3_Lb0ELb0EPKjPjN6thrust23THRUST_200600_302600_NS4plusIjEEEE10hipError_tPvRmT2_T3_mT4_P12ihipStream_tbEUlT_E_NS1_11comp_targetILNS1_3genE3ELNS1_11target_archE908ELNS1_3gpuE7ELNS1_3repE0EEENS1_30default_config_static_selectorELNS0_4arch9wavefront6targetE1EEEvT1_ ; -- Begin function _ZN7rocprim17ROCPRIM_400000_NS6detail17trampoline_kernelINS0_14default_configENS1_35adjacent_difference_config_selectorILb0EjEEZNS1_24adjacent_difference_implIS3_Lb0ELb0EPKjPjN6thrust23THRUST_200600_302600_NS4plusIjEEEE10hipError_tPvRmT2_T3_mT4_P12ihipStream_tbEUlT_E_NS1_11comp_targetILNS1_3genE3ELNS1_11target_archE908ELNS1_3gpuE7ELNS1_3repE0EEENS1_30default_config_static_selectorELNS0_4arch9wavefront6targetE1EEEvT1_
	.globl	_ZN7rocprim17ROCPRIM_400000_NS6detail17trampoline_kernelINS0_14default_configENS1_35adjacent_difference_config_selectorILb0EjEEZNS1_24adjacent_difference_implIS3_Lb0ELb0EPKjPjN6thrust23THRUST_200600_302600_NS4plusIjEEEE10hipError_tPvRmT2_T3_mT4_P12ihipStream_tbEUlT_E_NS1_11comp_targetILNS1_3genE3ELNS1_11target_archE908ELNS1_3gpuE7ELNS1_3repE0EEENS1_30default_config_static_selectorELNS0_4arch9wavefront6targetE1EEEvT1_
	.p2align	8
	.type	_ZN7rocprim17ROCPRIM_400000_NS6detail17trampoline_kernelINS0_14default_configENS1_35adjacent_difference_config_selectorILb0EjEEZNS1_24adjacent_difference_implIS3_Lb0ELb0EPKjPjN6thrust23THRUST_200600_302600_NS4plusIjEEEE10hipError_tPvRmT2_T3_mT4_P12ihipStream_tbEUlT_E_NS1_11comp_targetILNS1_3genE3ELNS1_11target_archE908ELNS1_3gpuE7ELNS1_3repE0EEENS1_30default_config_static_selectorELNS0_4arch9wavefront6targetE1EEEvT1_,@function
_ZN7rocprim17ROCPRIM_400000_NS6detail17trampoline_kernelINS0_14default_configENS1_35adjacent_difference_config_selectorILb0EjEEZNS1_24adjacent_difference_implIS3_Lb0ELb0EPKjPjN6thrust23THRUST_200600_302600_NS4plusIjEEEE10hipError_tPvRmT2_T3_mT4_P12ihipStream_tbEUlT_E_NS1_11comp_targetILNS1_3genE3ELNS1_11target_archE908ELNS1_3gpuE7ELNS1_3repE0EEENS1_30default_config_static_selectorELNS0_4arch9wavefront6targetE1EEEvT1_: ; @_ZN7rocprim17ROCPRIM_400000_NS6detail17trampoline_kernelINS0_14default_configENS1_35adjacent_difference_config_selectorILb0EjEEZNS1_24adjacent_difference_implIS3_Lb0ELb0EPKjPjN6thrust23THRUST_200600_302600_NS4plusIjEEEE10hipError_tPvRmT2_T3_mT4_P12ihipStream_tbEUlT_E_NS1_11comp_targetILNS1_3genE3ELNS1_11target_archE908ELNS1_3gpuE7ELNS1_3repE0EEENS1_30default_config_static_selectorELNS0_4arch9wavefront6targetE1EEEvT1_
; %bb.0:
	.section	.rodata,"a",@progbits
	.p2align	6, 0x0
	.amdhsa_kernel _ZN7rocprim17ROCPRIM_400000_NS6detail17trampoline_kernelINS0_14default_configENS1_35adjacent_difference_config_selectorILb0EjEEZNS1_24adjacent_difference_implIS3_Lb0ELb0EPKjPjN6thrust23THRUST_200600_302600_NS4plusIjEEEE10hipError_tPvRmT2_T3_mT4_P12ihipStream_tbEUlT_E_NS1_11comp_targetILNS1_3genE3ELNS1_11target_archE908ELNS1_3gpuE7ELNS1_3repE0EEENS1_30default_config_static_selectorELNS0_4arch9wavefront6targetE1EEEvT1_
		.amdhsa_group_segment_fixed_size 0
		.amdhsa_private_segment_fixed_size 0
		.amdhsa_kernarg_size 56
		.amdhsa_user_sgpr_count 2
		.amdhsa_user_sgpr_dispatch_ptr 0
		.amdhsa_user_sgpr_queue_ptr 0
		.amdhsa_user_sgpr_kernarg_segment_ptr 1
		.amdhsa_user_sgpr_dispatch_id 0
		.amdhsa_user_sgpr_kernarg_preload_length 0
		.amdhsa_user_sgpr_kernarg_preload_offset 0
		.amdhsa_user_sgpr_private_segment_size 0
		.amdhsa_uses_dynamic_stack 0
		.amdhsa_enable_private_segment 0
		.amdhsa_system_sgpr_workgroup_id_x 1
		.amdhsa_system_sgpr_workgroup_id_y 0
		.amdhsa_system_sgpr_workgroup_id_z 0
		.amdhsa_system_sgpr_workgroup_info 0
		.amdhsa_system_vgpr_workitem_id 0
		.amdhsa_next_free_vgpr 1
		.amdhsa_next_free_sgpr 0
		.amdhsa_accum_offset 4
		.amdhsa_reserve_vcc 0
		.amdhsa_float_round_mode_32 0
		.amdhsa_float_round_mode_16_64 0
		.amdhsa_float_denorm_mode_32 3
		.amdhsa_float_denorm_mode_16_64 3
		.amdhsa_dx10_clamp 1
		.amdhsa_ieee_mode 1
		.amdhsa_fp16_overflow 0
		.amdhsa_tg_split 0
		.amdhsa_exception_fp_ieee_invalid_op 0
		.amdhsa_exception_fp_denorm_src 0
		.amdhsa_exception_fp_ieee_div_zero 0
		.amdhsa_exception_fp_ieee_overflow 0
		.amdhsa_exception_fp_ieee_underflow 0
		.amdhsa_exception_fp_ieee_inexact 0
		.amdhsa_exception_int_div_zero 0
	.end_amdhsa_kernel
	.section	.text._ZN7rocprim17ROCPRIM_400000_NS6detail17trampoline_kernelINS0_14default_configENS1_35adjacent_difference_config_selectorILb0EjEEZNS1_24adjacent_difference_implIS3_Lb0ELb0EPKjPjN6thrust23THRUST_200600_302600_NS4plusIjEEEE10hipError_tPvRmT2_T3_mT4_P12ihipStream_tbEUlT_E_NS1_11comp_targetILNS1_3genE3ELNS1_11target_archE908ELNS1_3gpuE7ELNS1_3repE0EEENS1_30default_config_static_selectorELNS0_4arch9wavefront6targetE1EEEvT1_,"axG",@progbits,_ZN7rocprim17ROCPRIM_400000_NS6detail17trampoline_kernelINS0_14default_configENS1_35adjacent_difference_config_selectorILb0EjEEZNS1_24adjacent_difference_implIS3_Lb0ELb0EPKjPjN6thrust23THRUST_200600_302600_NS4plusIjEEEE10hipError_tPvRmT2_T3_mT4_P12ihipStream_tbEUlT_E_NS1_11comp_targetILNS1_3genE3ELNS1_11target_archE908ELNS1_3gpuE7ELNS1_3repE0EEENS1_30default_config_static_selectorELNS0_4arch9wavefront6targetE1EEEvT1_,comdat
.Lfunc_end595:
	.size	_ZN7rocprim17ROCPRIM_400000_NS6detail17trampoline_kernelINS0_14default_configENS1_35adjacent_difference_config_selectorILb0EjEEZNS1_24adjacent_difference_implIS3_Lb0ELb0EPKjPjN6thrust23THRUST_200600_302600_NS4plusIjEEEE10hipError_tPvRmT2_T3_mT4_P12ihipStream_tbEUlT_E_NS1_11comp_targetILNS1_3genE3ELNS1_11target_archE908ELNS1_3gpuE7ELNS1_3repE0EEENS1_30default_config_static_selectorELNS0_4arch9wavefront6targetE1EEEvT1_, .Lfunc_end595-_ZN7rocprim17ROCPRIM_400000_NS6detail17trampoline_kernelINS0_14default_configENS1_35adjacent_difference_config_selectorILb0EjEEZNS1_24adjacent_difference_implIS3_Lb0ELb0EPKjPjN6thrust23THRUST_200600_302600_NS4plusIjEEEE10hipError_tPvRmT2_T3_mT4_P12ihipStream_tbEUlT_E_NS1_11comp_targetILNS1_3genE3ELNS1_11target_archE908ELNS1_3gpuE7ELNS1_3repE0EEENS1_30default_config_static_selectorELNS0_4arch9wavefront6targetE1EEEvT1_
                                        ; -- End function
	.section	.AMDGPU.csdata,"",@progbits
; Kernel info:
; codeLenInByte = 0
; NumSgprs: 6
; NumVgprs: 0
; NumAgprs: 0
; TotalNumVgprs: 0
; ScratchSize: 0
; MemoryBound: 0
; FloatMode: 240
; IeeeMode: 1
; LDSByteSize: 0 bytes/workgroup (compile time only)
; SGPRBlocks: 0
; VGPRBlocks: 0
; NumSGPRsForWavesPerEU: 6
; NumVGPRsForWavesPerEU: 1
; AccumOffset: 4
; Occupancy: 8
; WaveLimiterHint : 0
; COMPUTE_PGM_RSRC2:SCRATCH_EN: 0
; COMPUTE_PGM_RSRC2:USER_SGPR: 2
; COMPUTE_PGM_RSRC2:TRAP_HANDLER: 0
; COMPUTE_PGM_RSRC2:TGID_X_EN: 1
; COMPUTE_PGM_RSRC2:TGID_Y_EN: 0
; COMPUTE_PGM_RSRC2:TGID_Z_EN: 0
; COMPUTE_PGM_RSRC2:TIDIG_COMP_CNT: 0
; COMPUTE_PGM_RSRC3_GFX90A:ACCUM_OFFSET: 0
; COMPUTE_PGM_RSRC3_GFX90A:TG_SPLIT: 0
	.section	.text._ZN7rocprim17ROCPRIM_400000_NS6detail17trampoline_kernelINS0_14default_configENS1_35adjacent_difference_config_selectorILb0EjEEZNS1_24adjacent_difference_implIS3_Lb0ELb0EPKjPjN6thrust23THRUST_200600_302600_NS4plusIjEEEE10hipError_tPvRmT2_T3_mT4_P12ihipStream_tbEUlT_E_NS1_11comp_targetILNS1_3genE2ELNS1_11target_archE906ELNS1_3gpuE6ELNS1_3repE0EEENS1_30default_config_static_selectorELNS0_4arch9wavefront6targetE1EEEvT1_,"axG",@progbits,_ZN7rocprim17ROCPRIM_400000_NS6detail17trampoline_kernelINS0_14default_configENS1_35adjacent_difference_config_selectorILb0EjEEZNS1_24adjacent_difference_implIS3_Lb0ELb0EPKjPjN6thrust23THRUST_200600_302600_NS4plusIjEEEE10hipError_tPvRmT2_T3_mT4_P12ihipStream_tbEUlT_E_NS1_11comp_targetILNS1_3genE2ELNS1_11target_archE906ELNS1_3gpuE6ELNS1_3repE0EEENS1_30default_config_static_selectorELNS0_4arch9wavefront6targetE1EEEvT1_,comdat
	.protected	_ZN7rocprim17ROCPRIM_400000_NS6detail17trampoline_kernelINS0_14default_configENS1_35adjacent_difference_config_selectorILb0EjEEZNS1_24adjacent_difference_implIS3_Lb0ELb0EPKjPjN6thrust23THRUST_200600_302600_NS4plusIjEEEE10hipError_tPvRmT2_T3_mT4_P12ihipStream_tbEUlT_E_NS1_11comp_targetILNS1_3genE2ELNS1_11target_archE906ELNS1_3gpuE6ELNS1_3repE0EEENS1_30default_config_static_selectorELNS0_4arch9wavefront6targetE1EEEvT1_ ; -- Begin function _ZN7rocprim17ROCPRIM_400000_NS6detail17trampoline_kernelINS0_14default_configENS1_35adjacent_difference_config_selectorILb0EjEEZNS1_24adjacent_difference_implIS3_Lb0ELb0EPKjPjN6thrust23THRUST_200600_302600_NS4plusIjEEEE10hipError_tPvRmT2_T3_mT4_P12ihipStream_tbEUlT_E_NS1_11comp_targetILNS1_3genE2ELNS1_11target_archE906ELNS1_3gpuE6ELNS1_3repE0EEENS1_30default_config_static_selectorELNS0_4arch9wavefront6targetE1EEEvT1_
	.globl	_ZN7rocprim17ROCPRIM_400000_NS6detail17trampoline_kernelINS0_14default_configENS1_35adjacent_difference_config_selectorILb0EjEEZNS1_24adjacent_difference_implIS3_Lb0ELb0EPKjPjN6thrust23THRUST_200600_302600_NS4plusIjEEEE10hipError_tPvRmT2_T3_mT4_P12ihipStream_tbEUlT_E_NS1_11comp_targetILNS1_3genE2ELNS1_11target_archE906ELNS1_3gpuE6ELNS1_3repE0EEENS1_30default_config_static_selectorELNS0_4arch9wavefront6targetE1EEEvT1_
	.p2align	8
	.type	_ZN7rocprim17ROCPRIM_400000_NS6detail17trampoline_kernelINS0_14default_configENS1_35adjacent_difference_config_selectorILb0EjEEZNS1_24adjacent_difference_implIS3_Lb0ELb0EPKjPjN6thrust23THRUST_200600_302600_NS4plusIjEEEE10hipError_tPvRmT2_T3_mT4_P12ihipStream_tbEUlT_E_NS1_11comp_targetILNS1_3genE2ELNS1_11target_archE906ELNS1_3gpuE6ELNS1_3repE0EEENS1_30default_config_static_selectorELNS0_4arch9wavefront6targetE1EEEvT1_,@function
_ZN7rocprim17ROCPRIM_400000_NS6detail17trampoline_kernelINS0_14default_configENS1_35adjacent_difference_config_selectorILb0EjEEZNS1_24adjacent_difference_implIS3_Lb0ELb0EPKjPjN6thrust23THRUST_200600_302600_NS4plusIjEEEE10hipError_tPvRmT2_T3_mT4_P12ihipStream_tbEUlT_E_NS1_11comp_targetILNS1_3genE2ELNS1_11target_archE906ELNS1_3gpuE6ELNS1_3repE0EEENS1_30default_config_static_selectorELNS0_4arch9wavefront6targetE1EEEvT1_: ; @_ZN7rocprim17ROCPRIM_400000_NS6detail17trampoline_kernelINS0_14default_configENS1_35adjacent_difference_config_selectorILb0EjEEZNS1_24adjacent_difference_implIS3_Lb0ELb0EPKjPjN6thrust23THRUST_200600_302600_NS4plusIjEEEE10hipError_tPvRmT2_T3_mT4_P12ihipStream_tbEUlT_E_NS1_11comp_targetILNS1_3genE2ELNS1_11target_archE906ELNS1_3gpuE6ELNS1_3repE0EEENS1_30default_config_static_selectorELNS0_4arch9wavefront6targetE1EEEvT1_
; %bb.0:
	.section	.rodata,"a",@progbits
	.p2align	6, 0x0
	.amdhsa_kernel _ZN7rocprim17ROCPRIM_400000_NS6detail17trampoline_kernelINS0_14default_configENS1_35adjacent_difference_config_selectorILb0EjEEZNS1_24adjacent_difference_implIS3_Lb0ELb0EPKjPjN6thrust23THRUST_200600_302600_NS4plusIjEEEE10hipError_tPvRmT2_T3_mT4_P12ihipStream_tbEUlT_E_NS1_11comp_targetILNS1_3genE2ELNS1_11target_archE906ELNS1_3gpuE6ELNS1_3repE0EEENS1_30default_config_static_selectorELNS0_4arch9wavefront6targetE1EEEvT1_
		.amdhsa_group_segment_fixed_size 0
		.amdhsa_private_segment_fixed_size 0
		.amdhsa_kernarg_size 56
		.amdhsa_user_sgpr_count 2
		.amdhsa_user_sgpr_dispatch_ptr 0
		.amdhsa_user_sgpr_queue_ptr 0
		.amdhsa_user_sgpr_kernarg_segment_ptr 1
		.amdhsa_user_sgpr_dispatch_id 0
		.amdhsa_user_sgpr_kernarg_preload_length 0
		.amdhsa_user_sgpr_kernarg_preload_offset 0
		.amdhsa_user_sgpr_private_segment_size 0
		.amdhsa_uses_dynamic_stack 0
		.amdhsa_enable_private_segment 0
		.amdhsa_system_sgpr_workgroup_id_x 1
		.amdhsa_system_sgpr_workgroup_id_y 0
		.amdhsa_system_sgpr_workgroup_id_z 0
		.amdhsa_system_sgpr_workgroup_info 0
		.amdhsa_system_vgpr_workitem_id 0
		.amdhsa_next_free_vgpr 1
		.amdhsa_next_free_sgpr 0
		.amdhsa_accum_offset 4
		.amdhsa_reserve_vcc 0
		.amdhsa_float_round_mode_32 0
		.amdhsa_float_round_mode_16_64 0
		.amdhsa_float_denorm_mode_32 3
		.amdhsa_float_denorm_mode_16_64 3
		.amdhsa_dx10_clamp 1
		.amdhsa_ieee_mode 1
		.amdhsa_fp16_overflow 0
		.amdhsa_tg_split 0
		.amdhsa_exception_fp_ieee_invalid_op 0
		.amdhsa_exception_fp_denorm_src 0
		.amdhsa_exception_fp_ieee_div_zero 0
		.amdhsa_exception_fp_ieee_overflow 0
		.amdhsa_exception_fp_ieee_underflow 0
		.amdhsa_exception_fp_ieee_inexact 0
		.amdhsa_exception_int_div_zero 0
	.end_amdhsa_kernel
	.section	.text._ZN7rocprim17ROCPRIM_400000_NS6detail17trampoline_kernelINS0_14default_configENS1_35adjacent_difference_config_selectorILb0EjEEZNS1_24adjacent_difference_implIS3_Lb0ELb0EPKjPjN6thrust23THRUST_200600_302600_NS4plusIjEEEE10hipError_tPvRmT2_T3_mT4_P12ihipStream_tbEUlT_E_NS1_11comp_targetILNS1_3genE2ELNS1_11target_archE906ELNS1_3gpuE6ELNS1_3repE0EEENS1_30default_config_static_selectorELNS0_4arch9wavefront6targetE1EEEvT1_,"axG",@progbits,_ZN7rocprim17ROCPRIM_400000_NS6detail17trampoline_kernelINS0_14default_configENS1_35adjacent_difference_config_selectorILb0EjEEZNS1_24adjacent_difference_implIS3_Lb0ELb0EPKjPjN6thrust23THRUST_200600_302600_NS4plusIjEEEE10hipError_tPvRmT2_T3_mT4_P12ihipStream_tbEUlT_E_NS1_11comp_targetILNS1_3genE2ELNS1_11target_archE906ELNS1_3gpuE6ELNS1_3repE0EEENS1_30default_config_static_selectorELNS0_4arch9wavefront6targetE1EEEvT1_,comdat
.Lfunc_end596:
	.size	_ZN7rocprim17ROCPRIM_400000_NS6detail17trampoline_kernelINS0_14default_configENS1_35adjacent_difference_config_selectorILb0EjEEZNS1_24adjacent_difference_implIS3_Lb0ELb0EPKjPjN6thrust23THRUST_200600_302600_NS4plusIjEEEE10hipError_tPvRmT2_T3_mT4_P12ihipStream_tbEUlT_E_NS1_11comp_targetILNS1_3genE2ELNS1_11target_archE906ELNS1_3gpuE6ELNS1_3repE0EEENS1_30default_config_static_selectorELNS0_4arch9wavefront6targetE1EEEvT1_, .Lfunc_end596-_ZN7rocprim17ROCPRIM_400000_NS6detail17trampoline_kernelINS0_14default_configENS1_35adjacent_difference_config_selectorILb0EjEEZNS1_24adjacent_difference_implIS3_Lb0ELb0EPKjPjN6thrust23THRUST_200600_302600_NS4plusIjEEEE10hipError_tPvRmT2_T3_mT4_P12ihipStream_tbEUlT_E_NS1_11comp_targetILNS1_3genE2ELNS1_11target_archE906ELNS1_3gpuE6ELNS1_3repE0EEENS1_30default_config_static_selectorELNS0_4arch9wavefront6targetE1EEEvT1_
                                        ; -- End function
	.section	.AMDGPU.csdata,"",@progbits
; Kernel info:
; codeLenInByte = 0
; NumSgprs: 6
; NumVgprs: 0
; NumAgprs: 0
; TotalNumVgprs: 0
; ScratchSize: 0
; MemoryBound: 0
; FloatMode: 240
; IeeeMode: 1
; LDSByteSize: 0 bytes/workgroup (compile time only)
; SGPRBlocks: 0
; VGPRBlocks: 0
; NumSGPRsForWavesPerEU: 6
; NumVGPRsForWavesPerEU: 1
; AccumOffset: 4
; Occupancy: 8
; WaveLimiterHint : 0
; COMPUTE_PGM_RSRC2:SCRATCH_EN: 0
; COMPUTE_PGM_RSRC2:USER_SGPR: 2
; COMPUTE_PGM_RSRC2:TRAP_HANDLER: 0
; COMPUTE_PGM_RSRC2:TGID_X_EN: 1
; COMPUTE_PGM_RSRC2:TGID_Y_EN: 0
; COMPUTE_PGM_RSRC2:TGID_Z_EN: 0
; COMPUTE_PGM_RSRC2:TIDIG_COMP_CNT: 0
; COMPUTE_PGM_RSRC3_GFX90A:ACCUM_OFFSET: 0
; COMPUTE_PGM_RSRC3_GFX90A:TG_SPLIT: 0
	.section	.text._ZN7rocprim17ROCPRIM_400000_NS6detail17trampoline_kernelINS0_14default_configENS1_35adjacent_difference_config_selectorILb0EjEEZNS1_24adjacent_difference_implIS3_Lb0ELb0EPKjPjN6thrust23THRUST_200600_302600_NS4plusIjEEEE10hipError_tPvRmT2_T3_mT4_P12ihipStream_tbEUlT_E_NS1_11comp_targetILNS1_3genE9ELNS1_11target_archE1100ELNS1_3gpuE3ELNS1_3repE0EEENS1_30default_config_static_selectorELNS0_4arch9wavefront6targetE1EEEvT1_,"axG",@progbits,_ZN7rocprim17ROCPRIM_400000_NS6detail17trampoline_kernelINS0_14default_configENS1_35adjacent_difference_config_selectorILb0EjEEZNS1_24adjacent_difference_implIS3_Lb0ELb0EPKjPjN6thrust23THRUST_200600_302600_NS4plusIjEEEE10hipError_tPvRmT2_T3_mT4_P12ihipStream_tbEUlT_E_NS1_11comp_targetILNS1_3genE9ELNS1_11target_archE1100ELNS1_3gpuE3ELNS1_3repE0EEENS1_30default_config_static_selectorELNS0_4arch9wavefront6targetE1EEEvT1_,comdat
	.protected	_ZN7rocprim17ROCPRIM_400000_NS6detail17trampoline_kernelINS0_14default_configENS1_35adjacent_difference_config_selectorILb0EjEEZNS1_24adjacent_difference_implIS3_Lb0ELb0EPKjPjN6thrust23THRUST_200600_302600_NS4plusIjEEEE10hipError_tPvRmT2_T3_mT4_P12ihipStream_tbEUlT_E_NS1_11comp_targetILNS1_3genE9ELNS1_11target_archE1100ELNS1_3gpuE3ELNS1_3repE0EEENS1_30default_config_static_selectorELNS0_4arch9wavefront6targetE1EEEvT1_ ; -- Begin function _ZN7rocprim17ROCPRIM_400000_NS6detail17trampoline_kernelINS0_14default_configENS1_35adjacent_difference_config_selectorILb0EjEEZNS1_24adjacent_difference_implIS3_Lb0ELb0EPKjPjN6thrust23THRUST_200600_302600_NS4plusIjEEEE10hipError_tPvRmT2_T3_mT4_P12ihipStream_tbEUlT_E_NS1_11comp_targetILNS1_3genE9ELNS1_11target_archE1100ELNS1_3gpuE3ELNS1_3repE0EEENS1_30default_config_static_selectorELNS0_4arch9wavefront6targetE1EEEvT1_
	.globl	_ZN7rocprim17ROCPRIM_400000_NS6detail17trampoline_kernelINS0_14default_configENS1_35adjacent_difference_config_selectorILb0EjEEZNS1_24adjacent_difference_implIS3_Lb0ELb0EPKjPjN6thrust23THRUST_200600_302600_NS4plusIjEEEE10hipError_tPvRmT2_T3_mT4_P12ihipStream_tbEUlT_E_NS1_11comp_targetILNS1_3genE9ELNS1_11target_archE1100ELNS1_3gpuE3ELNS1_3repE0EEENS1_30default_config_static_selectorELNS0_4arch9wavefront6targetE1EEEvT1_
	.p2align	8
	.type	_ZN7rocprim17ROCPRIM_400000_NS6detail17trampoline_kernelINS0_14default_configENS1_35adjacent_difference_config_selectorILb0EjEEZNS1_24adjacent_difference_implIS3_Lb0ELb0EPKjPjN6thrust23THRUST_200600_302600_NS4plusIjEEEE10hipError_tPvRmT2_T3_mT4_P12ihipStream_tbEUlT_E_NS1_11comp_targetILNS1_3genE9ELNS1_11target_archE1100ELNS1_3gpuE3ELNS1_3repE0EEENS1_30default_config_static_selectorELNS0_4arch9wavefront6targetE1EEEvT1_,@function
_ZN7rocprim17ROCPRIM_400000_NS6detail17trampoline_kernelINS0_14default_configENS1_35adjacent_difference_config_selectorILb0EjEEZNS1_24adjacent_difference_implIS3_Lb0ELb0EPKjPjN6thrust23THRUST_200600_302600_NS4plusIjEEEE10hipError_tPvRmT2_T3_mT4_P12ihipStream_tbEUlT_E_NS1_11comp_targetILNS1_3genE9ELNS1_11target_archE1100ELNS1_3gpuE3ELNS1_3repE0EEENS1_30default_config_static_selectorELNS0_4arch9wavefront6targetE1EEEvT1_: ; @_ZN7rocprim17ROCPRIM_400000_NS6detail17trampoline_kernelINS0_14default_configENS1_35adjacent_difference_config_selectorILb0EjEEZNS1_24adjacent_difference_implIS3_Lb0ELb0EPKjPjN6thrust23THRUST_200600_302600_NS4plusIjEEEE10hipError_tPvRmT2_T3_mT4_P12ihipStream_tbEUlT_E_NS1_11comp_targetILNS1_3genE9ELNS1_11target_archE1100ELNS1_3gpuE3ELNS1_3repE0EEENS1_30default_config_static_selectorELNS0_4arch9wavefront6targetE1EEEvT1_
; %bb.0:
	.section	.rodata,"a",@progbits
	.p2align	6, 0x0
	.amdhsa_kernel _ZN7rocprim17ROCPRIM_400000_NS6detail17trampoline_kernelINS0_14default_configENS1_35adjacent_difference_config_selectorILb0EjEEZNS1_24adjacent_difference_implIS3_Lb0ELb0EPKjPjN6thrust23THRUST_200600_302600_NS4plusIjEEEE10hipError_tPvRmT2_T3_mT4_P12ihipStream_tbEUlT_E_NS1_11comp_targetILNS1_3genE9ELNS1_11target_archE1100ELNS1_3gpuE3ELNS1_3repE0EEENS1_30default_config_static_selectorELNS0_4arch9wavefront6targetE1EEEvT1_
		.amdhsa_group_segment_fixed_size 0
		.amdhsa_private_segment_fixed_size 0
		.amdhsa_kernarg_size 56
		.amdhsa_user_sgpr_count 2
		.amdhsa_user_sgpr_dispatch_ptr 0
		.amdhsa_user_sgpr_queue_ptr 0
		.amdhsa_user_sgpr_kernarg_segment_ptr 1
		.amdhsa_user_sgpr_dispatch_id 0
		.amdhsa_user_sgpr_kernarg_preload_length 0
		.amdhsa_user_sgpr_kernarg_preload_offset 0
		.amdhsa_user_sgpr_private_segment_size 0
		.amdhsa_uses_dynamic_stack 0
		.amdhsa_enable_private_segment 0
		.amdhsa_system_sgpr_workgroup_id_x 1
		.amdhsa_system_sgpr_workgroup_id_y 0
		.amdhsa_system_sgpr_workgroup_id_z 0
		.amdhsa_system_sgpr_workgroup_info 0
		.amdhsa_system_vgpr_workitem_id 0
		.amdhsa_next_free_vgpr 1
		.amdhsa_next_free_sgpr 0
		.amdhsa_accum_offset 4
		.amdhsa_reserve_vcc 0
		.amdhsa_float_round_mode_32 0
		.amdhsa_float_round_mode_16_64 0
		.amdhsa_float_denorm_mode_32 3
		.amdhsa_float_denorm_mode_16_64 3
		.amdhsa_dx10_clamp 1
		.amdhsa_ieee_mode 1
		.amdhsa_fp16_overflow 0
		.amdhsa_tg_split 0
		.amdhsa_exception_fp_ieee_invalid_op 0
		.amdhsa_exception_fp_denorm_src 0
		.amdhsa_exception_fp_ieee_div_zero 0
		.amdhsa_exception_fp_ieee_overflow 0
		.amdhsa_exception_fp_ieee_underflow 0
		.amdhsa_exception_fp_ieee_inexact 0
		.amdhsa_exception_int_div_zero 0
	.end_amdhsa_kernel
	.section	.text._ZN7rocprim17ROCPRIM_400000_NS6detail17trampoline_kernelINS0_14default_configENS1_35adjacent_difference_config_selectorILb0EjEEZNS1_24adjacent_difference_implIS3_Lb0ELb0EPKjPjN6thrust23THRUST_200600_302600_NS4plusIjEEEE10hipError_tPvRmT2_T3_mT4_P12ihipStream_tbEUlT_E_NS1_11comp_targetILNS1_3genE9ELNS1_11target_archE1100ELNS1_3gpuE3ELNS1_3repE0EEENS1_30default_config_static_selectorELNS0_4arch9wavefront6targetE1EEEvT1_,"axG",@progbits,_ZN7rocprim17ROCPRIM_400000_NS6detail17trampoline_kernelINS0_14default_configENS1_35adjacent_difference_config_selectorILb0EjEEZNS1_24adjacent_difference_implIS3_Lb0ELb0EPKjPjN6thrust23THRUST_200600_302600_NS4plusIjEEEE10hipError_tPvRmT2_T3_mT4_P12ihipStream_tbEUlT_E_NS1_11comp_targetILNS1_3genE9ELNS1_11target_archE1100ELNS1_3gpuE3ELNS1_3repE0EEENS1_30default_config_static_selectorELNS0_4arch9wavefront6targetE1EEEvT1_,comdat
.Lfunc_end597:
	.size	_ZN7rocprim17ROCPRIM_400000_NS6detail17trampoline_kernelINS0_14default_configENS1_35adjacent_difference_config_selectorILb0EjEEZNS1_24adjacent_difference_implIS3_Lb0ELb0EPKjPjN6thrust23THRUST_200600_302600_NS4plusIjEEEE10hipError_tPvRmT2_T3_mT4_P12ihipStream_tbEUlT_E_NS1_11comp_targetILNS1_3genE9ELNS1_11target_archE1100ELNS1_3gpuE3ELNS1_3repE0EEENS1_30default_config_static_selectorELNS0_4arch9wavefront6targetE1EEEvT1_, .Lfunc_end597-_ZN7rocprim17ROCPRIM_400000_NS6detail17trampoline_kernelINS0_14default_configENS1_35adjacent_difference_config_selectorILb0EjEEZNS1_24adjacent_difference_implIS3_Lb0ELb0EPKjPjN6thrust23THRUST_200600_302600_NS4plusIjEEEE10hipError_tPvRmT2_T3_mT4_P12ihipStream_tbEUlT_E_NS1_11comp_targetILNS1_3genE9ELNS1_11target_archE1100ELNS1_3gpuE3ELNS1_3repE0EEENS1_30default_config_static_selectorELNS0_4arch9wavefront6targetE1EEEvT1_
                                        ; -- End function
	.section	.AMDGPU.csdata,"",@progbits
; Kernel info:
; codeLenInByte = 0
; NumSgprs: 6
; NumVgprs: 0
; NumAgprs: 0
; TotalNumVgprs: 0
; ScratchSize: 0
; MemoryBound: 0
; FloatMode: 240
; IeeeMode: 1
; LDSByteSize: 0 bytes/workgroup (compile time only)
; SGPRBlocks: 0
; VGPRBlocks: 0
; NumSGPRsForWavesPerEU: 6
; NumVGPRsForWavesPerEU: 1
; AccumOffset: 4
; Occupancy: 8
; WaveLimiterHint : 0
; COMPUTE_PGM_RSRC2:SCRATCH_EN: 0
; COMPUTE_PGM_RSRC2:USER_SGPR: 2
; COMPUTE_PGM_RSRC2:TRAP_HANDLER: 0
; COMPUTE_PGM_RSRC2:TGID_X_EN: 1
; COMPUTE_PGM_RSRC2:TGID_Y_EN: 0
; COMPUTE_PGM_RSRC2:TGID_Z_EN: 0
; COMPUTE_PGM_RSRC2:TIDIG_COMP_CNT: 0
; COMPUTE_PGM_RSRC3_GFX90A:ACCUM_OFFSET: 0
; COMPUTE_PGM_RSRC3_GFX90A:TG_SPLIT: 0
	.section	.text._ZN7rocprim17ROCPRIM_400000_NS6detail17trampoline_kernelINS0_14default_configENS1_35adjacent_difference_config_selectorILb0EjEEZNS1_24adjacent_difference_implIS3_Lb0ELb0EPKjPjN6thrust23THRUST_200600_302600_NS4plusIjEEEE10hipError_tPvRmT2_T3_mT4_P12ihipStream_tbEUlT_E_NS1_11comp_targetILNS1_3genE8ELNS1_11target_archE1030ELNS1_3gpuE2ELNS1_3repE0EEENS1_30default_config_static_selectorELNS0_4arch9wavefront6targetE1EEEvT1_,"axG",@progbits,_ZN7rocprim17ROCPRIM_400000_NS6detail17trampoline_kernelINS0_14default_configENS1_35adjacent_difference_config_selectorILb0EjEEZNS1_24adjacent_difference_implIS3_Lb0ELb0EPKjPjN6thrust23THRUST_200600_302600_NS4plusIjEEEE10hipError_tPvRmT2_T3_mT4_P12ihipStream_tbEUlT_E_NS1_11comp_targetILNS1_3genE8ELNS1_11target_archE1030ELNS1_3gpuE2ELNS1_3repE0EEENS1_30default_config_static_selectorELNS0_4arch9wavefront6targetE1EEEvT1_,comdat
	.protected	_ZN7rocprim17ROCPRIM_400000_NS6detail17trampoline_kernelINS0_14default_configENS1_35adjacent_difference_config_selectorILb0EjEEZNS1_24adjacent_difference_implIS3_Lb0ELb0EPKjPjN6thrust23THRUST_200600_302600_NS4plusIjEEEE10hipError_tPvRmT2_T3_mT4_P12ihipStream_tbEUlT_E_NS1_11comp_targetILNS1_3genE8ELNS1_11target_archE1030ELNS1_3gpuE2ELNS1_3repE0EEENS1_30default_config_static_selectorELNS0_4arch9wavefront6targetE1EEEvT1_ ; -- Begin function _ZN7rocprim17ROCPRIM_400000_NS6detail17trampoline_kernelINS0_14default_configENS1_35adjacent_difference_config_selectorILb0EjEEZNS1_24adjacent_difference_implIS3_Lb0ELb0EPKjPjN6thrust23THRUST_200600_302600_NS4plusIjEEEE10hipError_tPvRmT2_T3_mT4_P12ihipStream_tbEUlT_E_NS1_11comp_targetILNS1_3genE8ELNS1_11target_archE1030ELNS1_3gpuE2ELNS1_3repE0EEENS1_30default_config_static_selectorELNS0_4arch9wavefront6targetE1EEEvT1_
	.globl	_ZN7rocprim17ROCPRIM_400000_NS6detail17trampoline_kernelINS0_14default_configENS1_35adjacent_difference_config_selectorILb0EjEEZNS1_24adjacent_difference_implIS3_Lb0ELb0EPKjPjN6thrust23THRUST_200600_302600_NS4plusIjEEEE10hipError_tPvRmT2_T3_mT4_P12ihipStream_tbEUlT_E_NS1_11comp_targetILNS1_3genE8ELNS1_11target_archE1030ELNS1_3gpuE2ELNS1_3repE0EEENS1_30default_config_static_selectorELNS0_4arch9wavefront6targetE1EEEvT1_
	.p2align	8
	.type	_ZN7rocprim17ROCPRIM_400000_NS6detail17trampoline_kernelINS0_14default_configENS1_35adjacent_difference_config_selectorILb0EjEEZNS1_24adjacent_difference_implIS3_Lb0ELb0EPKjPjN6thrust23THRUST_200600_302600_NS4plusIjEEEE10hipError_tPvRmT2_T3_mT4_P12ihipStream_tbEUlT_E_NS1_11comp_targetILNS1_3genE8ELNS1_11target_archE1030ELNS1_3gpuE2ELNS1_3repE0EEENS1_30default_config_static_selectorELNS0_4arch9wavefront6targetE1EEEvT1_,@function
_ZN7rocprim17ROCPRIM_400000_NS6detail17trampoline_kernelINS0_14default_configENS1_35adjacent_difference_config_selectorILb0EjEEZNS1_24adjacent_difference_implIS3_Lb0ELb0EPKjPjN6thrust23THRUST_200600_302600_NS4plusIjEEEE10hipError_tPvRmT2_T3_mT4_P12ihipStream_tbEUlT_E_NS1_11comp_targetILNS1_3genE8ELNS1_11target_archE1030ELNS1_3gpuE2ELNS1_3repE0EEENS1_30default_config_static_selectorELNS0_4arch9wavefront6targetE1EEEvT1_: ; @_ZN7rocprim17ROCPRIM_400000_NS6detail17trampoline_kernelINS0_14default_configENS1_35adjacent_difference_config_selectorILb0EjEEZNS1_24adjacent_difference_implIS3_Lb0ELb0EPKjPjN6thrust23THRUST_200600_302600_NS4plusIjEEEE10hipError_tPvRmT2_T3_mT4_P12ihipStream_tbEUlT_E_NS1_11comp_targetILNS1_3genE8ELNS1_11target_archE1030ELNS1_3gpuE2ELNS1_3repE0EEENS1_30default_config_static_selectorELNS0_4arch9wavefront6targetE1EEEvT1_
; %bb.0:
	.section	.rodata,"a",@progbits
	.p2align	6, 0x0
	.amdhsa_kernel _ZN7rocprim17ROCPRIM_400000_NS6detail17trampoline_kernelINS0_14default_configENS1_35adjacent_difference_config_selectorILb0EjEEZNS1_24adjacent_difference_implIS3_Lb0ELb0EPKjPjN6thrust23THRUST_200600_302600_NS4plusIjEEEE10hipError_tPvRmT2_T3_mT4_P12ihipStream_tbEUlT_E_NS1_11comp_targetILNS1_3genE8ELNS1_11target_archE1030ELNS1_3gpuE2ELNS1_3repE0EEENS1_30default_config_static_selectorELNS0_4arch9wavefront6targetE1EEEvT1_
		.amdhsa_group_segment_fixed_size 0
		.amdhsa_private_segment_fixed_size 0
		.amdhsa_kernarg_size 56
		.amdhsa_user_sgpr_count 2
		.amdhsa_user_sgpr_dispatch_ptr 0
		.amdhsa_user_sgpr_queue_ptr 0
		.amdhsa_user_sgpr_kernarg_segment_ptr 1
		.amdhsa_user_sgpr_dispatch_id 0
		.amdhsa_user_sgpr_kernarg_preload_length 0
		.amdhsa_user_sgpr_kernarg_preload_offset 0
		.amdhsa_user_sgpr_private_segment_size 0
		.amdhsa_uses_dynamic_stack 0
		.amdhsa_enable_private_segment 0
		.amdhsa_system_sgpr_workgroup_id_x 1
		.amdhsa_system_sgpr_workgroup_id_y 0
		.amdhsa_system_sgpr_workgroup_id_z 0
		.amdhsa_system_sgpr_workgroup_info 0
		.amdhsa_system_vgpr_workitem_id 0
		.amdhsa_next_free_vgpr 1
		.amdhsa_next_free_sgpr 0
		.amdhsa_accum_offset 4
		.amdhsa_reserve_vcc 0
		.amdhsa_float_round_mode_32 0
		.amdhsa_float_round_mode_16_64 0
		.amdhsa_float_denorm_mode_32 3
		.amdhsa_float_denorm_mode_16_64 3
		.amdhsa_dx10_clamp 1
		.amdhsa_ieee_mode 1
		.amdhsa_fp16_overflow 0
		.amdhsa_tg_split 0
		.amdhsa_exception_fp_ieee_invalid_op 0
		.amdhsa_exception_fp_denorm_src 0
		.amdhsa_exception_fp_ieee_div_zero 0
		.amdhsa_exception_fp_ieee_overflow 0
		.amdhsa_exception_fp_ieee_underflow 0
		.amdhsa_exception_fp_ieee_inexact 0
		.amdhsa_exception_int_div_zero 0
	.end_amdhsa_kernel
	.section	.text._ZN7rocprim17ROCPRIM_400000_NS6detail17trampoline_kernelINS0_14default_configENS1_35adjacent_difference_config_selectorILb0EjEEZNS1_24adjacent_difference_implIS3_Lb0ELb0EPKjPjN6thrust23THRUST_200600_302600_NS4plusIjEEEE10hipError_tPvRmT2_T3_mT4_P12ihipStream_tbEUlT_E_NS1_11comp_targetILNS1_3genE8ELNS1_11target_archE1030ELNS1_3gpuE2ELNS1_3repE0EEENS1_30default_config_static_selectorELNS0_4arch9wavefront6targetE1EEEvT1_,"axG",@progbits,_ZN7rocprim17ROCPRIM_400000_NS6detail17trampoline_kernelINS0_14default_configENS1_35adjacent_difference_config_selectorILb0EjEEZNS1_24adjacent_difference_implIS3_Lb0ELb0EPKjPjN6thrust23THRUST_200600_302600_NS4plusIjEEEE10hipError_tPvRmT2_T3_mT4_P12ihipStream_tbEUlT_E_NS1_11comp_targetILNS1_3genE8ELNS1_11target_archE1030ELNS1_3gpuE2ELNS1_3repE0EEENS1_30default_config_static_selectorELNS0_4arch9wavefront6targetE1EEEvT1_,comdat
.Lfunc_end598:
	.size	_ZN7rocprim17ROCPRIM_400000_NS6detail17trampoline_kernelINS0_14default_configENS1_35adjacent_difference_config_selectorILb0EjEEZNS1_24adjacent_difference_implIS3_Lb0ELb0EPKjPjN6thrust23THRUST_200600_302600_NS4plusIjEEEE10hipError_tPvRmT2_T3_mT4_P12ihipStream_tbEUlT_E_NS1_11comp_targetILNS1_3genE8ELNS1_11target_archE1030ELNS1_3gpuE2ELNS1_3repE0EEENS1_30default_config_static_selectorELNS0_4arch9wavefront6targetE1EEEvT1_, .Lfunc_end598-_ZN7rocprim17ROCPRIM_400000_NS6detail17trampoline_kernelINS0_14default_configENS1_35adjacent_difference_config_selectorILb0EjEEZNS1_24adjacent_difference_implIS3_Lb0ELb0EPKjPjN6thrust23THRUST_200600_302600_NS4plusIjEEEE10hipError_tPvRmT2_T3_mT4_P12ihipStream_tbEUlT_E_NS1_11comp_targetILNS1_3genE8ELNS1_11target_archE1030ELNS1_3gpuE2ELNS1_3repE0EEENS1_30default_config_static_selectorELNS0_4arch9wavefront6targetE1EEEvT1_
                                        ; -- End function
	.section	.AMDGPU.csdata,"",@progbits
; Kernel info:
; codeLenInByte = 0
; NumSgprs: 6
; NumVgprs: 0
; NumAgprs: 0
; TotalNumVgprs: 0
; ScratchSize: 0
; MemoryBound: 0
; FloatMode: 240
; IeeeMode: 1
; LDSByteSize: 0 bytes/workgroup (compile time only)
; SGPRBlocks: 0
; VGPRBlocks: 0
; NumSGPRsForWavesPerEU: 6
; NumVGPRsForWavesPerEU: 1
; AccumOffset: 4
; Occupancy: 8
; WaveLimiterHint : 0
; COMPUTE_PGM_RSRC2:SCRATCH_EN: 0
; COMPUTE_PGM_RSRC2:USER_SGPR: 2
; COMPUTE_PGM_RSRC2:TRAP_HANDLER: 0
; COMPUTE_PGM_RSRC2:TGID_X_EN: 1
; COMPUTE_PGM_RSRC2:TGID_Y_EN: 0
; COMPUTE_PGM_RSRC2:TGID_Z_EN: 0
; COMPUTE_PGM_RSRC2:TIDIG_COMP_CNT: 0
; COMPUTE_PGM_RSRC3_GFX90A:ACCUM_OFFSET: 0
; COMPUTE_PGM_RSRC3_GFX90A:TG_SPLIT: 0
	.section	.text._ZN7rocprim17ROCPRIM_400000_NS6detail17trampoline_kernelINS0_14default_configENS1_25transform_config_selectorIjLb0EEEZNS1_14transform_implILb0ES3_S5_NS0_18transform_iteratorINS0_17counting_iteratorImlEEZNS1_24adjacent_difference_implIS3_Lb1ELb0EPKjPjN6thrust23THRUST_200600_302600_NS4plusIjEEEE10hipError_tPvRmT2_T3_mT4_P12ihipStream_tbEUlmE_jEESD_NS0_8identityIvEEEESI_SL_SM_mSN_SP_bEUlT_E_NS1_11comp_targetILNS1_3genE0ELNS1_11target_archE4294967295ELNS1_3gpuE0ELNS1_3repE0EEENS1_30default_config_static_selectorELNS0_4arch9wavefront6targetE1EEEvT1_,"axG",@progbits,_ZN7rocprim17ROCPRIM_400000_NS6detail17trampoline_kernelINS0_14default_configENS1_25transform_config_selectorIjLb0EEEZNS1_14transform_implILb0ES3_S5_NS0_18transform_iteratorINS0_17counting_iteratorImlEEZNS1_24adjacent_difference_implIS3_Lb1ELb0EPKjPjN6thrust23THRUST_200600_302600_NS4plusIjEEEE10hipError_tPvRmT2_T3_mT4_P12ihipStream_tbEUlmE_jEESD_NS0_8identityIvEEEESI_SL_SM_mSN_SP_bEUlT_E_NS1_11comp_targetILNS1_3genE0ELNS1_11target_archE4294967295ELNS1_3gpuE0ELNS1_3repE0EEENS1_30default_config_static_selectorELNS0_4arch9wavefront6targetE1EEEvT1_,comdat
	.protected	_ZN7rocprim17ROCPRIM_400000_NS6detail17trampoline_kernelINS0_14default_configENS1_25transform_config_selectorIjLb0EEEZNS1_14transform_implILb0ES3_S5_NS0_18transform_iteratorINS0_17counting_iteratorImlEEZNS1_24adjacent_difference_implIS3_Lb1ELb0EPKjPjN6thrust23THRUST_200600_302600_NS4plusIjEEEE10hipError_tPvRmT2_T3_mT4_P12ihipStream_tbEUlmE_jEESD_NS0_8identityIvEEEESI_SL_SM_mSN_SP_bEUlT_E_NS1_11comp_targetILNS1_3genE0ELNS1_11target_archE4294967295ELNS1_3gpuE0ELNS1_3repE0EEENS1_30default_config_static_selectorELNS0_4arch9wavefront6targetE1EEEvT1_ ; -- Begin function _ZN7rocprim17ROCPRIM_400000_NS6detail17trampoline_kernelINS0_14default_configENS1_25transform_config_selectorIjLb0EEEZNS1_14transform_implILb0ES3_S5_NS0_18transform_iteratorINS0_17counting_iteratorImlEEZNS1_24adjacent_difference_implIS3_Lb1ELb0EPKjPjN6thrust23THRUST_200600_302600_NS4plusIjEEEE10hipError_tPvRmT2_T3_mT4_P12ihipStream_tbEUlmE_jEESD_NS0_8identityIvEEEESI_SL_SM_mSN_SP_bEUlT_E_NS1_11comp_targetILNS1_3genE0ELNS1_11target_archE4294967295ELNS1_3gpuE0ELNS1_3repE0EEENS1_30default_config_static_selectorELNS0_4arch9wavefront6targetE1EEEvT1_
	.globl	_ZN7rocprim17ROCPRIM_400000_NS6detail17trampoline_kernelINS0_14default_configENS1_25transform_config_selectorIjLb0EEEZNS1_14transform_implILb0ES3_S5_NS0_18transform_iteratorINS0_17counting_iteratorImlEEZNS1_24adjacent_difference_implIS3_Lb1ELb0EPKjPjN6thrust23THRUST_200600_302600_NS4plusIjEEEE10hipError_tPvRmT2_T3_mT4_P12ihipStream_tbEUlmE_jEESD_NS0_8identityIvEEEESI_SL_SM_mSN_SP_bEUlT_E_NS1_11comp_targetILNS1_3genE0ELNS1_11target_archE4294967295ELNS1_3gpuE0ELNS1_3repE0EEENS1_30default_config_static_selectorELNS0_4arch9wavefront6targetE1EEEvT1_
	.p2align	8
	.type	_ZN7rocprim17ROCPRIM_400000_NS6detail17trampoline_kernelINS0_14default_configENS1_25transform_config_selectorIjLb0EEEZNS1_14transform_implILb0ES3_S5_NS0_18transform_iteratorINS0_17counting_iteratorImlEEZNS1_24adjacent_difference_implIS3_Lb1ELb0EPKjPjN6thrust23THRUST_200600_302600_NS4plusIjEEEE10hipError_tPvRmT2_T3_mT4_P12ihipStream_tbEUlmE_jEESD_NS0_8identityIvEEEESI_SL_SM_mSN_SP_bEUlT_E_NS1_11comp_targetILNS1_3genE0ELNS1_11target_archE4294967295ELNS1_3gpuE0ELNS1_3repE0EEENS1_30default_config_static_selectorELNS0_4arch9wavefront6targetE1EEEvT1_,@function
_ZN7rocprim17ROCPRIM_400000_NS6detail17trampoline_kernelINS0_14default_configENS1_25transform_config_selectorIjLb0EEEZNS1_14transform_implILb0ES3_S5_NS0_18transform_iteratorINS0_17counting_iteratorImlEEZNS1_24adjacent_difference_implIS3_Lb1ELb0EPKjPjN6thrust23THRUST_200600_302600_NS4plusIjEEEE10hipError_tPvRmT2_T3_mT4_P12ihipStream_tbEUlmE_jEESD_NS0_8identityIvEEEESI_SL_SM_mSN_SP_bEUlT_E_NS1_11comp_targetILNS1_3genE0ELNS1_11target_archE4294967295ELNS1_3gpuE0ELNS1_3repE0EEENS1_30default_config_static_selectorELNS0_4arch9wavefront6targetE1EEEvT1_: ; @_ZN7rocprim17ROCPRIM_400000_NS6detail17trampoline_kernelINS0_14default_configENS1_25transform_config_selectorIjLb0EEEZNS1_14transform_implILb0ES3_S5_NS0_18transform_iteratorINS0_17counting_iteratorImlEEZNS1_24adjacent_difference_implIS3_Lb1ELb0EPKjPjN6thrust23THRUST_200600_302600_NS4plusIjEEEE10hipError_tPvRmT2_T3_mT4_P12ihipStream_tbEUlmE_jEESD_NS0_8identityIvEEEESI_SL_SM_mSN_SP_bEUlT_E_NS1_11comp_targetILNS1_3genE0ELNS1_11target_archE4294967295ELNS1_3gpuE0ELNS1_3repE0EEENS1_30default_config_static_selectorELNS0_4arch9wavefront6targetE1EEEvT1_
; %bb.0:
	.section	.rodata,"a",@progbits
	.p2align	6, 0x0
	.amdhsa_kernel _ZN7rocprim17ROCPRIM_400000_NS6detail17trampoline_kernelINS0_14default_configENS1_25transform_config_selectorIjLb0EEEZNS1_14transform_implILb0ES3_S5_NS0_18transform_iteratorINS0_17counting_iteratorImlEEZNS1_24adjacent_difference_implIS3_Lb1ELb0EPKjPjN6thrust23THRUST_200600_302600_NS4plusIjEEEE10hipError_tPvRmT2_T3_mT4_P12ihipStream_tbEUlmE_jEESD_NS0_8identityIvEEEESI_SL_SM_mSN_SP_bEUlT_E_NS1_11comp_targetILNS1_3genE0ELNS1_11target_archE4294967295ELNS1_3gpuE0ELNS1_3repE0EEENS1_30default_config_static_selectorELNS0_4arch9wavefront6targetE1EEEvT1_
		.amdhsa_group_segment_fixed_size 0
		.amdhsa_private_segment_fixed_size 0
		.amdhsa_kernarg_size 56
		.amdhsa_user_sgpr_count 2
		.amdhsa_user_sgpr_dispatch_ptr 0
		.amdhsa_user_sgpr_queue_ptr 0
		.amdhsa_user_sgpr_kernarg_segment_ptr 1
		.amdhsa_user_sgpr_dispatch_id 0
		.amdhsa_user_sgpr_kernarg_preload_length 0
		.amdhsa_user_sgpr_kernarg_preload_offset 0
		.amdhsa_user_sgpr_private_segment_size 0
		.amdhsa_uses_dynamic_stack 0
		.amdhsa_enable_private_segment 0
		.amdhsa_system_sgpr_workgroup_id_x 1
		.amdhsa_system_sgpr_workgroup_id_y 0
		.amdhsa_system_sgpr_workgroup_id_z 0
		.amdhsa_system_sgpr_workgroup_info 0
		.amdhsa_system_vgpr_workitem_id 0
		.amdhsa_next_free_vgpr 1
		.amdhsa_next_free_sgpr 0
		.amdhsa_accum_offset 4
		.amdhsa_reserve_vcc 0
		.amdhsa_float_round_mode_32 0
		.amdhsa_float_round_mode_16_64 0
		.amdhsa_float_denorm_mode_32 3
		.amdhsa_float_denorm_mode_16_64 3
		.amdhsa_dx10_clamp 1
		.amdhsa_ieee_mode 1
		.amdhsa_fp16_overflow 0
		.amdhsa_tg_split 0
		.amdhsa_exception_fp_ieee_invalid_op 0
		.amdhsa_exception_fp_denorm_src 0
		.amdhsa_exception_fp_ieee_div_zero 0
		.amdhsa_exception_fp_ieee_overflow 0
		.amdhsa_exception_fp_ieee_underflow 0
		.amdhsa_exception_fp_ieee_inexact 0
		.amdhsa_exception_int_div_zero 0
	.end_amdhsa_kernel
	.section	.text._ZN7rocprim17ROCPRIM_400000_NS6detail17trampoline_kernelINS0_14default_configENS1_25transform_config_selectorIjLb0EEEZNS1_14transform_implILb0ES3_S5_NS0_18transform_iteratorINS0_17counting_iteratorImlEEZNS1_24adjacent_difference_implIS3_Lb1ELb0EPKjPjN6thrust23THRUST_200600_302600_NS4plusIjEEEE10hipError_tPvRmT2_T3_mT4_P12ihipStream_tbEUlmE_jEESD_NS0_8identityIvEEEESI_SL_SM_mSN_SP_bEUlT_E_NS1_11comp_targetILNS1_3genE0ELNS1_11target_archE4294967295ELNS1_3gpuE0ELNS1_3repE0EEENS1_30default_config_static_selectorELNS0_4arch9wavefront6targetE1EEEvT1_,"axG",@progbits,_ZN7rocprim17ROCPRIM_400000_NS6detail17trampoline_kernelINS0_14default_configENS1_25transform_config_selectorIjLb0EEEZNS1_14transform_implILb0ES3_S5_NS0_18transform_iteratorINS0_17counting_iteratorImlEEZNS1_24adjacent_difference_implIS3_Lb1ELb0EPKjPjN6thrust23THRUST_200600_302600_NS4plusIjEEEE10hipError_tPvRmT2_T3_mT4_P12ihipStream_tbEUlmE_jEESD_NS0_8identityIvEEEESI_SL_SM_mSN_SP_bEUlT_E_NS1_11comp_targetILNS1_3genE0ELNS1_11target_archE4294967295ELNS1_3gpuE0ELNS1_3repE0EEENS1_30default_config_static_selectorELNS0_4arch9wavefront6targetE1EEEvT1_,comdat
.Lfunc_end599:
	.size	_ZN7rocprim17ROCPRIM_400000_NS6detail17trampoline_kernelINS0_14default_configENS1_25transform_config_selectorIjLb0EEEZNS1_14transform_implILb0ES3_S5_NS0_18transform_iteratorINS0_17counting_iteratorImlEEZNS1_24adjacent_difference_implIS3_Lb1ELb0EPKjPjN6thrust23THRUST_200600_302600_NS4plusIjEEEE10hipError_tPvRmT2_T3_mT4_P12ihipStream_tbEUlmE_jEESD_NS0_8identityIvEEEESI_SL_SM_mSN_SP_bEUlT_E_NS1_11comp_targetILNS1_3genE0ELNS1_11target_archE4294967295ELNS1_3gpuE0ELNS1_3repE0EEENS1_30default_config_static_selectorELNS0_4arch9wavefront6targetE1EEEvT1_, .Lfunc_end599-_ZN7rocprim17ROCPRIM_400000_NS6detail17trampoline_kernelINS0_14default_configENS1_25transform_config_selectorIjLb0EEEZNS1_14transform_implILb0ES3_S5_NS0_18transform_iteratorINS0_17counting_iteratorImlEEZNS1_24adjacent_difference_implIS3_Lb1ELb0EPKjPjN6thrust23THRUST_200600_302600_NS4plusIjEEEE10hipError_tPvRmT2_T3_mT4_P12ihipStream_tbEUlmE_jEESD_NS0_8identityIvEEEESI_SL_SM_mSN_SP_bEUlT_E_NS1_11comp_targetILNS1_3genE0ELNS1_11target_archE4294967295ELNS1_3gpuE0ELNS1_3repE0EEENS1_30default_config_static_selectorELNS0_4arch9wavefront6targetE1EEEvT1_
                                        ; -- End function
	.section	.AMDGPU.csdata,"",@progbits
; Kernel info:
; codeLenInByte = 0
; NumSgprs: 6
; NumVgprs: 0
; NumAgprs: 0
; TotalNumVgprs: 0
; ScratchSize: 0
; MemoryBound: 0
; FloatMode: 240
; IeeeMode: 1
; LDSByteSize: 0 bytes/workgroup (compile time only)
; SGPRBlocks: 0
; VGPRBlocks: 0
; NumSGPRsForWavesPerEU: 6
; NumVGPRsForWavesPerEU: 1
; AccumOffset: 4
; Occupancy: 8
; WaveLimiterHint : 0
; COMPUTE_PGM_RSRC2:SCRATCH_EN: 0
; COMPUTE_PGM_RSRC2:USER_SGPR: 2
; COMPUTE_PGM_RSRC2:TRAP_HANDLER: 0
; COMPUTE_PGM_RSRC2:TGID_X_EN: 1
; COMPUTE_PGM_RSRC2:TGID_Y_EN: 0
; COMPUTE_PGM_RSRC2:TGID_Z_EN: 0
; COMPUTE_PGM_RSRC2:TIDIG_COMP_CNT: 0
; COMPUTE_PGM_RSRC3_GFX90A:ACCUM_OFFSET: 0
; COMPUTE_PGM_RSRC3_GFX90A:TG_SPLIT: 0
	.section	.text._ZN7rocprim17ROCPRIM_400000_NS6detail17trampoline_kernelINS0_14default_configENS1_25transform_config_selectorIjLb0EEEZNS1_14transform_implILb0ES3_S5_NS0_18transform_iteratorINS0_17counting_iteratorImlEEZNS1_24adjacent_difference_implIS3_Lb1ELb0EPKjPjN6thrust23THRUST_200600_302600_NS4plusIjEEEE10hipError_tPvRmT2_T3_mT4_P12ihipStream_tbEUlmE_jEESD_NS0_8identityIvEEEESI_SL_SM_mSN_SP_bEUlT_E_NS1_11comp_targetILNS1_3genE5ELNS1_11target_archE942ELNS1_3gpuE9ELNS1_3repE0EEENS1_30default_config_static_selectorELNS0_4arch9wavefront6targetE1EEEvT1_,"axG",@progbits,_ZN7rocprim17ROCPRIM_400000_NS6detail17trampoline_kernelINS0_14default_configENS1_25transform_config_selectorIjLb0EEEZNS1_14transform_implILb0ES3_S5_NS0_18transform_iteratorINS0_17counting_iteratorImlEEZNS1_24adjacent_difference_implIS3_Lb1ELb0EPKjPjN6thrust23THRUST_200600_302600_NS4plusIjEEEE10hipError_tPvRmT2_T3_mT4_P12ihipStream_tbEUlmE_jEESD_NS0_8identityIvEEEESI_SL_SM_mSN_SP_bEUlT_E_NS1_11comp_targetILNS1_3genE5ELNS1_11target_archE942ELNS1_3gpuE9ELNS1_3repE0EEENS1_30default_config_static_selectorELNS0_4arch9wavefront6targetE1EEEvT1_,comdat
	.protected	_ZN7rocprim17ROCPRIM_400000_NS6detail17trampoline_kernelINS0_14default_configENS1_25transform_config_selectorIjLb0EEEZNS1_14transform_implILb0ES3_S5_NS0_18transform_iteratorINS0_17counting_iteratorImlEEZNS1_24adjacent_difference_implIS3_Lb1ELb0EPKjPjN6thrust23THRUST_200600_302600_NS4plusIjEEEE10hipError_tPvRmT2_T3_mT4_P12ihipStream_tbEUlmE_jEESD_NS0_8identityIvEEEESI_SL_SM_mSN_SP_bEUlT_E_NS1_11comp_targetILNS1_3genE5ELNS1_11target_archE942ELNS1_3gpuE9ELNS1_3repE0EEENS1_30default_config_static_selectorELNS0_4arch9wavefront6targetE1EEEvT1_ ; -- Begin function _ZN7rocprim17ROCPRIM_400000_NS6detail17trampoline_kernelINS0_14default_configENS1_25transform_config_selectorIjLb0EEEZNS1_14transform_implILb0ES3_S5_NS0_18transform_iteratorINS0_17counting_iteratorImlEEZNS1_24adjacent_difference_implIS3_Lb1ELb0EPKjPjN6thrust23THRUST_200600_302600_NS4plusIjEEEE10hipError_tPvRmT2_T3_mT4_P12ihipStream_tbEUlmE_jEESD_NS0_8identityIvEEEESI_SL_SM_mSN_SP_bEUlT_E_NS1_11comp_targetILNS1_3genE5ELNS1_11target_archE942ELNS1_3gpuE9ELNS1_3repE0EEENS1_30default_config_static_selectorELNS0_4arch9wavefront6targetE1EEEvT1_
	.globl	_ZN7rocprim17ROCPRIM_400000_NS6detail17trampoline_kernelINS0_14default_configENS1_25transform_config_selectorIjLb0EEEZNS1_14transform_implILb0ES3_S5_NS0_18transform_iteratorINS0_17counting_iteratorImlEEZNS1_24adjacent_difference_implIS3_Lb1ELb0EPKjPjN6thrust23THRUST_200600_302600_NS4plusIjEEEE10hipError_tPvRmT2_T3_mT4_P12ihipStream_tbEUlmE_jEESD_NS0_8identityIvEEEESI_SL_SM_mSN_SP_bEUlT_E_NS1_11comp_targetILNS1_3genE5ELNS1_11target_archE942ELNS1_3gpuE9ELNS1_3repE0EEENS1_30default_config_static_selectorELNS0_4arch9wavefront6targetE1EEEvT1_
	.p2align	8
	.type	_ZN7rocprim17ROCPRIM_400000_NS6detail17trampoline_kernelINS0_14default_configENS1_25transform_config_selectorIjLb0EEEZNS1_14transform_implILb0ES3_S5_NS0_18transform_iteratorINS0_17counting_iteratorImlEEZNS1_24adjacent_difference_implIS3_Lb1ELb0EPKjPjN6thrust23THRUST_200600_302600_NS4plusIjEEEE10hipError_tPvRmT2_T3_mT4_P12ihipStream_tbEUlmE_jEESD_NS0_8identityIvEEEESI_SL_SM_mSN_SP_bEUlT_E_NS1_11comp_targetILNS1_3genE5ELNS1_11target_archE942ELNS1_3gpuE9ELNS1_3repE0EEENS1_30default_config_static_selectorELNS0_4arch9wavefront6targetE1EEEvT1_,@function
_ZN7rocprim17ROCPRIM_400000_NS6detail17trampoline_kernelINS0_14default_configENS1_25transform_config_selectorIjLb0EEEZNS1_14transform_implILb0ES3_S5_NS0_18transform_iteratorINS0_17counting_iteratorImlEEZNS1_24adjacent_difference_implIS3_Lb1ELb0EPKjPjN6thrust23THRUST_200600_302600_NS4plusIjEEEE10hipError_tPvRmT2_T3_mT4_P12ihipStream_tbEUlmE_jEESD_NS0_8identityIvEEEESI_SL_SM_mSN_SP_bEUlT_E_NS1_11comp_targetILNS1_3genE5ELNS1_11target_archE942ELNS1_3gpuE9ELNS1_3repE0EEENS1_30default_config_static_selectorELNS0_4arch9wavefront6targetE1EEEvT1_: ; @_ZN7rocprim17ROCPRIM_400000_NS6detail17trampoline_kernelINS0_14default_configENS1_25transform_config_selectorIjLb0EEEZNS1_14transform_implILb0ES3_S5_NS0_18transform_iteratorINS0_17counting_iteratorImlEEZNS1_24adjacent_difference_implIS3_Lb1ELb0EPKjPjN6thrust23THRUST_200600_302600_NS4plusIjEEEE10hipError_tPvRmT2_T3_mT4_P12ihipStream_tbEUlmE_jEESD_NS0_8identityIvEEEESI_SL_SM_mSN_SP_bEUlT_E_NS1_11comp_targetILNS1_3genE5ELNS1_11target_archE942ELNS1_3gpuE9ELNS1_3repE0EEENS1_30default_config_static_selectorELNS0_4arch9wavefront6targetE1EEEvT1_
; %bb.0:
	s_load_dwordx4 s[8:11], s[0:1], 0x18
	s_load_dwordx2 s[14:15], s[0:1], 0x28
	s_load_dwordx4 s[4:7], s[0:1], 0x0
	s_load_dword s12, s[0:1], 0x10
	s_load_dword s3, s[0:1], 0x38
	s_waitcnt lgkmcnt(0)
	s_lshl_b64 s[0:1], s[8:9], 2
	s_add_u32 s18, s14, s0
	s_addc_u32 s19, s15, s1
	s_lshl_b32 s14, s2, 11
	s_add_i32 s3, s3, -1
	s_add_u32 s0, s4, s14
	s_addc_u32 s1, s5, 0
	s_add_u32 s16, s0, s8
	s_addc_u32 s17, s1, s9
	s_mov_b32 s15, 0
	s_cmp_lg_u32 s2, s3
	v_lshlrev_b32_e32 v6, 2, v0
	s_cbranch_scc0 .LBB600_2
; %bb.1:
	v_mov_b32_e32 v1, 0
	v_lshl_add_u64 v[2:3], s[16:17], 0, v[0:1]
	v_mad_u64_u32 v[4:5], s[0:1], v2, s12, 0
	v_mov_b32_e32 v2, v5
	v_mad_u64_u32 v[2:3], s[0:1], v3, s12, v[2:3]
	s_mov_b32 s13, s15
	v_mov_b32_e32 v5, v2
	v_lshl_add_u64 v[2:3], v[4:5], 2, s[6:7]
	s_lshl_b64 s[0:1], s[12:13], 11
	v_lshl_add_u64 v[4:5], v[2:3], 0, s[0:1]
	v_lshl_add_u64 v[8:9], v[4:5], 0, s[0:1]
	global_load_dword v10, v[2:3], off
	global_load_dword v11, v[4:5], off
	;; [unrolled: 1-line block ×3, first 2 shown]
	v_lshl_add_u64 v[2:3], v[8:9], 0, s[0:1]
	global_load_dword v2, v[2:3], off
	s_lshl_b64 s[2:3], s[14:15], 2
	s_add_u32 s2, s18, s2
	v_mov_b32_e32 v7, v1
	s_addc_u32 s3, s19, s3
	v_lshl_add_u64 v[8:9], s[2:3], 0, v[6:7]
	v_add_co_u32_e32 v4, vcc, 0x1000, v8
	s_nop 1
	v_addc_co_u32_e32 v5, vcc, 0, v9, vcc
	s_mov_b64 s[8:9], -1
	s_waitcnt vmcnt(3)
	global_store_dword v6, v10, s[2:3]
	s_waitcnt vmcnt(3)
	global_store_dword v6, v11, s[2:3] offset:2048
	s_waitcnt vmcnt(3)
	global_store_dword v[4:5], v12, off
	s_cbranch_execz .LBB600_3
	s_branch .LBB600_17
.LBB600_2:
	s_mov_b64 s[8:9], 0
                                        ; implicit-def: $vgpr2
                                        ; implicit-def: $vgpr8_vgpr9
.LBB600_3:
	s_sub_i32 s10, s10, s14
	v_cmp_gt_u32_e32 vcc, s10, v0
                                        ; implicit-def: $vgpr2_vgpr3_vgpr4_vgpr5
	s_and_saveexec_b64 s[0:1], vcc
	s_cbranch_execz .LBB600_5
; %bb.4:
	v_mov_b32_e32 v1, 0
	s_waitcnt vmcnt(3)
	v_lshl_add_u64 v[2:3], s[16:17], 0, v[0:1]
	v_mad_u64_u32 v[4:5], s[2:3], v2, s12, 0
	v_mov_b32_e32 v2, v5
	v_mad_u64_u32 v[2:3], s[2:3], v3, s12, v[2:3]
	v_mov_b32_e32 v5, v2
	v_lshl_add_u64 v[2:3], v[4:5], 2, s[6:7]
	global_load_dword v2, v[2:3], off
.LBB600_5:
	s_or_b64 exec, exec, s[0:1]
	v_or_b32_e32 v8, 0x200, v0
	v_cmp_gt_u32_e64 s[0:1], s10, v8
	s_and_saveexec_b64 s[2:3], s[0:1]
	s_cbranch_execz .LBB600_7
; %bb.6:
	v_mov_b32_e32 v9, 0
	v_lshl_add_u64 v[8:9], s[16:17], 0, v[8:9]
	v_mad_u64_u32 v[10:11], s[4:5], v8, s12, 0
	v_mov_b32_e32 v8, v11
	v_mad_u64_u32 v[8:9], s[4:5], v9, s12, v[8:9]
	v_mov_b32_e32 v11, v8
	v_lshl_add_u64 v[8:9], v[10:11], 2, s[6:7]
	global_load_dword v3, v[8:9], off
.LBB600_7:
	s_or_b64 exec, exec, s[2:3]
	v_or_b32_e32 v8, 0x400, v0
	v_cmp_gt_u32_e64 s[2:3], s10, v8
	s_and_saveexec_b64 s[4:5], s[2:3]
	s_cbranch_execz .LBB600_9
; %bb.8:
	v_mov_b32_e32 v9, 0
	v_lshl_add_u64 v[8:9], s[16:17], 0, v[8:9]
	v_mad_u64_u32 v[10:11], s[20:21], v8, s12, 0
	v_mov_b32_e32 v4, v11
	v_mad_u64_u32 v[8:9], s[20:21], v9, s12, v[4:5]
	v_mov_b32_e32 v11, v8
	v_lshl_add_u64 v[8:9], v[10:11], 2, s[6:7]
	global_load_dword v4, v[8:9], off
.LBB600_9:
	;; [unrolled: 15-line block ×3, first 2 shown]
	s_or_b64 exec, exec, s[10:11]
	s_lshl_b64 s[6:7], s[14:15], 2
	s_add_u32 s6, s18, s6
	s_addc_u32 s7, s19, s7
	v_mov_b32_e32 v7, 0
	v_lshl_add_u64 v[8:9], s[6:7], 0, v[6:7]
	s_and_saveexec_b64 s[6:7], vcc
	s_cbranch_execnz .LBB600_20
; %bb.12:
	s_or_b64 exec, exec, s[6:7]
	s_and_saveexec_b64 s[6:7], s[0:1]
	s_cbranch_execnz .LBB600_21
.LBB600_13:
	s_or_b64 exec, exec, s[6:7]
	s_and_saveexec_b64 s[0:1], s[2:3]
	s_cbranch_execnz .LBB600_22
.LBB600_14:
	s_or_b64 exec, exec, s[0:1]
                                        ; implicit-def: $vgpr2
	s_and_saveexec_b64 s[0:1], s[4:5]
	s_cbranch_execz .LBB600_16
.LBB600_15:
	s_waitcnt vmcnt(0)
	v_cndmask_b32_e64 v2, v5, v5, s[4:5]
	s_or_b64 s[8:9], s[8:9], exec
.LBB600_16:
	s_or_b64 exec, exec, s[0:1]
.LBB600_17:
	s_and_saveexec_b64 s[0:1], s[8:9]
	s_cbranch_execnz .LBB600_19
; %bb.18:
	s_endpgm
.LBB600_19:
	v_add_co_u32_e32 v0, vcc, 0x1000, v8
	s_nop 1
	v_addc_co_u32_e32 v1, vcc, 0, v9, vcc
	s_waitcnt vmcnt(0)
	global_store_dword v[0:1], v2, off offset:2048
	s_endpgm
.LBB600_20:
	s_waitcnt vmcnt(0)
	global_store_dword v[8:9], v2, off
	s_or_b64 exec, exec, s[6:7]
	s_and_saveexec_b64 s[6:7], s[0:1]
	s_cbranch_execz .LBB600_13
.LBB600_21:
	s_waitcnt vmcnt(0)
	global_store_dword v[8:9], v3, off offset:2048
	s_or_b64 exec, exec, s[6:7]
	s_and_saveexec_b64 s[0:1], s[2:3]
	s_cbranch_execz .LBB600_14
.LBB600_22:
	v_add_co_u32_e32 v0, vcc, 0x1000, v8
	s_waitcnt vmcnt(0)
	v_cndmask_b32_e64 v2, v4, v4, s[2:3]
	v_addc_co_u32_e32 v1, vcc, 0, v9, vcc
	global_store_dword v[0:1], v2, off
	s_or_b64 exec, exec, s[0:1]
                                        ; implicit-def: $vgpr2
	s_and_saveexec_b64 s[0:1], s[4:5]
	s_cbranch_execnz .LBB600_15
	s_branch .LBB600_16
	.section	.rodata,"a",@progbits
	.p2align	6, 0x0
	.amdhsa_kernel _ZN7rocprim17ROCPRIM_400000_NS6detail17trampoline_kernelINS0_14default_configENS1_25transform_config_selectorIjLb0EEEZNS1_14transform_implILb0ES3_S5_NS0_18transform_iteratorINS0_17counting_iteratorImlEEZNS1_24adjacent_difference_implIS3_Lb1ELb0EPKjPjN6thrust23THRUST_200600_302600_NS4plusIjEEEE10hipError_tPvRmT2_T3_mT4_P12ihipStream_tbEUlmE_jEESD_NS0_8identityIvEEEESI_SL_SM_mSN_SP_bEUlT_E_NS1_11comp_targetILNS1_3genE5ELNS1_11target_archE942ELNS1_3gpuE9ELNS1_3repE0EEENS1_30default_config_static_selectorELNS0_4arch9wavefront6targetE1EEEvT1_
		.amdhsa_group_segment_fixed_size 0
		.amdhsa_private_segment_fixed_size 0
		.amdhsa_kernarg_size 312
		.amdhsa_user_sgpr_count 2
		.amdhsa_user_sgpr_dispatch_ptr 0
		.amdhsa_user_sgpr_queue_ptr 0
		.amdhsa_user_sgpr_kernarg_segment_ptr 1
		.amdhsa_user_sgpr_dispatch_id 0
		.amdhsa_user_sgpr_kernarg_preload_length 0
		.amdhsa_user_sgpr_kernarg_preload_offset 0
		.amdhsa_user_sgpr_private_segment_size 0
		.amdhsa_uses_dynamic_stack 0
		.amdhsa_enable_private_segment 0
		.amdhsa_system_sgpr_workgroup_id_x 1
		.amdhsa_system_sgpr_workgroup_id_y 0
		.amdhsa_system_sgpr_workgroup_id_z 0
		.amdhsa_system_sgpr_workgroup_info 0
		.amdhsa_system_vgpr_workitem_id 0
		.amdhsa_next_free_vgpr 13
		.amdhsa_next_free_sgpr 22
		.amdhsa_accum_offset 16
		.amdhsa_reserve_vcc 1
		.amdhsa_float_round_mode_32 0
		.amdhsa_float_round_mode_16_64 0
		.amdhsa_float_denorm_mode_32 3
		.amdhsa_float_denorm_mode_16_64 3
		.amdhsa_dx10_clamp 1
		.amdhsa_ieee_mode 1
		.amdhsa_fp16_overflow 0
		.amdhsa_tg_split 0
		.amdhsa_exception_fp_ieee_invalid_op 0
		.amdhsa_exception_fp_denorm_src 0
		.amdhsa_exception_fp_ieee_div_zero 0
		.amdhsa_exception_fp_ieee_overflow 0
		.amdhsa_exception_fp_ieee_underflow 0
		.amdhsa_exception_fp_ieee_inexact 0
		.amdhsa_exception_int_div_zero 0
	.end_amdhsa_kernel
	.section	.text._ZN7rocprim17ROCPRIM_400000_NS6detail17trampoline_kernelINS0_14default_configENS1_25transform_config_selectorIjLb0EEEZNS1_14transform_implILb0ES3_S5_NS0_18transform_iteratorINS0_17counting_iteratorImlEEZNS1_24adjacent_difference_implIS3_Lb1ELb0EPKjPjN6thrust23THRUST_200600_302600_NS4plusIjEEEE10hipError_tPvRmT2_T3_mT4_P12ihipStream_tbEUlmE_jEESD_NS0_8identityIvEEEESI_SL_SM_mSN_SP_bEUlT_E_NS1_11comp_targetILNS1_3genE5ELNS1_11target_archE942ELNS1_3gpuE9ELNS1_3repE0EEENS1_30default_config_static_selectorELNS0_4arch9wavefront6targetE1EEEvT1_,"axG",@progbits,_ZN7rocprim17ROCPRIM_400000_NS6detail17trampoline_kernelINS0_14default_configENS1_25transform_config_selectorIjLb0EEEZNS1_14transform_implILb0ES3_S5_NS0_18transform_iteratorINS0_17counting_iteratorImlEEZNS1_24adjacent_difference_implIS3_Lb1ELb0EPKjPjN6thrust23THRUST_200600_302600_NS4plusIjEEEE10hipError_tPvRmT2_T3_mT4_P12ihipStream_tbEUlmE_jEESD_NS0_8identityIvEEEESI_SL_SM_mSN_SP_bEUlT_E_NS1_11comp_targetILNS1_3genE5ELNS1_11target_archE942ELNS1_3gpuE9ELNS1_3repE0EEENS1_30default_config_static_selectorELNS0_4arch9wavefront6targetE1EEEvT1_,comdat
.Lfunc_end600:
	.size	_ZN7rocprim17ROCPRIM_400000_NS6detail17trampoline_kernelINS0_14default_configENS1_25transform_config_selectorIjLb0EEEZNS1_14transform_implILb0ES3_S5_NS0_18transform_iteratorINS0_17counting_iteratorImlEEZNS1_24adjacent_difference_implIS3_Lb1ELb0EPKjPjN6thrust23THRUST_200600_302600_NS4plusIjEEEE10hipError_tPvRmT2_T3_mT4_P12ihipStream_tbEUlmE_jEESD_NS0_8identityIvEEEESI_SL_SM_mSN_SP_bEUlT_E_NS1_11comp_targetILNS1_3genE5ELNS1_11target_archE942ELNS1_3gpuE9ELNS1_3repE0EEENS1_30default_config_static_selectorELNS0_4arch9wavefront6targetE1EEEvT1_, .Lfunc_end600-_ZN7rocprim17ROCPRIM_400000_NS6detail17trampoline_kernelINS0_14default_configENS1_25transform_config_selectorIjLb0EEEZNS1_14transform_implILb0ES3_S5_NS0_18transform_iteratorINS0_17counting_iteratorImlEEZNS1_24adjacent_difference_implIS3_Lb1ELb0EPKjPjN6thrust23THRUST_200600_302600_NS4plusIjEEEE10hipError_tPvRmT2_T3_mT4_P12ihipStream_tbEUlmE_jEESD_NS0_8identityIvEEEESI_SL_SM_mSN_SP_bEUlT_E_NS1_11comp_targetILNS1_3genE5ELNS1_11target_archE942ELNS1_3gpuE9ELNS1_3repE0EEENS1_30default_config_static_selectorELNS0_4arch9wavefront6targetE1EEEvT1_
                                        ; -- End function
	.section	.AMDGPU.csdata,"",@progbits
; Kernel info:
; codeLenInByte = 840
; NumSgprs: 28
; NumVgprs: 13
; NumAgprs: 0
; TotalNumVgprs: 13
; ScratchSize: 0
; MemoryBound: 0
; FloatMode: 240
; IeeeMode: 1
; LDSByteSize: 0 bytes/workgroup (compile time only)
; SGPRBlocks: 3
; VGPRBlocks: 1
; NumSGPRsForWavesPerEU: 28
; NumVGPRsForWavesPerEU: 13
; AccumOffset: 16
; Occupancy: 8
; WaveLimiterHint : 1
; COMPUTE_PGM_RSRC2:SCRATCH_EN: 0
; COMPUTE_PGM_RSRC2:USER_SGPR: 2
; COMPUTE_PGM_RSRC2:TRAP_HANDLER: 0
; COMPUTE_PGM_RSRC2:TGID_X_EN: 1
; COMPUTE_PGM_RSRC2:TGID_Y_EN: 0
; COMPUTE_PGM_RSRC2:TGID_Z_EN: 0
; COMPUTE_PGM_RSRC2:TIDIG_COMP_CNT: 0
; COMPUTE_PGM_RSRC3_GFX90A:ACCUM_OFFSET: 3
; COMPUTE_PGM_RSRC3_GFX90A:TG_SPLIT: 0
	.section	.text._ZN7rocprim17ROCPRIM_400000_NS6detail17trampoline_kernelINS0_14default_configENS1_25transform_config_selectorIjLb0EEEZNS1_14transform_implILb0ES3_S5_NS0_18transform_iteratorINS0_17counting_iteratorImlEEZNS1_24adjacent_difference_implIS3_Lb1ELb0EPKjPjN6thrust23THRUST_200600_302600_NS4plusIjEEEE10hipError_tPvRmT2_T3_mT4_P12ihipStream_tbEUlmE_jEESD_NS0_8identityIvEEEESI_SL_SM_mSN_SP_bEUlT_E_NS1_11comp_targetILNS1_3genE4ELNS1_11target_archE910ELNS1_3gpuE8ELNS1_3repE0EEENS1_30default_config_static_selectorELNS0_4arch9wavefront6targetE1EEEvT1_,"axG",@progbits,_ZN7rocprim17ROCPRIM_400000_NS6detail17trampoline_kernelINS0_14default_configENS1_25transform_config_selectorIjLb0EEEZNS1_14transform_implILb0ES3_S5_NS0_18transform_iteratorINS0_17counting_iteratorImlEEZNS1_24adjacent_difference_implIS3_Lb1ELb0EPKjPjN6thrust23THRUST_200600_302600_NS4plusIjEEEE10hipError_tPvRmT2_T3_mT4_P12ihipStream_tbEUlmE_jEESD_NS0_8identityIvEEEESI_SL_SM_mSN_SP_bEUlT_E_NS1_11comp_targetILNS1_3genE4ELNS1_11target_archE910ELNS1_3gpuE8ELNS1_3repE0EEENS1_30default_config_static_selectorELNS0_4arch9wavefront6targetE1EEEvT1_,comdat
	.protected	_ZN7rocprim17ROCPRIM_400000_NS6detail17trampoline_kernelINS0_14default_configENS1_25transform_config_selectorIjLb0EEEZNS1_14transform_implILb0ES3_S5_NS0_18transform_iteratorINS0_17counting_iteratorImlEEZNS1_24adjacent_difference_implIS3_Lb1ELb0EPKjPjN6thrust23THRUST_200600_302600_NS4plusIjEEEE10hipError_tPvRmT2_T3_mT4_P12ihipStream_tbEUlmE_jEESD_NS0_8identityIvEEEESI_SL_SM_mSN_SP_bEUlT_E_NS1_11comp_targetILNS1_3genE4ELNS1_11target_archE910ELNS1_3gpuE8ELNS1_3repE0EEENS1_30default_config_static_selectorELNS0_4arch9wavefront6targetE1EEEvT1_ ; -- Begin function _ZN7rocprim17ROCPRIM_400000_NS6detail17trampoline_kernelINS0_14default_configENS1_25transform_config_selectorIjLb0EEEZNS1_14transform_implILb0ES3_S5_NS0_18transform_iteratorINS0_17counting_iteratorImlEEZNS1_24adjacent_difference_implIS3_Lb1ELb0EPKjPjN6thrust23THRUST_200600_302600_NS4plusIjEEEE10hipError_tPvRmT2_T3_mT4_P12ihipStream_tbEUlmE_jEESD_NS0_8identityIvEEEESI_SL_SM_mSN_SP_bEUlT_E_NS1_11comp_targetILNS1_3genE4ELNS1_11target_archE910ELNS1_3gpuE8ELNS1_3repE0EEENS1_30default_config_static_selectorELNS0_4arch9wavefront6targetE1EEEvT1_
	.globl	_ZN7rocprim17ROCPRIM_400000_NS6detail17trampoline_kernelINS0_14default_configENS1_25transform_config_selectorIjLb0EEEZNS1_14transform_implILb0ES3_S5_NS0_18transform_iteratorINS0_17counting_iteratorImlEEZNS1_24adjacent_difference_implIS3_Lb1ELb0EPKjPjN6thrust23THRUST_200600_302600_NS4plusIjEEEE10hipError_tPvRmT2_T3_mT4_P12ihipStream_tbEUlmE_jEESD_NS0_8identityIvEEEESI_SL_SM_mSN_SP_bEUlT_E_NS1_11comp_targetILNS1_3genE4ELNS1_11target_archE910ELNS1_3gpuE8ELNS1_3repE0EEENS1_30default_config_static_selectorELNS0_4arch9wavefront6targetE1EEEvT1_
	.p2align	8
	.type	_ZN7rocprim17ROCPRIM_400000_NS6detail17trampoline_kernelINS0_14default_configENS1_25transform_config_selectorIjLb0EEEZNS1_14transform_implILb0ES3_S5_NS0_18transform_iteratorINS0_17counting_iteratorImlEEZNS1_24adjacent_difference_implIS3_Lb1ELb0EPKjPjN6thrust23THRUST_200600_302600_NS4plusIjEEEE10hipError_tPvRmT2_T3_mT4_P12ihipStream_tbEUlmE_jEESD_NS0_8identityIvEEEESI_SL_SM_mSN_SP_bEUlT_E_NS1_11comp_targetILNS1_3genE4ELNS1_11target_archE910ELNS1_3gpuE8ELNS1_3repE0EEENS1_30default_config_static_selectorELNS0_4arch9wavefront6targetE1EEEvT1_,@function
_ZN7rocprim17ROCPRIM_400000_NS6detail17trampoline_kernelINS0_14default_configENS1_25transform_config_selectorIjLb0EEEZNS1_14transform_implILb0ES3_S5_NS0_18transform_iteratorINS0_17counting_iteratorImlEEZNS1_24adjacent_difference_implIS3_Lb1ELb0EPKjPjN6thrust23THRUST_200600_302600_NS4plusIjEEEE10hipError_tPvRmT2_T3_mT4_P12ihipStream_tbEUlmE_jEESD_NS0_8identityIvEEEESI_SL_SM_mSN_SP_bEUlT_E_NS1_11comp_targetILNS1_3genE4ELNS1_11target_archE910ELNS1_3gpuE8ELNS1_3repE0EEENS1_30default_config_static_selectorELNS0_4arch9wavefront6targetE1EEEvT1_: ; @_ZN7rocprim17ROCPRIM_400000_NS6detail17trampoline_kernelINS0_14default_configENS1_25transform_config_selectorIjLb0EEEZNS1_14transform_implILb0ES3_S5_NS0_18transform_iteratorINS0_17counting_iteratorImlEEZNS1_24adjacent_difference_implIS3_Lb1ELb0EPKjPjN6thrust23THRUST_200600_302600_NS4plusIjEEEE10hipError_tPvRmT2_T3_mT4_P12ihipStream_tbEUlmE_jEESD_NS0_8identityIvEEEESI_SL_SM_mSN_SP_bEUlT_E_NS1_11comp_targetILNS1_3genE4ELNS1_11target_archE910ELNS1_3gpuE8ELNS1_3repE0EEENS1_30default_config_static_selectorELNS0_4arch9wavefront6targetE1EEEvT1_
; %bb.0:
	.section	.rodata,"a",@progbits
	.p2align	6, 0x0
	.amdhsa_kernel _ZN7rocprim17ROCPRIM_400000_NS6detail17trampoline_kernelINS0_14default_configENS1_25transform_config_selectorIjLb0EEEZNS1_14transform_implILb0ES3_S5_NS0_18transform_iteratorINS0_17counting_iteratorImlEEZNS1_24adjacent_difference_implIS3_Lb1ELb0EPKjPjN6thrust23THRUST_200600_302600_NS4plusIjEEEE10hipError_tPvRmT2_T3_mT4_P12ihipStream_tbEUlmE_jEESD_NS0_8identityIvEEEESI_SL_SM_mSN_SP_bEUlT_E_NS1_11comp_targetILNS1_3genE4ELNS1_11target_archE910ELNS1_3gpuE8ELNS1_3repE0EEENS1_30default_config_static_selectorELNS0_4arch9wavefront6targetE1EEEvT1_
		.amdhsa_group_segment_fixed_size 0
		.amdhsa_private_segment_fixed_size 0
		.amdhsa_kernarg_size 56
		.amdhsa_user_sgpr_count 2
		.amdhsa_user_sgpr_dispatch_ptr 0
		.amdhsa_user_sgpr_queue_ptr 0
		.amdhsa_user_sgpr_kernarg_segment_ptr 1
		.amdhsa_user_sgpr_dispatch_id 0
		.amdhsa_user_sgpr_kernarg_preload_length 0
		.amdhsa_user_sgpr_kernarg_preload_offset 0
		.amdhsa_user_sgpr_private_segment_size 0
		.amdhsa_uses_dynamic_stack 0
		.amdhsa_enable_private_segment 0
		.amdhsa_system_sgpr_workgroup_id_x 1
		.amdhsa_system_sgpr_workgroup_id_y 0
		.amdhsa_system_sgpr_workgroup_id_z 0
		.amdhsa_system_sgpr_workgroup_info 0
		.amdhsa_system_vgpr_workitem_id 0
		.amdhsa_next_free_vgpr 1
		.amdhsa_next_free_sgpr 0
		.amdhsa_accum_offset 4
		.amdhsa_reserve_vcc 0
		.amdhsa_float_round_mode_32 0
		.amdhsa_float_round_mode_16_64 0
		.amdhsa_float_denorm_mode_32 3
		.amdhsa_float_denorm_mode_16_64 3
		.amdhsa_dx10_clamp 1
		.amdhsa_ieee_mode 1
		.amdhsa_fp16_overflow 0
		.amdhsa_tg_split 0
		.amdhsa_exception_fp_ieee_invalid_op 0
		.amdhsa_exception_fp_denorm_src 0
		.amdhsa_exception_fp_ieee_div_zero 0
		.amdhsa_exception_fp_ieee_overflow 0
		.amdhsa_exception_fp_ieee_underflow 0
		.amdhsa_exception_fp_ieee_inexact 0
		.amdhsa_exception_int_div_zero 0
	.end_amdhsa_kernel
	.section	.text._ZN7rocprim17ROCPRIM_400000_NS6detail17trampoline_kernelINS0_14default_configENS1_25transform_config_selectorIjLb0EEEZNS1_14transform_implILb0ES3_S5_NS0_18transform_iteratorINS0_17counting_iteratorImlEEZNS1_24adjacent_difference_implIS3_Lb1ELb0EPKjPjN6thrust23THRUST_200600_302600_NS4plusIjEEEE10hipError_tPvRmT2_T3_mT4_P12ihipStream_tbEUlmE_jEESD_NS0_8identityIvEEEESI_SL_SM_mSN_SP_bEUlT_E_NS1_11comp_targetILNS1_3genE4ELNS1_11target_archE910ELNS1_3gpuE8ELNS1_3repE0EEENS1_30default_config_static_selectorELNS0_4arch9wavefront6targetE1EEEvT1_,"axG",@progbits,_ZN7rocprim17ROCPRIM_400000_NS6detail17trampoline_kernelINS0_14default_configENS1_25transform_config_selectorIjLb0EEEZNS1_14transform_implILb0ES3_S5_NS0_18transform_iteratorINS0_17counting_iteratorImlEEZNS1_24adjacent_difference_implIS3_Lb1ELb0EPKjPjN6thrust23THRUST_200600_302600_NS4plusIjEEEE10hipError_tPvRmT2_T3_mT4_P12ihipStream_tbEUlmE_jEESD_NS0_8identityIvEEEESI_SL_SM_mSN_SP_bEUlT_E_NS1_11comp_targetILNS1_3genE4ELNS1_11target_archE910ELNS1_3gpuE8ELNS1_3repE0EEENS1_30default_config_static_selectorELNS0_4arch9wavefront6targetE1EEEvT1_,comdat
.Lfunc_end601:
	.size	_ZN7rocprim17ROCPRIM_400000_NS6detail17trampoline_kernelINS0_14default_configENS1_25transform_config_selectorIjLb0EEEZNS1_14transform_implILb0ES3_S5_NS0_18transform_iteratorINS0_17counting_iteratorImlEEZNS1_24adjacent_difference_implIS3_Lb1ELb0EPKjPjN6thrust23THRUST_200600_302600_NS4plusIjEEEE10hipError_tPvRmT2_T3_mT4_P12ihipStream_tbEUlmE_jEESD_NS0_8identityIvEEEESI_SL_SM_mSN_SP_bEUlT_E_NS1_11comp_targetILNS1_3genE4ELNS1_11target_archE910ELNS1_3gpuE8ELNS1_3repE0EEENS1_30default_config_static_selectorELNS0_4arch9wavefront6targetE1EEEvT1_, .Lfunc_end601-_ZN7rocprim17ROCPRIM_400000_NS6detail17trampoline_kernelINS0_14default_configENS1_25transform_config_selectorIjLb0EEEZNS1_14transform_implILb0ES3_S5_NS0_18transform_iteratorINS0_17counting_iteratorImlEEZNS1_24adjacent_difference_implIS3_Lb1ELb0EPKjPjN6thrust23THRUST_200600_302600_NS4plusIjEEEE10hipError_tPvRmT2_T3_mT4_P12ihipStream_tbEUlmE_jEESD_NS0_8identityIvEEEESI_SL_SM_mSN_SP_bEUlT_E_NS1_11comp_targetILNS1_3genE4ELNS1_11target_archE910ELNS1_3gpuE8ELNS1_3repE0EEENS1_30default_config_static_selectorELNS0_4arch9wavefront6targetE1EEEvT1_
                                        ; -- End function
	.section	.AMDGPU.csdata,"",@progbits
; Kernel info:
; codeLenInByte = 0
; NumSgprs: 6
; NumVgprs: 0
; NumAgprs: 0
; TotalNumVgprs: 0
; ScratchSize: 0
; MemoryBound: 0
; FloatMode: 240
; IeeeMode: 1
; LDSByteSize: 0 bytes/workgroup (compile time only)
; SGPRBlocks: 0
; VGPRBlocks: 0
; NumSGPRsForWavesPerEU: 6
; NumVGPRsForWavesPerEU: 1
; AccumOffset: 4
; Occupancy: 8
; WaveLimiterHint : 0
; COMPUTE_PGM_RSRC2:SCRATCH_EN: 0
; COMPUTE_PGM_RSRC2:USER_SGPR: 2
; COMPUTE_PGM_RSRC2:TRAP_HANDLER: 0
; COMPUTE_PGM_RSRC2:TGID_X_EN: 1
; COMPUTE_PGM_RSRC2:TGID_Y_EN: 0
; COMPUTE_PGM_RSRC2:TGID_Z_EN: 0
; COMPUTE_PGM_RSRC2:TIDIG_COMP_CNT: 0
; COMPUTE_PGM_RSRC3_GFX90A:ACCUM_OFFSET: 0
; COMPUTE_PGM_RSRC3_GFX90A:TG_SPLIT: 0
	.section	.text._ZN7rocprim17ROCPRIM_400000_NS6detail17trampoline_kernelINS0_14default_configENS1_25transform_config_selectorIjLb0EEEZNS1_14transform_implILb0ES3_S5_NS0_18transform_iteratorINS0_17counting_iteratorImlEEZNS1_24adjacent_difference_implIS3_Lb1ELb0EPKjPjN6thrust23THRUST_200600_302600_NS4plusIjEEEE10hipError_tPvRmT2_T3_mT4_P12ihipStream_tbEUlmE_jEESD_NS0_8identityIvEEEESI_SL_SM_mSN_SP_bEUlT_E_NS1_11comp_targetILNS1_3genE3ELNS1_11target_archE908ELNS1_3gpuE7ELNS1_3repE0EEENS1_30default_config_static_selectorELNS0_4arch9wavefront6targetE1EEEvT1_,"axG",@progbits,_ZN7rocprim17ROCPRIM_400000_NS6detail17trampoline_kernelINS0_14default_configENS1_25transform_config_selectorIjLb0EEEZNS1_14transform_implILb0ES3_S5_NS0_18transform_iteratorINS0_17counting_iteratorImlEEZNS1_24adjacent_difference_implIS3_Lb1ELb0EPKjPjN6thrust23THRUST_200600_302600_NS4plusIjEEEE10hipError_tPvRmT2_T3_mT4_P12ihipStream_tbEUlmE_jEESD_NS0_8identityIvEEEESI_SL_SM_mSN_SP_bEUlT_E_NS1_11comp_targetILNS1_3genE3ELNS1_11target_archE908ELNS1_3gpuE7ELNS1_3repE0EEENS1_30default_config_static_selectorELNS0_4arch9wavefront6targetE1EEEvT1_,comdat
	.protected	_ZN7rocprim17ROCPRIM_400000_NS6detail17trampoline_kernelINS0_14default_configENS1_25transform_config_selectorIjLb0EEEZNS1_14transform_implILb0ES3_S5_NS0_18transform_iteratorINS0_17counting_iteratorImlEEZNS1_24adjacent_difference_implIS3_Lb1ELb0EPKjPjN6thrust23THRUST_200600_302600_NS4plusIjEEEE10hipError_tPvRmT2_T3_mT4_P12ihipStream_tbEUlmE_jEESD_NS0_8identityIvEEEESI_SL_SM_mSN_SP_bEUlT_E_NS1_11comp_targetILNS1_3genE3ELNS1_11target_archE908ELNS1_3gpuE7ELNS1_3repE0EEENS1_30default_config_static_selectorELNS0_4arch9wavefront6targetE1EEEvT1_ ; -- Begin function _ZN7rocprim17ROCPRIM_400000_NS6detail17trampoline_kernelINS0_14default_configENS1_25transform_config_selectorIjLb0EEEZNS1_14transform_implILb0ES3_S5_NS0_18transform_iteratorINS0_17counting_iteratorImlEEZNS1_24adjacent_difference_implIS3_Lb1ELb0EPKjPjN6thrust23THRUST_200600_302600_NS4plusIjEEEE10hipError_tPvRmT2_T3_mT4_P12ihipStream_tbEUlmE_jEESD_NS0_8identityIvEEEESI_SL_SM_mSN_SP_bEUlT_E_NS1_11comp_targetILNS1_3genE3ELNS1_11target_archE908ELNS1_3gpuE7ELNS1_3repE0EEENS1_30default_config_static_selectorELNS0_4arch9wavefront6targetE1EEEvT1_
	.globl	_ZN7rocprim17ROCPRIM_400000_NS6detail17trampoline_kernelINS0_14default_configENS1_25transform_config_selectorIjLb0EEEZNS1_14transform_implILb0ES3_S5_NS0_18transform_iteratorINS0_17counting_iteratorImlEEZNS1_24adjacent_difference_implIS3_Lb1ELb0EPKjPjN6thrust23THRUST_200600_302600_NS4plusIjEEEE10hipError_tPvRmT2_T3_mT4_P12ihipStream_tbEUlmE_jEESD_NS0_8identityIvEEEESI_SL_SM_mSN_SP_bEUlT_E_NS1_11comp_targetILNS1_3genE3ELNS1_11target_archE908ELNS1_3gpuE7ELNS1_3repE0EEENS1_30default_config_static_selectorELNS0_4arch9wavefront6targetE1EEEvT1_
	.p2align	8
	.type	_ZN7rocprim17ROCPRIM_400000_NS6detail17trampoline_kernelINS0_14default_configENS1_25transform_config_selectorIjLb0EEEZNS1_14transform_implILb0ES3_S5_NS0_18transform_iteratorINS0_17counting_iteratorImlEEZNS1_24adjacent_difference_implIS3_Lb1ELb0EPKjPjN6thrust23THRUST_200600_302600_NS4plusIjEEEE10hipError_tPvRmT2_T3_mT4_P12ihipStream_tbEUlmE_jEESD_NS0_8identityIvEEEESI_SL_SM_mSN_SP_bEUlT_E_NS1_11comp_targetILNS1_3genE3ELNS1_11target_archE908ELNS1_3gpuE7ELNS1_3repE0EEENS1_30default_config_static_selectorELNS0_4arch9wavefront6targetE1EEEvT1_,@function
_ZN7rocprim17ROCPRIM_400000_NS6detail17trampoline_kernelINS0_14default_configENS1_25transform_config_selectorIjLb0EEEZNS1_14transform_implILb0ES3_S5_NS0_18transform_iteratorINS0_17counting_iteratorImlEEZNS1_24adjacent_difference_implIS3_Lb1ELb0EPKjPjN6thrust23THRUST_200600_302600_NS4plusIjEEEE10hipError_tPvRmT2_T3_mT4_P12ihipStream_tbEUlmE_jEESD_NS0_8identityIvEEEESI_SL_SM_mSN_SP_bEUlT_E_NS1_11comp_targetILNS1_3genE3ELNS1_11target_archE908ELNS1_3gpuE7ELNS1_3repE0EEENS1_30default_config_static_selectorELNS0_4arch9wavefront6targetE1EEEvT1_: ; @_ZN7rocprim17ROCPRIM_400000_NS6detail17trampoline_kernelINS0_14default_configENS1_25transform_config_selectorIjLb0EEEZNS1_14transform_implILb0ES3_S5_NS0_18transform_iteratorINS0_17counting_iteratorImlEEZNS1_24adjacent_difference_implIS3_Lb1ELb0EPKjPjN6thrust23THRUST_200600_302600_NS4plusIjEEEE10hipError_tPvRmT2_T3_mT4_P12ihipStream_tbEUlmE_jEESD_NS0_8identityIvEEEESI_SL_SM_mSN_SP_bEUlT_E_NS1_11comp_targetILNS1_3genE3ELNS1_11target_archE908ELNS1_3gpuE7ELNS1_3repE0EEENS1_30default_config_static_selectorELNS0_4arch9wavefront6targetE1EEEvT1_
; %bb.0:
	.section	.rodata,"a",@progbits
	.p2align	6, 0x0
	.amdhsa_kernel _ZN7rocprim17ROCPRIM_400000_NS6detail17trampoline_kernelINS0_14default_configENS1_25transform_config_selectorIjLb0EEEZNS1_14transform_implILb0ES3_S5_NS0_18transform_iteratorINS0_17counting_iteratorImlEEZNS1_24adjacent_difference_implIS3_Lb1ELb0EPKjPjN6thrust23THRUST_200600_302600_NS4plusIjEEEE10hipError_tPvRmT2_T3_mT4_P12ihipStream_tbEUlmE_jEESD_NS0_8identityIvEEEESI_SL_SM_mSN_SP_bEUlT_E_NS1_11comp_targetILNS1_3genE3ELNS1_11target_archE908ELNS1_3gpuE7ELNS1_3repE0EEENS1_30default_config_static_selectorELNS0_4arch9wavefront6targetE1EEEvT1_
		.amdhsa_group_segment_fixed_size 0
		.amdhsa_private_segment_fixed_size 0
		.amdhsa_kernarg_size 56
		.amdhsa_user_sgpr_count 2
		.amdhsa_user_sgpr_dispatch_ptr 0
		.amdhsa_user_sgpr_queue_ptr 0
		.amdhsa_user_sgpr_kernarg_segment_ptr 1
		.amdhsa_user_sgpr_dispatch_id 0
		.amdhsa_user_sgpr_kernarg_preload_length 0
		.amdhsa_user_sgpr_kernarg_preload_offset 0
		.amdhsa_user_sgpr_private_segment_size 0
		.amdhsa_uses_dynamic_stack 0
		.amdhsa_enable_private_segment 0
		.amdhsa_system_sgpr_workgroup_id_x 1
		.amdhsa_system_sgpr_workgroup_id_y 0
		.amdhsa_system_sgpr_workgroup_id_z 0
		.amdhsa_system_sgpr_workgroup_info 0
		.amdhsa_system_vgpr_workitem_id 0
		.amdhsa_next_free_vgpr 1
		.amdhsa_next_free_sgpr 0
		.amdhsa_accum_offset 4
		.amdhsa_reserve_vcc 0
		.amdhsa_float_round_mode_32 0
		.amdhsa_float_round_mode_16_64 0
		.amdhsa_float_denorm_mode_32 3
		.amdhsa_float_denorm_mode_16_64 3
		.amdhsa_dx10_clamp 1
		.amdhsa_ieee_mode 1
		.amdhsa_fp16_overflow 0
		.amdhsa_tg_split 0
		.amdhsa_exception_fp_ieee_invalid_op 0
		.amdhsa_exception_fp_denorm_src 0
		.amdhsa_exception_fp_ieee_div_zero 0
		.amdhsa_exception_fp_ieee_overflow 0
		.amdhsa_exception_fp_ieee_underflow 0
		.amdhsa_exception_fp_ieee_inexact 0
		.amdhsa_exception_int_div_zero 0
	.end_amdhsa_kernel
	.section	.text._ZN7rocprim17ROCPRIM_400000_NS6detail17trampoline_kernelINS0_14default_configENS1_25transform_config_selectorIjLb0EEEZNS1_14transform_implILb0ES3_S5_NS0_18transform_iteratorINS0_17counting_iteratorImlEEZNS1_24adjacent_difference_implIS3_Lb1ELb0EPKjPjN6thrust23THRUST_200600_302600_NS4plusIjEEEE10hipError_tPvRmT2_T3_mT4_P12ihipStream_tbEUlmE_jEESD_NS0_8identityIvEEEESI_SL_SM_mSN_SP_bEUlT_E_NS1_11comp_targetILNS1_3genE3ELNS1_11target_archE908ELNS1_3gpuE7ELNS1_3repE0EEENS1_30default_config_static_selectorELNS0_4arch9wavefront6targetE1EEEvT1_,"axG",@progbits,_ZN7rocprim17ROCPRIM_400000_NS6detail17trampoline_kernelINS0_14default_configENS1_25transform_config_selectorIjLb0EEEZNS1_14transform_implILb0ES3_S5_NS0_18transform_iteratorINS0_17counting_iteratorImlEEZNS1_24adjacent_difference_implIS3_Lb1ELb0EPKjPjN6thrust23THRUST_200600_302600_NS4plusIjEEEE10hipError_tPvRmT2_T3_mT4_P12ihipStream_tbEUlmE_jEESD_NS0_8identityIvEEEESI_SL_SM_mSN_SP_bEUlT_E_NS1_11comp_targetILNS1_3genE3ELNS1_11target_archE908ELNS1_3gpuE7ELNS1_3repE0EEENS1_30default_config_static_selectorELNS0_4arch9wavefront6targetE1EEEvT1_,comdat
.Lfunc_end602:
	.size	_ZN7rocprim17ROCPRIM_400000_NS6detail17trampoline_kernelINS0_14default_configENS1_25transform_config_selectorIjLb0EEEZNS1_14transform_implILb0ES3_S5_NS0_18transform_iteratorINS0_17counting_iteratorImlEEZNS1_24adjacent_difference_implIS3_Lb1ELb0EPKjPjN6thrust23THRUST_200600_302600_NS4plusIjEEEE10hipError_tPvRmT2_T3_mT4_P12ihipStream_tbEUlmE_jEESD_NS0_8identityIvEEEESI_SL_SM_mSN_SP_bEUlT_E_NS1_11comp_targetILNS1_3genE3ELNS1_11target_archE908ELNS1_3gpuE7ELNS1_3repE0EEENS1_30default_config_static_selectorELNS0_4arch9wavefront6targetE1EEEvT1_, .Lfunc_end602-_ZN7rocprim17ROCPRIM_400000_NS6detail17trampoline_kernelINS0_14default_configENS1_25transform_config_selectorIjLb0EEEZNS1_14transform_implILb0ES3_S5_NS0_18transform_iteratorINS0_17counting_iteratorImlEEZNS1_24adjacent_difference_implIS3_Lb1ELb0EPKjPjN6thrust23THRUST_200600_302600_NS4plusIjEEEE10hipError_tPvRmT2_T3_mT4_P12ihipStream_tbEUlmE_jEESD_NS0_8identityIvEEEESI_SL_SM_mSN_SP_bEUlT_E_NS1_11comp_targetILNS1_3genE3ELNS1_11target_archE908ELNS1_3gpuE7ELNS1_3repE0EEENS1_30default_config_static_selectorELNS0_4arch9wavefront6targetE1EEEvT1_
                                        ; -- End function
	.section	.AMDGPU.csdata,"",@progbits
; Kernel info:
; codeLenInByte = 0
; NumSgprs: 6
; NumVgprs: 0
; NumAgprs: 0
; TotalNumVgprs: 0
; ScratchSize: 0
; MemoryBound: 0
; FloatMode: 240
; IeeeMode: 1
; LDSByteSize: 0 bytes/workgroup (compile time only)
; SGPRBlocks: 0
; VGPRBlocks: 0
; NumSGPRsForWavesPerEU: 6
; NumVGPRsForWavesPerEU: 1
; AccumOffset: 4
; Occupancy: 8
; WaveLimiterHint : 0
; COMPUTE_PGM_RSRC2:SCRATCH_EN: 0
; COMPUTE_PGM_RSRC2:USER_SGPR: 2
; COMPUTE_PGM_RSRC2:TRAP_HANDLER: 0
; COMPUTE_PGM_RSRC2:TGID_X_EN: 1
; COMPUTE_PGM_RSRC2:TGID_Y_EN: 0
; COMPUTE_PGM_RSRC2:TGID_Z_EN: 0
; COMPUTE_PGM_RSRC2:TIDIG_COMP_CNT: 0
; COMPUTE_PGM_RSRC3_GFX90A:ACCUM_OFFSET: 0
; COMPUTE_PGM_RSRC3_GFX90A:TG_SPLIT: 0
	.section	.text._ZN7rocprim17ROCPRIM_400000_NS6detail17trampoline_kernelINS0_14default_configENS1_25transform_config_selectorIjLb0EEEZNS1_14transform_implILb0ES3_S5_NS0_18transform_iteratorINS0_17counting_iteratorImlEEZNS1_24adjacent_difference_implIS3_Lb1ELb0EPKjPjN6thrust23THRUST_200600_302600_NS4plusIjEEEE10hipError_tPvRmT2_T3_mT4_P12ihipStream_tbEUlmE_jEESD_NS0_8identityIvEEEESI_SL_SM_mSN_SP_bEUlT_E_NS1_11comp_targetILNS1_3genE2ELNS1_11target_archE906ELNS1_3gpuE6ELNS1_3repE0EEENS1_30default_config_static_selectorELNS0_4arch9wavefront6targetE1EEEvT1_,"axG",@progbits,_ZN7rocprim17ROCPRIM_400000_NS6detail17trampoline_kernelINS0_14default_configENS1_25transform_config_selectorIjLb0EEEZNS1_14transform_implILb0ES3_S5_NS0_18transform_iteratorINS0_17counting_iteratorImlEEZNS1_24adjacent_difference_implIS3_Lb1ELb0EPKjPjN6thrust23THRUST_200600_302600_NS4plusIjEEEE10hipError_tPvRmT2_T3_mT4_P12ihipStream_tbEUlmE_jEESD_NS0_8identityIvEEEESI_SL_SM_mSN_SP_bEUlT_E_NS1_11comp_targetILNS1_3genE2ELNS1_11target_archE906ELNS1_3gpuE6ELNS1_3repE0EEENS1_30default_config_static_selectorELNS0_4arch9wavefront6targetE1EEEvT1_,comdat
	.protected	_ZN7rocprim17ROCPRIM_400000_NS6detail17trampoline_kernelINS0_14default_configENS1_25transform_config_selectorIjLb0EEEZNS1_14transform_implILb0ES3_S5_NS0_18transform_iteratorINS0_17counting_iteratorImlEEZNS1_24adjacent_difference_implIS3_Lb1ELb0EPKjPjN6thrust23THRUST_200600_302600_NS4plusIjEEEE10hipError_tPvRmT2_T3_mT4_P12ihipStream_tbEUlmE_jEESD_NS0_8identityIvEEEESI_SL_SM_mSN_SP_bEUlT_E_NS1_11comp_targetILNS1_3genE2ELNS1_11target_archE906ELNS1_3gpuE6ELNS1_3repE0EEENS1_30default_config_static_selectorELNS0_4arch9wavefront6targetE1EEEvT1_ ; -- Begin function _ZN7rocprim17ROCPRIM_400000_NS6detail17trampoline_kernelINS0_14default_configENS1_25transform_config_selectorIjLb0EEEZNS1_14transform_implILb0ES3_S5_NS0_18transform_iteratorINS0_17counting_iteratorImlEEZNS1_24adjacent_difference_implIS3_Lb1ELb0EPKjPjN6thrust23THRUST_200600_302600_NS4plusIjEEEE10hipError_tPvRmT2_T3_mT4_P12ihipStream_tbEUlmE_jEESD_NS0_8identityIvEEEESI_SL_SM_mSN_SP_bEUlT_E_NS1_11comp_targetILNS1_3genE2ELNS1_11target_archE906ELNS1_3gpuE6ELNS1_3repE0EEENS1_30default_config_static_selectorELNS0_4arch9wavefront6targetE1EEEvT1_
	.globl	_ZN7rocprim17ROCPRIM_400000_NS6detail17trampoline_kernelINS0_14default_configENS1_25transform_config_selectorIjLb0EEEZNS1_14transform_implILb0ES3_S5_NS0_18transform_iteratorINS0_17counting_iteratorImlEEZNS1_24adjacent_difference_implIS3_Lb1ELb0EPKjPjN6thrust23THRUST_200600_302600_NS4plusIjEEEE10hipError_tPvRmT2_T3_mT4_P12ihipStream_tbEUlmE_jEESD_NS0_8identityIvEEEESI_SL_SM_mSN_SP_bEUlT_E_NS1_11comp_targetILNS1_3genE2ELNS1_11target_archE906ELNS1_3gpuE6ELNS1_3repE0EEENS1_30default_config_static_selectorELNS0_4arch9wavefront6targetE1EEEvT1_
	.p2align	8
	.type	_ZN7rocprim17ROCPRIM_400000_NS6detail17trampoline_kernelINS0_14default_configENS1_25transform_config_selectorIjLb0EEEZNS1_14transform_implILb0ES3_S5_NS0_18transform_iteratorINS0_17counting_iteratorImlEEZNS1_24adjacent_difference_implIS3_Lb1ELb0EPKjPjN6thrust23THRUST_200600_302600_NS4plusIjEEEE10hipError_tPvRmT2_T3_mT4_P12ihipStream_tbEUlmE_jEESD_NS0_8identityIvEEEESI_SL_SM_mSN_SP_bEUlT_E_NS1_11comp_targetILNS1_3genE2ELNS1_11target_archE906ELNS1_3gpuE6ELNS1_3repE0EEENS1_30default_config_static_selectorELNS0_4arch9wavefront6targetE1EEEvT1_,@function
_ZN7rocprim17ROCPRIM_400000_NS6detail17trampoline_kernelINS0_14default_configENS1_25transform_config_selectorIjLb0EEEZNS1_14transform_implILb0ES3_S5_NS0_18transform_iteratorINS0_17counting_iteratorImlEEZNS1_24adjacent_difference_implIS3_Lb1ELb0EPKjPjN6thrust23THRUST_200600_302600_NS4plusIjEEEE10hipError_tPvRmT2_T3_mT4_P12ihipStream_tbEUlmE_jEESD_NS0_8identityIvEEEESI_SL_SM_mSN_SP_bEUlT_E_NS1_11comp_targetILNS1_3genE2ELNS1_11target_archE906ELNS1_3gpuE6ELNS1_3repE0EEENS1_30default_config_static_selectorELNS0_4arch9wavefront6targetE1EEEvT1_: ; @_ZN7rocprim17ROCPRIM_400000_NS6detail17trampoline_kernelINS0_14default_configENS1_25transform_config_selectorIjLb0EEEZNS1_14transform_implILb0ES3_S5_NS0_18transform_iteratorINS0_17counting_iteratorImlEEZNS1_24adjacent_difference_implIS3_Lb1ELb0EPKjPjN6thrust23THRUST_200600_302600_NS4plusIjEEEE10hipError_tPvRmT2_T3_mT4_P12ihipStream_tbEUlmE_jEESD_NS0_8identityIvEEEESI_SL_SM_mSN_SP_bEUlT_E_NS1_11comp_targetILNS1_3genE2ELNS1_11target_archE906ELNS1_3gpuE6ELNS1_3repE0EEENS1_30default_config_static_selectorELNS0_4arch9wavefront6targetE1EEEvT1_
; %bb.0:
	.section	.rodata,"a",@progbits
	.p2align	6, 0x0
	.amdhsa_kernel _ZN7rocprim17ROCPRIM_400000_NS6detail17trampoline_kernelINS0_14default_configENS1_25transform_config_selectorIjLb0EEEZNS1_14transform_implILb0ES3_S5_NS0_18transform_iteratorINS0_17counting_iteratorImlEEZNS1_24adjacent_difference_implIS3_Lb1ELb0EPKjPjN6thrust23THRUST_200600_302600_NS4plusIjEEEE10hipError_tPvRmT2_T3_mT4_P12ihipStream_tbEUlmE_jEESD_NS0_8identityIvEEEESI_SL_SM_mSN_SP_bEUlT_E_NS1_11comp_targetILNS1_3genE2ELNS1_11target_archE906ELNS1_3gpuE6ELNS1_3repE0EEENS1_30default_config_static_selectorELNS0_4arch9wavefront6targetE1EEEvT1_
		.amdhsa_group_segment_fixed_size 0
		.amdhsa_private_segment_fixed_size 0
		.amdhsa_kernarg_size 56
		.amdhsa_user_sgpr_count 2
		.amdhsa_user_sgpr_dispatch_ptr 0
		.amdhsa_user_sgpr_queue_ptr 0
		.amdhsa_user_sgpr_kernarg_segment_ptr 1
		.amdhsa_user_sgpr_dispatch_id 0
		.amdhsa_user_sgpr_kernarg_preload_length 0
		.amdhsa_user_sgpr_kernarg_preload_offset 0
		.amdhsa_user_sgpr_private_segment_size 0
		.amdhsa_uses_dynamic_stack 0
		.amdhsa_enable_private_segment 0
		.amdhsa_system_sgpr_workgroup_id_x 1
		.amdhsa_system_sgpr_workgroup_id_y 0
		.amdhsa_system_sgpr_workgroup_id_z 0
		.amdhsa_system_sgpr_workgroup_info 0
		.amdhsa_system_vgpr_workitem_id 0
		.amdhsa_next_free_vgpr 1
		.amdhsa_next_free_sgpr 0
		.amdhsa_accum_offset 4
		.amdhsa_reserve_vcc 0
		.amdhsa_float_round_mode_32 0
		.amdhsa_float_round_mode_16_64 0
		.amdhsa_float_denorm_mode_32 3
		.amdhsa_float_denorm_mode_16_64 3
		.amdhsa_dx10_clamp 1
		.amdhsa_ieee_mode 1
		.amdhsa_fp16_overflow 0
		.amdhsa_tg_split 0
		.amdhsa_exception_fp_ieee_invalid_op 0
		.amdhsa_exception_fp_denorm_src 0
		.amdhsa_exception_fp_ieee_div_zero 0
		.amdhsa_exception_fp_ieee_overflow 0
		.amdhsa_exception_fp_ieee_underflow 0
		.amdhsa_exception_fp_ieee_inexact 0
		.amdhsa_exception_int_div_zero 0
	.end_amdhsa_kernel
	.section	.text._ZN7rocprim17ROCPRIM_400000_NS6detail17trampoline_kernelINS0_14default_configENS1_25transform_config_selectorIjLb0EEEZNS1_14transform_implILb0ES3_S5_NS0_18transform_iteratorINS0_17counting_iteratorImlEEZNS1_24adjacent_difference_implIS3_Lb1ELb0EPKjPjN6thrust23THRUST_200600_302600_NS4plusIjEEEE10hipError_tPvRmT2_T3_mT4_P12ihipStream_tbEUlmE_jEESD_NS0_8identityIvEEEESI_SL_SM_mSN_SP_bEUlT_E_NS1_11comp_targetILNS1_3genE2ELNS1_11target_archE906ELNS1_3gpuE6ELNS1_3repE0EEENS1_30default_config_static_selectorELNS0_4arch9wavefront6targetE1EEEvT1_,"axG",@progbits,_ZN7rocprim17ROCPRIM_400000_NS6detail17trampoline_kernelINS0_14default_configENS1_25transform_config_selectorIjLb0EEEZNS1_14transform_implILb0ES3_S5_NS0_18transform_iteratorINS0_17counting_iteratorImlEEZNS1_24adjacent_difference_implIS3_Lb1ELb0EPKjPjN6thrust23THRUST_200600_302600_NS4plusIjEEEE10hipError_tPvRmT2_T3_mT4_P12ihipStream_tbEUlmE_jEESD_NS0_8identityIvEEEESI_SL_SM_mSN_SP_bEUlT_E_NS1_11comp_targetILNS1_3genE2ELNS1_11target_archE906ELNS1_3gpuE6ELNS1_3repE0EEENS1_30default_config_static_selectorELNS0_4arch9wavefront6targetE1EEEvT1_,comdat
.Lfunc_end603:
	.size	_ZN7rocprim17ROCPRIM_400000_NS6detail17trampoline_kernelINS0_14default_configENS1_25transform_config_selectorIjLb0EEEZNS1_14transform_implILb0ES3_S5_NS0_18transform_iteratorINS0_17counting_iteratorImlEEZNS1_24adjacent_difference_implIS3_Lb1ELb0EPKjPjN6thrust23THRUST_200600_302600_NS4plusIjEEEE10hipError_tPvRmT2_T3_mT4_P12ihipStream_tbEUlmE_jEESD_NS0_8identityIvEEEESI_SL_SM_mSN_SP_bEUlT_E_NS1_11comp_targetILNS1_3genE2ELNS1_11target_archE906ELNS1_3gpuE6ELNS1_3repE0EEENS1_30default_config_static_selectorELNS0_4arch9wavefront6targetE1EEEvT1_, .Lfunc_end603-_ZN7rocprim17ROCPRIM_400000_NS6detail17trampoline_kernelINS0_14default_configENS1_25transform_config_selectorIjLb0EEEZNS1_14transform_implILb0ES3_S5_NS0_18transform_iteratorINS0_17counting_iteratorImlEEZNS1_24adjacent_difference_implIS3_Lb1ELb0EPKjPjN6thrust23THRUST_200600_302600_NS4plusIjEEEE10hipError_tPvRmT2_T3_mT4_P12ihipStream_tbEUlmE_jEESD_NS0_8identityIvEEEESI_SL_SM_mSN_SP_bEUlT_E_NS1_11comp_targetILNS1_3genE2ELNS1_11target_archE906ELNS1_3gpuE6ELNS1_3repE0EEENS1_30default_config_static_selectorELNS0_4arch9wavefront6targetE1EEEvT1_
                                        ; -- End function
	.section	.AMDGPU.csdata,"",@progbits
; Kernel info:
; codeLenInByte = 0
; NumSgprs: 6
; NumVgprs: 0
; NumAgprs: 0
; TotalNumVgprs: 0
; ScratchSize: 0
; MemoryBound: 0
; FloatMode: 240
; IeeeMode: 1
; LDSByteSize: 0 bytes/workgroup (compile time only)
; SGPRBlocks: 0
; VGPRBlocks: 0
; NumSGPRsForWavesPerEU: 6
; NumVGPRsForWavesPerEU: 1
; AccumOffset: 4
; Occupancy: 8
; WaveLimiterHint : 0
; COMPUTE_PGM_RSRC2:SCRATCH_EN: 0
; COMPUTE_PGM_RSRC2:USER_SGPR: 2
; COMPUTE_PGM_RSRC2:TRAP_HANDLER: 0
; COMPUTE_PGM_RSRC2:TGID_X_EN: 1
; COMPUTE_PGM_RSRC2:TGID_Y_EN: 0
; COMPUTE_PGM_RSRC2:TGID_Z_EN: 0
; COMPUTE_PGM_RSRC2:TIDIG_COMP_CNT: 0
; COMPUTE_PGM_RSRC3_GFX90A:ACCUM_OFFSET: 0
; COMPUTE_PGM_RSRC3_GFX90A:TG_SPLIT: 0
	.section	.text._ZN7rocprim17ROCPRIM_400000_NS6detail17trampoline_kernelINS0_14default_configENS1_25transform_config_selectorIjLb0EEEZNS1_14transform_implILb0ES3_S5_NS0_18transform_iteratorINS0_17counting_iteratorImlEEZNS1_24adjacent_difference_implIS3_Lb1ELb0EPKjPjN6thrust23THRUST_200600_302600_NS4plusIjEEEE10hipError_tPvRmT2_T3_mT4_P12ihipStream_tbEUlmE_jEESD_NS0_8identityIvEEEESI_SL_SM_mSN_SP_bEUlT_E_NS1_11comp_targetILNS1_3genE10ELNS1_11target_archE1201ELNS1_3gpuE5ELNS1_3repE0EEENS1_30default_config_static_selectorELNS0_4arch9wavefront6targetE1EEEvT1_,"axG",@progbits,_ZN7rocprim17ROCPRIM_400000_NS6detail17trampoline_kernelINS0_14default_configENS1_25transform_config_selectorIjLb0EEEZNS1_14transform_implILb0ES3_S5_NS0_18transform_iteratorINS0_17counting_iteratorImlEEZNS1_24adjacent_difference_implIS3_Lb1ELb0EPKjPjN6thrust23THRUST_200600_302600_NS4plusIjEEEE10hipError_tPvRmT2_T3_mT4_P12ihipStream_tbEUlmE_jEESD_NS0_8identityIvEEEESI_SL_SM_mSN_SP_bEUlT_E_NS1_11comp_targetILNS1_3genE10ELNS1_11target_archE1201ELNS1_3gpuE5ELNS1_3repE0EEENS1_30default_config_static_selectorELNS0_4arch9wavefront6targetE1EEEvT1_,comdat
	.protected	_ZN7rocprim17ROCPRIM_400000_NS6detail17trampoline_kernelINS0_14default_configENS1_25transform_config_selectorIjLb0EEEZNS1_14transform_implILb0ES3_S5_NS0_18transform_iteratorINS0_17counting_iteratorImlEEZNS1_24adjacent_difference_implIS3_Lb1ELb0EPKjPjN6thrust23THRUST_200600_302600_NS4plusIjEEEE10hipError_tPvRmT2_T3_mT4_P12ihipStream_tbEUlmE_jEESD_NS0_8identityIvEEEESI_SL_SM_mSN_SP_bEUlT_E_NS1_11comp_targetILNS1_3genE10ELNS1_11target_archE1201ELNS1_3gpuE5ELNS1_3repE0EEENS1_30default_config_static_selectorELNS0_4arch9wavefront6targetE1EEEvT1_ ; -- Begin function _ZN7rocprim17ROCPRIM_400000_NS6detail17trampoline_kernelINS0_14default_configENS1_25transform_config_selectorIjLb0EEEZNS1_14transform_implILb0ES3_S5_NS0_18transform_iteratorINS0_17counting_iteratorImlEEZNS1_24adjacent_difference_implIS3_Lb1ELb0EPKjPjN6thrust23THRUST_200600_302600_NS4plusIjEEEE10hipError_tPvRmT2_T3_mT4_P12ihipStream_tbEUlmE_jEESD_NS0_8identityIvEEEESI_SL_SM_mSN_SP_bEUlT_E_NS1_11comp_targetILNS1_3genE10ELNS1_11target_archE1201ELNS1_3gpuE5ELNS1_3repE0EEENS1_30default_config_static_selectorELNS0_4arch9wavefront6targetE1EEEvT1_
	.globl	_ZN7rocprim17ROCPRIM_400000_NS6detail17trampoline_kernelINS0_14default_configENS1_25transform_config_selectorIjLb0EEEZNS1_14transform_implILb0ES3_S5_NS0_18transform_iteratorINS0_17counting_iteratorImlEEZNS1_24adjacent_difference_implIS3_Lb1ELb0EPKjPjN6thrust23THRUST_200600_302600_NS4plusIjEEEE10hipError_tPvRmT2_T3_mT4_P12ihipStream_tbEUlmE_jEESD_NS0_8identityIvEEEESI_SL_SM_mSN_SP_bEUlT_E_NS1_11comp_targetILNS1_3genE10ELNS1_11target_archE1201ELNS1_3gpuE5ELNS1_3repE0EEENS1_30default_config_static_selectorELNS0_4arch9wavefront6targetE1EEEvT1_
	.p2align	8
	.type	_ZN7rocprim17ROCPRIM_400000_NS6detail17trampoline_kernelINS0_14default_configENS1_25transform_config_selectorIjLb0EEEZNS1_14transform_implILb0ES3_S5_NS0_18transform_iteratorINS0_17counting_iteratorImlEEZNS1_24adjacent_difference_implIS3_Lb1ELb0EPKjPjN6thrust23THRUST_200600_302600_NS4plusIjEEEE10hipError_tPvRmT2_T3_mT4_P12ihipStream_tbEUlmE_jEESD_NS0_8identityIvEEEESI_SL_SM_mSN_SP_bEUlT_E_NS1_11comp_targetILNS1_3genE10ELNS1_11target_archE1201ELNS1_3gpuE5ELNS1_3repE0EEENS1_30default_config_static_selectorELNS0_4arch9wavefront6targetE1EEEvT1_,@function
_ZN7rocprim17ROCPRIM_400000_NS6detail17trampoline_kernelINS0_14default_configENS1_25transform_config_selectorIjLb0EEEZNS1_14transform_implILb0ES3_S5_NS0_18transform_iteratorINS0_17counting_iteratorImlEEZNS1_24adjacent_difference_implIS3_Lb1ELb0EPKjPjN6thrust23THRUST_200600_302600_NS4plusIjEEEE10hipError_tPvRmT2_T3_mT4_P12ihipStream_tbEUlmE_jEESD_NS0_8identityIvEEEESI_SL_SM_mSN_SP_bEUlT_E_NS1_11comp_targetILNS1_3genE10ELNS1_11target_archE1201ELNS1_3gpuE5ELNS1_3repE0EEENS1_30default_config_static_selectorELNS0_4arch9wavefront6targetE1EEEvT1_: ; @_ZN7rocprim17ROCPRIM_400000_NS6detail17trampoline_kernelINS0_14default_configENS1_25transform_config_selectorIjLb0EEEZNS1_14transform_implILb0ES3_S5_NS0_18transform_iteratorINS0_17counting_iteratorImlEEZNS1_24adjacent_difference_implIS3_Lb1ELb0EPKjPjN6thrust23THRUST_200600_302600_NS4plusIjEEEE10hipError_tPvRmT2_T3_mT4_P12ihipStream_tbEUlmE_jEESD_NS0_8identityIvEEEESI_SL_SM_mSN_SP_bEUlT_E_NS1_11comp_targetILNS1_3genE10ELNS1_11target_archE1201ELNS1_3gpuE5ELNS1_3repE0EEENS1_30default_config_static_selectorELNS0_4arch9wavefront6targetE1EEEvT1_
; %bb.0:
	.section	.rodata,"a",@progbits
	.p2align	6, 0x0
	.amdhsa_kernel _ZN7rocprim17ROCPRIM_400000_NS6detail17trampoline_kernelINS0_14default_configENS1_25transform_config_selectorIjLb0EEEZNS1_14transform_implILb0ES3_S5_NS0_18transform_iteratorINS0_17counting_iteratorImlEEZNS1_24adjacent_difference_implIS3_Lb1ELb0EPKjPjN6thrust23THRUST_200600_302600_NS4plusIjEEEE10hipError_tPvRmT2_T3_mT4_P12ihipStream_tbEUlmE_jEESD_NS0_8identityIvEEEESI_SL_SM_mSN_SP_bEUlT_E_NS1_11comp_targetILNS1_3genE10ELNS1_11target_archE1201ELNS1_3gpuE5ELNS1_3repE0EEENS1_30default_config_static_selectorELNS0_4arch9wavefront6targetE1EEEvT1_
		.amdhsa_group_segment_fixed_size 0
		.amdhsa_private_segment_fixed_size 0
		.amdhsa_kernarg_size 56
		.amdhsa_user_sgpr_count 2
		.amdhsa_user_sgpr_dispatch_ptr 0
		.amdhsa_user_sgpr_queue_ptr 0
		.amdhsa_user_sgpr_kernarg_segment_ptr 1
		.amdhsa_user_sgpr_dispatch_id 0
		.amdhsa_user_sgpr_kernarg_preload_length 0
		.amdhsa_user_sgpr_kernarg_preload_offset 0
		.amdhsa_user_sgpr_private_segment_size 0
		.amdhsa_uses_dynamic_stack 0
		.amdhsa_enable_private_segment 0
		.amdhsa_system_sgpr_workgroup_id_x 1
		.amdhsa_system_sgpr_workgroup_id_y 0
		.amdhsa_system_sgpr_workgroup_id_z 0
		.amdhsa_system_sgpr_workgroup_info 0
		.amdhsa_system_vgpr_workitem_id 0
		.amdhsa_next_free_vgpr 1
		.amdhsa_next_free_sgpr 0
		.amdhsa_accum_offset 4
		.amdhsa_reserve_vcc 0
		.amdhsa_float_round_mode_32 0
		.amdhsa_float_round_mode_16_64 0
		.amdhsa_float_denorm_mode_32 3
		.amdhsa_float_denorm_mode_16_64 3
		.amdhsa_dx10_clamp 1
		.amdhsa_ieee_mode 1
		.amdhsa_fp16_overflow 0
		.amdhsa_tg_split 0
		.amdhsa_exception_fp_ieee_invalid_op 0
		.amdhsa_exception_fp_denorm_src 0
		.amdhsa_exception_fp_ieee_div_zero 0
		.amdhsa_exception_fp_ieee_overflow 0
		.amdhsa_exception_fp_ieee_underflow 0
		.amdhsa_exception_fp_ieee_inexact 0
		.amdhsa_exception_int_div_zero 0
	.end_amdhsa_kernel
	.section	.text._ZN7rocprim17ROCPRIM_400000_NS6detail17trampoline_kernelINS0_14default_configENS1_25transform_config_selectorIjLb0EEEZNS1_14transform_implILb0ES3_S5_NS0_18transform_iteratorINS0_17counting_iteratorImlEEZNS1_24adjacent_difference_implIS3_Lb1ELb0EPKjPjN6thrust23THRUST_200600_302600_NS4plusIjEEEE10hipError_tPvRmT2_T3_mT4_P12ihipStream_tbEUlmE_jEESD_NS0_8identityIvEEEESI_SL_SM_mSN_SP_bEUlT_E_NS1_11comp_targetILNS1_3genE10ELNS1_11target_archE1201ELNS1_3gpuE5ELNS1_3repE0EEENS1_30default_config_static_selectorELNS0_4arch9wavefront6targetE1EEEvT1_,"axG",@progbits,_ZN7rocprim17ROCPRIM_400000_NS6detail17trampoline_kernelINS0_14default_configENS1_25transform_config_selectorIjLb0EEEZNS1_14transform_implILb0ES3_S5_NS0_18transform_iteratorINS0_17counting_iteratorImlEEZNS1_24adjacent_difference_implIS3_Lb1ELb0EPKjPjN6thrust23THRUST_200600_302600_NS4plusIjEEEE10hipError_tPvRmT2_T3_mT4_P12ihipStream_tbEUlmE_jEESD_NS0_8identityIvEEEESI_SL_SM_mSN_SP_bEUlT_E_NS1_11comp_targetILNS1_3genE10ELNS1_11target_archE1201ELNS1_3gpuE5ELNS1_3repE0EEENS1_30default_config_static_selectorELNS0_4arch9wavefront6targetE1EEEvT1_,comdat
.Lfunc_end604:
	.size	_ZN7rocprim17ROCPRIM_400000_NS6detail17trampoline_kernelINS0_14default_configENS1_25transform_config_selectorIjLb0EEEZNS1_14transform_implILb0ES3_S5_NS0_18transform_iteratorINS0_17counting_iteratorImlEEZNS1_24adjacent_difference_implIS3_Lb1ELb0EPKjPjN6thrust23THRUST_200600_302600_NS4plusIjEEEE10hipError_tPvRmT2_T3_mT4_P12ihipStream_tbEUlmE_jEESD_NS0_8identityIvEEEESI_SL_SM_mSN_SP_bEUlT_E_NS1_11comp_targetILNS1_3genE10ELNS1_11target_archE1201ELNS1_3gpuE5ELNS1_3repE0EEENS1_30default_config_static_selectorELNS0_4arch9wavefront6targetE1EEEvT1_, .Lfunc_end604-_ZN7rocprim17ROCPRIM_400000_NS6detail17trampoline_kernelINS0_14default_configENS1_25transform_config_selectorIjLb0EEEZNS1_14transform_implILb0ES3_S5_NS0_18transform_iteratorINS0_17counting_iteratorImlEEZNS1_24adjacent_difference_implIS3_Lb1ELb0EPKjPjN6thrust23THRUST_200600_302600_NS4plusIjEEEE10hipError_tPvRmT2_T3_mT4_P12ihipStream_tbEUlmE_jEESD_NS0_8identityIvEEEESI_SL_SM_mSN_SP_bEUlT_E_NS1_11comp_targetILNS1_3genE10ELNS1_11target_archE1201ELNS1_3gpuE5ELNS1_3repE0EEENS1_30default_config_static_selectorELNS0_4arch9wavefront6targetE1EEEvT1_
                                        ; -- End function
	.section	.AMDGPU.csdata,"",@progbits
; Kernel info:
; codeLenInByte = 0
; NumSgprs: 6
; NumVgprs: 0
; NumAgprs: 0
; TotalNumVgprs: 0
; ScratchSize: 0
; MemoryBound: 0
; FloatMode: 240
; IeeeMode: 1
; LDSByteSize: 0 bytes/workgroup (compile time only)
; SGPRBlocks: 0
; VGPRBlocks: 0
; NumSGPRsForWavesPerEU: 6
; NumVGPRsForWavesPerEU: 1
; AccumOffset: 4
; Occupancy: 8
; WaveLimiterHint : 0
; COMPUTE_PGM_RSRC2:SCRATCH_EN: 0
; COMPUTE_PGM_RSRC2:USER_SGPR: 2
; COMPUTE_PGM_RSRC2:TRAP_HANDLER: 0
; COMPUTE_PGM_RSRC2:TGID_X_EN: 1
; COMPUTE_PGM_RSRC2:TGID_Y_EN: 0
; COMPUTE_PGM_RSRC2:TGID_Z_EN: 0
; COMPUTE_PGM_RSRC2:TIDIG_COMP_CNT: 0
; COMPUTE_PGM_RSRC3_GFX90A:ACCUM_OFFSET: 0
; COMPUTE_PGM_RSRC3_GFX90A:TG_SPLIT: 0
	.section	.text._ZN7rocprim17ROCPRIM_400000_NS6detail17trampoline_kernelINS0_14default_configENS1_25transform_config_selectorIjLb0EEEZNS1_14transform_implILb0ES3_S5_NS0_18transform_iteratorINS0_17counting_iteratorImlEEZNS1_24adjacent_difference_implIS3_Lb1ELb0EPKjPjN6thrust23THRUST_200600_302600_NS4plusIjEEEE10hipError_tPvRmT2_T3_mT4_P12ihipStream_tbEUlmE_jEESD_NS0_8identityIvEEEESI_SL_SM_mSN_SP_bEUlT_E_NS1_11comp_targetILNS1_3genE10ELNS1_11target_archE1200ELNS1_3gpuE4ELNS1_3repE0EEENS1_30default_config_static_selectorELNS0_4arch9wavefront6targetE1EEEvT1_,"axG",@progbits,_ZN7rocprim17ROCPRIM_400000_NS6detail17trampoline_kernelINS0_14default_configENS1_25transform_config_selectorIjLb0EEEZNS1_14transform_implILb0ES3_S5_NS0_18transform_iteratorINS0_17counting_iteratorImlEEZNS1_24adjacent_difference_implIS3_Lb1ELb0EPKjPjN6thrust23THRUST_200600_302600_NS4plusIjEEEE10hipError_tPvRmT2_T3_mT4_P12ihipStream_tbEUlmE_jEESD_NS0_8identityIvEEEESI_SL_SM_mSN_SP_bEUlT_E_NS1_11comp_targetILNS1_3genE10ELNS1_11target_archE1200ELNS1_3gpuE4ELNS1_3repE0EEENS1_30default_config_static_selectorELNS0_4arch9wavefront6targetE1EEEvT1_,comdat
	.protected	_ZN7rocprim17ROCPRIM_400000_NS6detail17trampoline_kernelINS0_14default_configENS1_25transform_config_selectorIjLb0EEEZNS1_14transform_implILb0ES3_S5_NS0_18transform_iteratorINS0_17counting_iteratorImlEEZNS1_24adjacent_difference_implIS3_Lb1ELb0EPKjPjN6thrust23THRUST_200600_302600_NS4plusIjEEEE10hipError_tPvRmT2_T3_mT4_P12ihipStream_tbEUlmE_jEESD_NS0_8identityIvEEEESI_SL_SM_mSN_SP_bEUlT_E_NS1_11comp_targetILNS1_3genE10ELNS1_11target_archE1200ELNS1_3gpuE4ELNS1_3repE0EEENS1_30default_config_static_selectorELNS0_4arch9wavefront6targetE1EEEvT1_ ; -- Begin function _ZN7rocprim17ROCPRIM_400000_NS6detail17trampoline_kernelINS0_14default_configENS1_25transform_config_selectorIjLb0EEEZNS1_14transform_implILb0ES3_S5_NS0_18transform_iteratorINS0_17counting_iteratorImlEEZNS1_24adjacent_difference_implIS3_Lb1ELb0EPKjPjN6thrust23THRUST_200600_302600_NS4plusIjEEEE10hipError_tPvRmT2_T3_mT4_P12ihipStream_tbEUlmE_jEESD_NS0_8identityIvEEEESI_SL_SM_mSN_SP_bEUlT_E_NS1_11comp_targetILNS1_3genE10ELNS1_11target_archE1200ELNS1_3gpuE4ELNS1_3repE0EEENS1_30default_config_static_selectorELNS0_4arch9wavefront6targetE1EEEvT1_
	.globl	_ZN7rocprim17ROCPRIM_400000_NS6detail17trampoline_kernelINS0_14default_configENS1_25transform_config_selectorIjLb0EEEZNS1_14transform_implILb0ES3_S5_NS0_18transform_iteratorINS0_17counting_iteratorImlEEZNS1_24adjacent_difference_implIS3_Lb1ELb0EPKjPjN6thrust23THRUST_200600_302600_NS4plusIjEEEE10hipError_tPvRmT2_T3_mT4_P12ihipStream_tbEUlmE_jEESD_NS0_8identityIvEEEESI_SL_SM_mSN_SP_bEUlT_E_NS1_11comp_targetILNS1_3genE10ELNS1_11target_archE1200ELNS1_3gpuE4ELNS1_3repE0EEENS1_30default_config_static_selectorELNS0_4arch9wavefront6targetE1EEEvT1_
	.p2align	8
	.type	_ZN7rocprim17ROCPRIM_400000_NS6detail17trampoline_kernelINS0_14default_configENS1_25transform_config_selectorIjLb0EEEZNS1_14transform_implILb0ES3_S5_NS0_18transform_iteratorINS0_17counting_iteratorImlEEZNS1_24adjacent_difference_implIS3_Lb1ELb0EPKjPjN6thrust23THRUST_200600_302600_NS4plusIjEEEE10hipError_tPvRmT2_T3_mT4_P12ihipStream_tbEUlmE_jEESD_NS0_8identityIvEEEESI_SL_SM_mSN_SP_bEUlT_E_NS1_11comp_targetILNS1_3genE10ELNS1_11target_archE1200ELNS1_3gpuE4ELNS1_3repE0EEENS1_30default_config_static_selectorELNS0_4arch9wavefront6targetE1EEEvT1_,@function
_ZN7rocprim17ROCPRIM_400000_NS6detail17trampoline_kernelINS0_14default_configENS1_25transform_config_selectorIjLb0EEEZNS1_14transform_implILb0ES3_S5_NS0_18transform_iteratorINS0_17counting_iteratorImlEEZNS1_24adjacent_difference_implIS3_Lb1ELb0EPKjPjN6thrust23THRUST_200600_302600_NS4plusIjEEEE10hipError_tPvRmT2_T3_mT4_P12ihipStream_tbEUlmE_jEESD_NS0_8identityIvEEEESI_SL_SM_mSN_SP_bEUlT_E_NS1_11comp_targetILNS1_3genE10ELNS1_11target_archE1200ELNS1_3gpuE4ELNS1_3repE0EEENS1_30default_config_static_selectorELNS0_4arch9wavefront6targetE1EEEvT1_: ; @_ZN7rocprim17ROCPRIM_400000_NS6detail17trampoline_kernelINS0_14default_configENS1_25transform_config_selectorIjLb0EEEZNS1_14transform_implILb0ES3_S5_NS0_18transform_iteratorINS0_17counting_iteratorImlEEZNS1_24adjacent_difference_implIS3_Lb1ELb0EPKjPjN6thrust23THRUST_200600_302600_NS4plusIjEEEE10hipError_tPvRmT2_T3_mT4_P12ihipStream_tbEUlmE_jEESD_NS0_8identityIvEEEESI_SL_SM_mSN_SP_bEUlT_E_NS1_11comp_targetILNS1_3genE10ELNS1_11target_archE1200ELNS1_3gpuE4ELNS1_3repE0EEENS1_30default_config_static_selectorELNS0_4arch9wavefront6targetE1EEEvT1_
; %bb.0:
	.section	.rodata,"a",@progbits
	.p2align	6, 0x0
	.amdhsa_kernel _ZN7rocprim17ROCPRIM_400000_NS6detail17trampoline_kernelINS0_14default_configENS1_25transform_config_selectorIjLb0EEEZNS1_14transform_implILb0ES3_S5_NS0_18transform_iteratorINS0_17counting_iteratorImlEEZNS1_24adjacent_difference_implIS3_Lb1ELb0EPKjPjN6thrust23THRUST_200600_302600_NS4plusIjEEEE10hipError_tPvRmT2_T3_mT4_P12ihipStream_tbEUlmE_jEESD_NS0_8identityIvEEEESI_SL_SM_mSN_SP_bEUlT_E_NS1_11comp_targetILNS1_3genE10ELNS1_11target_archE1200ELNS1_3gpuE4ELNS1_3repE0EEENS1_30default_config_static_selectorELNS0_4arch9wavefront6targetE1EEEvT1_
		.amdhsa_group_segment_fixed_size 0
		.amdhsa_private_segment_fixed_size 0
		.amdhsa_kernarg_size 56
		.amdhsa_user_sgpr_count 2
		.amdhsa_user_sgpr_dispatch_ptr 0
		.amdhsa_user_sgpr_queue_ptr 0
		.amdhsa_user_sgpr_kernarg_segment_ptr 1
		.amdhsa_user_sgpr_dispatch_id 0
		.amdhsa_user_sgpr_kernarg_preload_length 0
		.amdhsa_user_sgpr_kernarg_preload_offset 0
		.amdhsa_user_sgpr_private_segment_size 0
		.amdhsa_uses_dynamic_stack 0
		.amdhsa_enable_private_segment 0
		.amdhsa_system_sgpr_workgroup_id_x 1
		.amdhsa_system_sgpr_workgroup_id_y 0
		.amdhsa_system_sgpr_workgroup_id_z 0
		.amdhsa_system_sgpr_workgroup_info 0
		.amdhsa_system_vgpr_workitem_id 0
		.amdhsa_next_free_vgpr 1
		.amdhsa_next_free_sgpr 0
		.amdhsa_accum_offset 4
		.amdhsa_reserve_vcc 0
		.amdhsa_float_round_mode_32 0
		.amdhsa_float_round_mode_16_64 0
		.amdhsa_float_denorm_mode_32 3
		.amdhsa_float_denorm_mode_16_64 3
		.amdhsa_dx10_clamp 1
		.amdhsa_ieee_mode 1
		.amdhsa_fp16_overflow 0
		.amdhsa_tg_split 0
		.amdhsa_exception_fp_ieee_invalid_op 0
		.amdhsa_exception_fp_denorm_src 0
		.amdhsa_exception_fp_ieee_div_zero 0
		.amdhsa_exception_fp_ieee_overflow 0
		.amdhsa_exception_fp_ieee_underflow 0
		.amdhsa_exception_fp_ieee_inexact 0
		.amdhsa_exception_int_div_zero 0
	.end_amdhsa_kernel
	.section	.text._ZN7rocprim17ROCPRIM_400000_NS6detail17trampoline_kernelINS0_14default_configENS1_25transform_config_selectorIjLb0EEEZNS1_14transform_implILb0ES3_S5_NS0_18transform_iteratorINS0_17counting_iteratorImlEEZNS1_24adjacent_difference_implIS3_Lb1ELb0EPKjPjN6thrust23THRUST_200600_302600_NS4plusIjEEEE10hipError_tPvRmT2_T3_mT4_P12ihipStream_tbEUlmE_jEESD_NS0_8identityIvEEEESI_SL_SM_mSN_SP_bEUlT_E_NS1_11comp_targetILNS1_3genE10ELNS1_11target_archE1200ELNS1_3gpuE4ELNS1_3repE0EEENS1_30default_config_static_selectorELNS0_4arch9wavefront6targetE1EEEvT1_,"axG",@progbits,_ZN7rocprim17ROCPRIM_400000_NS6detail17trampoline_kernelINS0_14default_configENS1_25transform_config_selectorIjLb0EEEZNS1_14transform_implILb0ES3_S5_NS0_18transform_iteratorINS0_17counting_iteratorImlEEZNS1_24adjacent_difference_implIS3_Lb1ELb0EPKjPjN6thrust23THRUST_200600_302600_NS4plusIjEEEE10hipError_tPvRmT2_T3_mT4_P12ihipStream_tbEUlmE_jEESD_NS0_8identityIvEEEESI_SL_SM_mSN_SP_bEUlT_E_NS1_11comp_targetILNS1_3genE10ELNS1_11target_archE1200ELNS1_3gpuE4ELNS1_3repE0EEENS1_30default_config_static_selectorELNS0_4arch9wavefront6targetE1EEEvT1_,comdat
.Lfunc_end605:
	.size	_ZN7rocprim17ROCPRIM_400000_NS6detail17trampoline_kernelINS0_14default_configENS1_25transform_config_selectorIjLb0EEEZNS1_14transform_implILb0ES3_S5_NS0_18transform_iteratorINS0_17counting_iteratorImlEEZNS1_24adjacent_difference_implIS3_Lb1ELb0EPKjPjN6thrust23THRUST_200600_302600_NS4plusIjEEEE10hipError_tPvRmT2_T3_mT4_P12ihipStream_tbEUlmE_jEESD_NS0_8identityIvEEEESI_SL_SM_mSN_SP_bEUlT_E_NS1_11comp_targetILNS1_3genE10ELNS1_11target_archE1200ELNS1_3gpuE4ELNS1_3repE0EEENS1_30default_config_static_selectorELNS0_4arch9wavefront6targetE1EEEvT1_, .Lfunc_end605-_ZN7rocprim17ROCPRIM_400000_NS6detail17trampoline_kernelINS0_14default_configENS1_25transform_config_selectorIjLb0EEEZNS1_14transform_implILb0ES3_S5_NS0_18transform_iteratorINS0_17counting_iteratorImlEEZNS1_24adjacent_difference_implIS3_Lb1ELb0EPKjPjN6thrust23THRUST_200600_302600_NS4plusIjEEEE10hipError_tPvRmT2_T3_mT4_P12ihipStream_tbEUlmE_jEESD_NS0_8identityIvEEEESI_SL_SM_mSN_SP_bEUlT_E_NS1_11comp_targetILNS1_3genE10ELNS1_11target_archE1200ELNS1_3gpuE4ELNS1_3repE0EEENS1_30default_config_static_selectorELNS0_4arch9wavefront6targetE1EEEvT1_
                                        ; -- End function
	.section	.AMDGPU.csdata,"",@progbits
; Kernel info:
; codeLenInByte = 0
; NumSgprs: 6
; NumVgprs: 0
; NumAgprs: 0
; TotalNumVgprs: 0
; ScratchSize: 0
; MemoryBound: 0
; FloatMode: 240
; IeeeMode: 1
; LDSByteSize: 0 bytes/workgroup (compile time only)
; SGPRBlocks: 0
; VGPRBlocks: 0
; NumSGPRsForWavesPerEU: 6
; NumVGPRsForWavesPerEU: 1
; AccumOffset: 4
; Occupancy: 8
; WaveLimiterHint : 0
; COMPUTE_PGM_RSRC2:SCRATCH_EN: 0
; COMPUTE_PGM_RSRC2:USER_SGPR: 2
; COMPUTE_PGM_RSRC2:TRAP_HANDLER: 0
; COMPUTE_PGM_RSRC2:TGID_X_EN: 1
; COMPUTE_PGM_RSRC2:TGID_Y_EN: 0
; COMPUTE_PGM_RSRC2:TGID_Z_EN: 0
; COMPUTE_PGM_RSRC2:TIDIG_COMP_CNT: 0
; COMPUTE_PGM_RSRC3_GFX90A:ACCUM_OFFSET: 0
; COMPUTE_PGM_RSRC3_GFX90A:TG_SPLIT: 0
	.section	.text._ZN7rocprim17ROCPRIM_400000_NS6detail17trampoline_kernelINS0_14default_configENS1_25transform_config_selectorIjLb0EEEZNS1_14transform_implILb0ES3_S5_NS0_18transform_iteratorINS0_17counting_iteratorImlEEZNS1_24adjacent_difference_implIS3_Lb1ELb0EPKjPjN6thrust23THRUST_200600_302600_NS4plusIjEEEE10hipError_tPvRmT2_T3_mT4_P12ihipStream_tbEUlmE_jEESD_NS0_8identityIvEEEESI_SL_SM_mSN_SP_bEUlT_E_NS1_11comp_targetILNS1_3genE9ELNS1_11target_archE1100ELNS1_3gpuE3ELNS1_3repE0EEENS1_30default_config_static_selectorELNS0_4arch9wavefront6targetE1EEEvT1_,"axG",@progbits,_ZN7rocprim17ROCPRIM_400000_NS6detail17trampoline_kernelINS0_14default_configENS1_25transform_config_selectorIjLb0EEEZNS1_14transform_implILb0ES3_S5_NS0_18transform_iteratorINS0_17counting_iteratorImlEEZNS1_24adjacent_difference_implIS3_Lb1ELb0EPKjPjN6thrust23THRUST_200600_302600_NS4plusIjEEEE10hipError_tPvRmT2_T3_mT4_P12ihipStream_tbEUlmE_jEESD_NS0_8identityIvEEEESI_SL_SM_mSN_SP_bEUlT_E_NS1_11comp_targetILNS1_3genE9ELNS1_11target_archE1100ELNS1_3gpuE3ELNS1_3repE0EEENS1_30default_config_static_selectorELNS0_4arch9wavefront6targetE1EEEvT1_,comdat
	.protected	_ZN7rocprim17ROCPRIM_400000_NS6detail17trampoline_kernelINS0_14default_configENS1_25transform_config_selectorIjLb0EEEZNS1_14transform_implILb0ES3_S5_NS0_18transform_iteratorINS0_17counting_iteratorImlEEZNS1_24adjacent_difference_implIS3_Lb1ELb0EPKjPjN6thrust23THRUST_200600_302600_NS4plusIjEEEE10hipError_tPvRmT2_T3_mT4_P12ihipStream_tbEUlmE_jEESD_NS0_8identityIvEEEESI_SL_SM_mSN_SP_bEUlT_E_NS1_11comp_targetILNS1_3genE9ELNS1_11target_archE1100ELNS1_3gpuE3ELNS1_3repE0EEENS1_30default_config_static_selectorELNS0_4arch9wavefront6targetE1EEEvT1_ ; -- Begin function _ZN7rocprim17ROCPRIM_400000_NS6detail17trampoline_kernelINS0_14default_configENS1_25transform_config_selectorIjLb0EEEZNS1_14transform_implILb0ES3_S5_NS0_18transform_iteratorINS0_17counting_iteratorImlEEZNS1_24adjacent_difference_implIS3_Lb1ELb0EPKjPjN6thrust23THRUST_200600_302600_NS4plusIjEEEE10hipError_tPvRmT2_T3_mT4_P12ihipStream_tbEUlmE_jEESD_NS0_8identityIvEEEESI_SL_SM_mSN_SP_bEUlT_E_NS1_11comp_targetILNS1_3genE9ELNS1_11target_archE1100ELNS1_3gpuE3ELNS1_3repE0EEENS1_30default_config_static_selectorELNS0_4arch9wavefront6targetE1EEEvT1_
	.globl	_ZN7rocprim17ROCPRIM_400000_NS6detail17trampoline_kernelINS0_14default_configENS1_25transform_config_selectorIjLb0EEEZNS1_14transform_implILb0ES3_S5_NS0_18transform_iteratorINS0_17counting_iteratorImlEEZNS1_24adjacent_difference_implIS3_Lb1ELb0EPKjPjN6thrust23THRUST_200600_302600_NS4plusIjEEEE10hipError_tPvRmT2_T3_mT4_P12ihipStream_tbEUlmE_jEESD_NS0_8identityIvEEEESI_SL_SM_mSN_SP_bEUlT_E_NS1_11comp_targetILNS1_3genE9ELNS1_11target_archE1100ELNS1_3gpuE3ELNS1_3repE0EEENS1_30default_config_static_selectorELNS0_4arch9wavefront6targetE1EEEvT1_
	.p2align	8
	.type	_ZN7rocprim17ROCPRIM_400000_NS6detail17trampoline_kernelINS0_14default_configENS1_25transform_config_selectorIjLb0EEEZNS1_14transform_implILb0ES3_S5_NS0_18transform_iteratorINS0_17counting_iteratorImlEEZNS1_24adjacent_difference_implIS3_Lb1ELb0EPKjPjN6thrust23THRUST_200600_302600_NS4plusIjEEEE10hipError_tPvRmT2_T3_mT4_P12ihipStream_tbEUlmE_jEESD_NS0_8identityIvEEEESI_SL_SM_mSN_SP_bEUlT_E_NS1_11comp_targetILNS1_3genE9ELNS1_11target_archE1100ELNS1_3gpuE3ELNS1_3repE0EEENS1_30default_config_static_selectorELNS0_4arch9wavefront6targetE1EEEvT1_,@function
_ZN7rocprim17ROCPRIM_400000_NS6detail17trampoline_kernelINS0_14default_configENS1_25transform_config_selectorIjLb0EEEZNS1_14transform_implILb0ES3_S5_NS0_18transform_iteratorINS0_17counting_iteratorImlEEZNS1_24adjacent_difference_implIS3_Lb1ELb0EPKjPjN6thrust23THRUST_200600_302600_NS4plusIjEEEE10hipError_tPvRmT2_T3_mT4_P12ihipStream_tbEUlmE_jEESD_NS0_8identityIvEEEESI_SL_SM_mSN_SP_bEUlT_E_NS1_11comp_targetILNS1_3genE9ELNS1_11target_archE1100ELNS1_3gpuE3ELNS1_3repE0EEENS1_30default_config_static_selectorELNS0_4arch9wavefront6targetE1EEEvT1_: ; @_ZN7rocprim17ROCPRIM_400000_NS6detail17trampoline_kernelINS0_14default_configENS1_25transform_config_selectorIjLb0EEEZNS1_14transform_implILb0ES3_S5_NS0_18transform_iteratorINS0_17counting_iteratorImlEEZNS1_24adjacent_difference_implIS3_Lb1ELb0EPKjPjN6thrust23THRUST_200600_302600_NS4plusIjEEEE10hipError_tPvRmT2_T3_mT4_P12ihipStream_tbEUlmE_jEESD_NS0_8identityIvEEEESI_SL_SM_mSN_SP_bEUlT_E_NS1_11comp_targetILNS1_3genE9ELNS1_11target_archE1100ELNS1_3gpuE3ELNS1_3repE0EEENS1_30default_config_static_selectorELNS0_4arch9wavefront6targetE1EEEvT1_
; %bb.0:
	.section	.rodata,"a",@progbits
	.p2align	6, 0x0
	.amdhsa_kernel _ZN7rocprim17ROCPRIM_400000_NS6detail17trampoline_kernelINS0_14default_configENS1_25transform_config_selectorIjLb0EEEZNS1_14transform_implILb0ES3_S5_NS0_18transform_iteratorINS0_17counting_iteratorImlEEZNS1_24adjacent_difference_implIS3_Lb1ELb0EPKjPjN6thrust23THRUST_200600_302600_NS4plusIjEEEE10hipError_tPvRmT2_T3_mT4_P12ihipStream_tbEUlmE_jEESD_NS0_8identityIvEEEESI_SL_SM_mSN_SP_bEUlT_E_NS1_11comp_targetILNS1_3genE9ELNS1_11target_archE1100ELNS1_3gpuE3ELNS1_3repE0EEENS1_30default_config_static_selectorELNS0_4arch9wavefront6targetE1EEEvT1_
		.amdhsa_group_segment_fixed_size 0
		.amdhsa_private_segment_fixed_size 0
		.amdhsa_kernarg_size 56
		.amdhsa_user_sgpr_count 2
		.amdhsa_user_sgpr_dispatch_ptr 0
		.amdhsa_user_sgpr_queue_ptr 0
		.amdhsa_user_sgpr_kernarg_segment_ptr 1
		.amdhsa_user_sgpr_dispatch_id 0
		.amdhsa_user_sgpr_kernarg_preload_length 0
		.amdhsa_user_sgpr_kernarg_preload_offset 0
		.amdhsa_user_sgpr_private_segment_size 0
		.amdhsa_uses_dynamic_stack 0
		.amdhsa_enable_private_segment 0
		.amdhsa_system_sgpr_workgroup_id_x 1
		.amdhsa_system_sgpr_workgroup_id_y 0
		.amdhsa_system_sgpr_workgroup_id_z 0
		.amdhsa_system_sgpr_workgroup_info 0
		.amdhsa_system_vgpr_workitem_id 0
		.amdhsa_next_free_vgpr 1
		.amdhsa_next_free_sgpr 0
		.amdhsa_accum_offset 4
		.amdhsa_reserve_vcc 0
		.amdhsa_float_round_mode_32 0
		.amdhsa_float_round_mode_16_64 0
		.amdhsa_float_denorm_mode_32 3
		.amdhsa_float_denorm_mode_16_64 3
		.amdhsa_dx10_clamp 1
		.amdhsa_ieee_mode 1
		.amdhsa_fp16_overflow 0
		.amdhsa_tg_split 0
		.amdhsa_exception_fp_ieee_invalid_op 0
		.amdhsa_exception_fp_denorm_src 0
		.amdhsa_exception_fp_ieee_div_zero 0
		.amdhsa_exception_fp_ieee_overflow 0
		.amdhsa_exception_fp_ieee_underflow 0
		.amdhsa_exception_fp_ieee_inexact 0
		.amdhsa_exception_int_div_zero 0
	.end_amdhsa_kernel
	.section	.text._ZN7rocprim17ROCPRIM_400000_NS6detail17trampoline_kernelINS0_14default_configENS1_25transform_config_selectorIjLb0EEEZNS1_14transform_implILb0ES3_S5_NS0_18transform_iteratorINS0_17counting_iteratorImlEEZNS1_24adjacent_difference_implIS3_Lb1ELb0EPKjPjN6thrust23THRUST_200600_302600_NS4plusIjEEEE10hipError_tPvRmT2_T3_mT4_P12ihipStream_tbEUlmE_jEESD_NS0_8identityIvEEEESI_SL_SM_mSN_SP_bEUlT_E_NS1_11comp_targetILNS1_3genE9ELNS1_11target_archE1100ELNS1_3gpuE3ELNS1_3repE0EEENS1_30default_config_static_selectorELNS0_4arch9wavefront6targetE1EEEvT1_,"axG",@progbits,_ZN7rocprim17ROCPRIM_400000_NS6detail17trampoline_kernelINS0_14default_configENS1_25transform_config_selectorIjLb0EEEZNS1_14transform_implILb0ES3_S5_NS0_18transform_iteratorINS0_17counting_iteratorImlEEZNS1_24adjacent_difference_implIS3_Lb1ELb0EPKjPjN6thrust23THRUST_200600_302600_NS4plusIjEEEE10hipError_tPvRmT2_T3_mT4_P12ihipStream_tbEUlmE_jEESD_NS0_8identityIvEEEESI_SL_SM_mSN_SP_bEUlT_E_NS1_11comp_targetILNS1_3genE9ELNS1_11target_archE1100ELNS1_3gpuE3ELNS1_3repE0EEENS1_30default_config_static_selectorELNS0_4arch9wavefront6targetE1EEEvT1_,comdat
.Lfunc_end606:
	.size	_ZN7rocprim17ROCPRIM_400000_NS6detail17trampoline_kernelINS0_14default_configENS1_25transform_config_selectorIjLb0EEEZNS1_14transform_implILb0ES3_S5_NS0_18transform_iteratorINS0_17counting_iteratorImlEEZNS1_24adjacent_difference_implIS3_Lb1ELb0EPKjPjN6thrust23THRUST_200600_302600_NS4plusIjEEEE10hipError_tPvRmT2_T3_mT4_P12ihipStream_tbEUlmE_jEESD_NS0_8identityIvEEEESI_SL_SM_mSN_SP_bEUlT_E_NS1_11comp_targetILNS1_3genE9ELNS1_11target_archE1100ELNS1_3gpuE3ELNS1_3repE0EEENS1_30default_config_static_selectorELNS0_4arch9wavefront6targetE1EEEvT1_, .Lfunc_end606-_ZN7rocprim17ROCPRIM_400000_NS6detail17trampoline_kernelINS0_14default_configENS1_25transform_config_selectorIjLb0EEEZNS1_14transform_implILb0ES3_S5_NS0_18transform_iteratorINS0_17counting_iteratorImlEEZNS1_24adjacent_difference_implIS3_Lb1ELb0EPKjPjN6thrust23THRUST_200600_302600_NS4plusIjEEEE10hipError_tPvRmT2_T3_mT4_P12ihipStream_tbEUlmE_jEESD_NS0_8identityIvEEEESI_SL_SM_mSN_SP_bEUlT_E_NS1_11comp_targetILNS1_3genE9ELNS1_11target_archE1100ELNS1_3gpuE3ELNS1_3repE0EEENS1_30default_config_static_selectorELNS0_4arch9wavefront6targetE1EEEvT1_
                                        ; -- End function
	.section	.AMDGPU.csdata,"",@progbits
; Kernel info:
; codeLenInByte = 0
; NumSgprs: 6
; NumVgprs: 0
; NumAgprs: 0
; TotalNumVgprs: 0
; ScratchSize: 0
; MemoryBound: 0
; FloatMode: 240
; IeeeMode: 1
; LDSByteSize: 0 bytes/workgroup (compile time only)
; SGPRBlocks: 0
; VGPRBlocks: 0
; NumSGPRsForWavesPerEU: 6
; NumVGPRsForWavesPerEU: 1
; AccumOffset: 4
; Occupancy: 8
; WaveLimiterHint : 0
; COMPUTE_PGM_RSRC2:SCRATCH_EN: 0
; COMPUTE_PGM_RSRC2:USER_SGPR: 2
; COMPUTE_PGM_RSRC2:TRAP_HANDLER: 0
; COMPUTE_PGM_RSRC2:TGID_X_EN: 1
; COMPUTE_PGM_RSRC2:TGID_Y_EN: 0
; COMPUTE_PGM_RSRC2:TGID_Z_EN: 0
; COMPUTE_PGM_RSRC2:TIDIG_COMP_CNT: 0
; COMPUTE_PGM_RSRC3_GFX90A:ACCUM_OFFSET: 0
; COMPUTE_PGM_RSRC3_GFX90A:TG_SPLIT: 0
	.section	.text._ZN7rocprim17ROCPRIM_400000_NS6detail17trampoline_kernelINS0_14default_configENS1_25transform_config_selectorIjLb0EEEZNS1_14transform_implILb0ES3_S5_NS0_18transform_iteratorINS0_17counting_iteratorImlEEZNS1_24adjacent_difference_implIS3_Lb1ELb0EPKjPjN6thrust23THRUST_200600_302600_NS4plusIjEEEE10hipError_tPvRmT2_T3_mT4_P12ihipStream_tbEUlmE_jEESD_NS0_8identityIvEEEESI_SL_SM_mSN_SP_bEUlT_E_NS1_11comp_targetILNS1_3genE8ELNS1_11target_archE1030ELNS1_3gpuE2ELNS1_3repE0EEENS1_30default_config_static_selectorELNS0_4arch9wavefront6targetE1EEEvT1_,"axG",@progbits,_ZN7rocprim17ROCPRIM_400000_NS6detail17trampoline_kernelINS0_14default_configENS1_25transform_config_selectorIjLb0EEEZNS1_14transform_implILb0ES3_S5_NS0_18transform_iteratorINS0_17counting_iteratorImlEEZNS1_24adjacent_difference_implIS3_Lb1ELb0EPKjPjN6thrust23THRUST_200600_302600_NS4plusIjEEEE10hipError_tPvRmT2_T3_mT4_P12ihipStream_tbEUlmE_jEESD_NS0_8identityIvEEEESI_SL_SM_mSN_SP_bEUlT_E_NS1_11comp_targetILNS1_3genE8ELNS1_11target_archE1030ELNS1_3gpuE2ELNS1_3repE0EEENS1_30default_config_static_selectorELNS0_4arch9wavefront6targetE1EEEvT1_,comdat
	.protected	_ZN7rocprim17ROCPRIM_400000_NS6detail17trampoline_kernelINS0_14default_configENS1_25transform_config_selectorIjLb0EEEZNS1_14transform_implILb0ES3_S5_NS0_18transform_iteratorINS0_17counting_iteratorImlEEZNS1_24adjacent_difference_implIS3_Lb1ELb0EPKjPjN6thrust23THRUST_200600_302600_NS4plusIjEEEE10hipError_tPvRmT2_T3_mT4_P12ihipStream_tbEUlmE_jEESD_NS0_8identityIvEEEESI_SL_SM_mSN_SP_bEUlT_E_NS1_11comp_targetILNS1_3genE8ELNS1_11target_archE1030ELNS1_3gpuE2ELNS1_3repE0EEENS1_30default_config_static_selectorELNS0_4arch9wavefront6targetE1EEEvT1_ ; -- Begin function _ZN7rocprim17ROCPRIM_400000_NS6detail17trampoline_kernelINS0_14default_configENS1_25transform_config_selectorIjLb0EEEZNS1_14transform_implILb0ES3_S5_NS0_18transform_iteratorINS0_17counting_iteratorImlEEZNS1_24adjacent_difference_implIS3_Lb1ELb0EPKjPjN6thrust23THRUST_200600_302600_NS4plusIjEEEE10hipError_tPvRmT2_T3_mT4_P12ihipStream_tbEUlmE_jEESD_NS0_8identityIvEEEESI_SL_SM_mSN_SP_bEUlT_E_NS1_11comp_targetILNS1_3genE8ELNS1_11target_archE1030ELNS1_3gpuE2ELNS1_3repE0EEENS1_30default_config_static_selectorELNS0_4arch9wavefront6targetE1EEEvT1_
	.globl	_ZN7rocprim17ROCPRIM_400000_NS6detail17trampoline_kernelINS0_14default_configENS1_25transform_config_selectorIjLb0EEEZNS1_14transform_implILb0ES3_S5_NS0_18transform_iteratorINS0_17counting_iteratorImlEEZNS1_24adjacent_difference_implIS3_Lb1ELb0EPKjPjN6thrust23THRUST_200600_302600_NS4plusIjEEEE10hipError_tPvRmT2_T3_mT4_P12ihipStream_tbEUlmE_jEESD_NS0_8identityIvEEEESI_SL_SM_mSN_SP_bEUlT_E_NS1_11comp_targetILNS1_3genE8ELNS1_11target_archE1030ELNS1_3gpuE2ELNS1_3repE0EEENS1_30default_config_static_selectorELNS0_4arch9wavefront6targetE1EEEvT1_
	.p2align	8
	.type	_ZN7rocprim17ROCPRIM_400000_NS6detail17trampoline_kernelINS0_14default_configENS1_25transform_config_selectorIjLb0EEEZNS1_14transform_implILb0ES3_S5_NS0_18transform_iteratorINS0_17counting_iteratorImlEEZNS1_24adjacent_difference_implIS3_Lb1ELb0EPKjPjN6thrust23THRUST_200600_302600_NS4plusIjEEEE10hipError_tPvRmT2_T3_mT4_P12ihipStream_tbEUlmE_jEESD_NS0_8identityIvEEEESI_SL_SM_mSN_SP_bEUlT_E_NS1_11comp_targetILNS1_3genE8ELNS1_11target_archE1030ELNS1_3gpuE2ELNS1_3repE0EEENS1_30default_config_static_selectorELNS0_4arch9wavefront6targetE1EEEvT1_,@function
_ZN7rocprim17ROCPRIM_400000_NS6detail17trampoline_kernelINS0_14default_configENS1_25transform_config_selectorIjLb0EEEZNS1_14transform_implILb0ES3_S5_NS0_18transform_iteratorINS0_17counting_iteratorImlEEZNS1_24adjacent_difference_implIS3_Lb1ELb0EPKjPjN6thrust23THRUST_200600_302600_NS4plusIjEEEE10hipError_tPvRmT2_T3_mT4_P12ihipStream_tbEUlmE_jEESD_NS0_8identityIvEEEESI_SL_SM_mSN_SP_bEUlT_E_NS1_11comp_targetILNS1_3genE8ELNS1_11target_archE1030ELNS1_3gpuE2ELNS1_3repE0EEENS1_30default_config_static_selectorELNS0_4arch9wavefront6targetE1EEEvT1_: ; @_ZN7rocprim17ROCPRIM_400000_NS6detail17trampoline_kernelINS0_14default_configENS1_25transform_config_selectorIjLb0EEEZNS1_14transform_implILb0ES3_S5_NS0_18transform_iteratorINS0_17counting_iteratorImlEEZNS1_24adjacent_difference_implIS3_Lb1ELb0EPKjPjN6thrust23THRUST_200600_302600_NS4plusIjEEEE10hipError_tPvRmT2_T3_mT4_P12ihipStream_tbEUlmE_jEESD_NS0_8identityIvEEEESI_SL_SM_mSN_SP_bEUlT_E_NS1_11comp_targetILNS1_3genE8ELNS1_11target_archE1030ELNS1_3gpuE2ELNS1_3repE0EEENS1_30default_config_static_selectorELNS0_4arch9wavefront6targetE1EEEvT1_
; %bb.0:
	.section	.rodata,"a",@progbits
	.p2align	6, 0x0
	.amdhsa_kernel _ZN7rocprim17ROCPRIM_400000_NS6detail17trampoline_kernelINS0_14default_configENS1_25transform_config_selectorIjLb0EEEZNS1_14transform_implILb0ES3_S5_NS0_18transform_iteratorINS0_17counting_iteratorImlEEZNS1_24adjacent_difference_implIS3_Lb1ELb0EPKjPjN6thrust23THRUST_200600_302600_NS4plusIjEEEE10hipError_tPvRmT2_T3_mT4_P12ihipStream_tbEUlmE_jEESD_NS0_8identityIvEEEESI_SL_SM_mSN_SP_bEUlT_E_NS1_11comp_targetILNS1_3genE8ELNS1_11target_archE1030ELNS1_3gpuE2ELNS1_3repE0EEENS1_30default_config_static_selectorELNS0_4arch9wavefront6targetE1EEEvT1_
		.amdhsa_group_segment_fixed_size 0
		.amdhsa_private_segment_fixed_size 0
		.amdhsa_kernarg_size 56
		.amdhsa_user_sgpr_count 2
		.amdhsa_user_sgpr_dispatch_ptr 0
		.amdhsa_user_sgpr_queue_ptr 0
		.amdhsa_user_sgpr_kernarg_segment_ptr 1
		.amdhsa_user_sgpr_dispatch_id 0
		.amdhsa_user_sgpr_kernarg_preload_length 0
		.amdhsa_user_sgpr_kernarg_preload_offset 0
		.amdhsa_user_sgpr_private_segment_size 0
		.amdhsa_uses_dynamic_stack 0
		.amdhsa_enable_private_segment 0
		.amdhsa_system_sgpr_workgroup_id_x 1
		.amdhsa_system_sgpr_workgroup_id_y 0
		.amdhsa_system_sgpr_workgroup_id_z 0
		.amdhsa_system_sgpr_workgroup_info 0
		.amdhsa_system_vgpr_workitem_id 0
		.amdhsa_next_free_vgpr 1
		.amdhsa_next_free_sgpr 0
		.amdhsa_accum_offset 4
		.amdhsa_reserve_vcc 0
		.amdhsa_float_round_mode_32 0
		.amdhsa_float_round_mode_16_64 0
		.amdhsa_float_denorm_mode_32 3
		.amdhsa_float_denorm_mode_16_64 3
		.amdhsa_dx10_clamp 1
		.amdhsa_ieee_mode 1
		.amdhsa_fp16_overflow 0
		.amdhsa_tg_split 0
		.amdhsa_exception_fp_ieee_invalid_op 0
		.amdhsa_exception_fp_denorm_src 0
		.amdhsa_exception_fp_ieee_div_zero 0
		.amdhsa_exception_fp_ieee_overflow 0
		.amdhsa_exception_fp_ieee_underflow 0
		.amdhsa_exception_fp_ieee_inexact 0
		.amdhsa_exception_int_div_zero 0
	.end_amdhsa_kernel
	.section	.text._ZN7rocprim17ROCPRIM_400000_NS6detail17trampoline_kernelINS0_14default_configENS1_25transform_config_selectorIjLb0EEEZNS1_14transform_implILb0ES3_S5_NS0_18transform_iteratorINS0_17counting_iteratorImlEEZNS1_24adjacent_difference_implIS3_Lb1ELb0EPKjPjN6thrust23THRUST_200600_302600_NS4plusIjEEEE10hipError_tPvRmT2_T3_mT4_P12ihipStream_tbEUlmE_jEESD_NS0_8identityIvEEEESI_SL_SM_mSN_SP_bEUlT_E_NS1_11comp_targetILNS1_3genE8ELNS1_11target_archE1030ELNS1_3gpuE2ELNS1_3repE0EEENS1_30default_config_static_selectorELNS0_4arch9wavefront6targetE1EEEvT1_,"axG",@progbits,_ZN7rocprim17ROCPRIM_400000_NS6detail17trampoline_kernelINS0_14default_configENS1_25transform_config_selectorIjLb0EEEZNS1_14transform_implILb0ES3_S5_NS0_18transform_iteratorINS0_17counting_iteratorImlEEZNS1_24adjacent_difference_implIS3_Lb1ELb0EPKjPjN6thrust23THRUST_200600_302600_NS4plusIjEEEE10hipError_tPvRmT2_T3_mT4_P12ihipStream_tbEUlmE_jEESD_NS0_8identityIvEEEESI_SL_SM_mSN_SP_bEUlT_E_NS1_11comp_targetILNS1_3genE8ELNS1_11target_archE1030ELNS1_3gpuE2ELNS1_3repE0EEENS1_30default_config_static_selectorELNS0_4arch9wavefront6targetE1EEEvT1_,comdat
.Lfunc_end607:
	.size	_ZN7rocprim17ROCPRIM_400000_NS6detail17trampoline_kernelINS0_14default_configENS1_25transform_config_selectorIjLb0EEEZNS1_14transform_implILb0ES3_S5_NS0_18transform_iteratorINS0_17counting_iteratorImlEEZNS1_24adjacent_difference_implIS3_Lb1ELb0EPKjPjN6thrust23THRUST_200600_302600_NS4plusIjEEEE10hipError_tPvRmT2_T3_mT4_P12ihipStream_tbEUlmE_jEESD_NS0_8identityIvEEEESI_SL_SM_mSN_SP_bEUlT_E_NS1_11comp_targetILNS1_3genE8ELNS1_11target_archE1030ELNS1_3gpuE2ELNS1_3repE0EEENS1_30default_config_static_selectorELNS0_4arch9wavefront6targetE1EEEvT1_, .Lfunc_end607-_ZN7rocprim17ROCPRIM_400000_NS6detail17trampoline_kernelINS0_14default_configENS1_25transform_config_selectorIjLb0EEEZNS1_14transform_implILb0ES3_S5_NS0_18transform_iteratorINS0_17counting_iteratorImlEEZNS1_24adjacent_difference_implIS3_Lb1ELb0EPKjPjN6thrust23THRUST_200600_302600_NS4plusIjEEEE10hipError_tPvRmT2_T3_mT4_P12ihipStream_tbEUlmE_jEESD_NS0_8identityIvEEEESI_SL_SM_mSN_SP_bEUlT_E_NS1_11comp_targetILNS1_3genE8ELNS1_11target_archE1030ELNS1_3gpuE2ELNS1_3repE0EEENS1_30default_config_static_selectorELNS0_4arch9wavefront6targetE1EEEvT1_
                                        ; -- End function
	.section	.AMDGPU.csdata,"",@progbits
; Kernel info:
; codeLenInByte = 0
; NumSgprs: 6
; NumVgprs: 0
; NumAgprs: 0
; TotalNumVgprs: 0
; ScratchSize: 0
; MemoryBound: 0
; FloatMode: 240
; IeeeMode: 1
; LDSByteSize: 0 bytes/workgroup (compile time only)
; SGPRBlocks: 0
; VGPRBlocks: 0
; NumSGPRsForWavesPerEU: 6
; NumVGPRsForWavesPerEU: 1
; AccumOffset: 4
; Occupancy: 8
; WaveLimiterHint : 0
; COMPUTE_PGM_RSRC2:SCRATCH_EN: 0
; COMPUTE_PGM_RSRC2:USER_SGPR: 2
; COMPUTE_PGM_RSRC2:TRAP_HANDLER: 0
; COMPUTE_PGM_RSRC2:TGID_X_EN: 1
; COMPUTE_PGM_RSRC2:TGID_Y_EN: 0
; COMPUTE_PGM_RSRC2:TGID_Z_EN: 0
; COMPUTE_PGM_RSRC2:TIDIG_COMP_CNT: 0
; COMPUTE_PGM_RSRC3_GFX90A:ACCUM_OFFSET: 0
; COMPUTE_PGM_RSRC3_GFX90A:TG_SPLIT: 0
	.section	.text._ZN7rocprim17ROCPRIM_400000_NS6detail17trampoline_kernelINS0_14default_configENS1_35adjacent_difference_config_selectorILb1EjEEZNS1_24adjacent_difference_implIS3_Lb1ELb0EPKjPjN6thrust23THRUST_200600_302600_NS4plusIjEEEE10hipError_tPvRmT2_T3_mT4_P12ihipStream_tbEUlT_E_NS1_11comp_targetILNS1_3genE0ELNS1_11target_archE4294967295ELNS1_3gpuE0ELNS1_3repE0EEENS1_30default_config_static_selectorELNS0_4arch9wavefront6targetE1EEEvT1_,"axG",@progbits,_ZN7rocprim17ROCPRIM_400000_NS6detail17trampoline_kernelINS0_14default_configENS1_35adjacent_difference_config_selectorILb1EjEEZNS1_24adjacent_difference_implIS3_Lb1ELb0EPKjPjN6thrust23THRUST_200600_302600_NS4plusIjEEEE10hipError_tPvRmT2_T3_mT4_P12ihipStream_tbEUlT_E_NS1_11comp_targetILNS1_3genE0ELNS1_11target_archE4294967295ELNS1_3gpuE0ELNS1_3repE0EEENS1_30default_config_static_selectorELNS0_4arch9wavefront6targetE1EEEvT1_,comdat
	.protected	_ZN7rocprim17ROCPRIM_400000_NS6detail17trampoline_kernelINS0_14default_configENS1_35adjacent_difference_config_selectorILb1EjEEZNS1_24adjacent_difference_implIS3_Lb1ELb0EPKjPjN6thrust23THRUST_200600_302600_NS4plusIjEEEE10hipError_tPvRmT2_T3_mT4_P12ihipStream_tbEUlT_E_NS1_11comp_targetILNS1_3genE0ELNS1_11target_archE4294967295ELNS1_3gpuE0ELNS1_3repE0EEENS1_30default_config_static_selectorELNS0_4arch9wavefront6targetE1EEEvT1_ ; -- Begin function _ZN7rocprim17ROCPRIM_400000_NS6detail17trampoline_kernelINS0_14default_configENS1_35adjacent_difference_config_selectorILb1EjEEZNS1_24adjacent_difference_implIS3_Lb1ELb0EPKjPjN6thrust23THRUST_200600_302600_NS4plusIjEEEE10hipError_tPvRmT2_T3_mT4_P12ihipStream_tbEUlT_E_NS1_11comp_targetILNS1_3genE0ELNS1_11target_archE4294967295ELNS1_3gpuE0ELNS1_3repE0EEENS1_30default_config_static_selectorELNS0_4arch9wavefront6targetE1EEEvT1_
	.globl	_ZN7rocprim17ROCPRIM_400000_NS6detail17trampoline_kernelINS0_14default_configENS1_35adjacent_difference_config_selectorILb1EjEEZNS1_24adjacent_difference_implIS3_Lb1ELb0EPKjPjN6thrust23THRUST_200600_302600_NS4plusIjEEEE10hipError_tPvRmT2_T3_mT4_P12ihipStream_tbEUlT_E_NS1_11comp_targetILNS1_3genE0ELNS1_11target_archE4294967295ELNS1_3gpuE0ELNS1_3repE0EEENS1_30default_config_static_selectorELNS0_4arch9wavefront6targetE1EEEvT1_
	.p2align	8
	.type	_ZN7rocprim17ROCPRIM_400000_NS6detail17trampoline_kernelINS0_14default_configENS1_35adjacent_difference_config_selectorILb1EjEEZNS1_24adjacent_difference_implIS3_Lb1ELb0EPKjPjN6thrust23THRUST_200600_302600_NS4plusIjEEEE10hipError_tPvRmT2_T3_mT4_P12ihipStream_tbEUlT_E_NS1_11comp_targetILNS1_3genE0ELNS1_11target_archE4294967295ELNS1_3gpuE0ELNS1_3repE0EEENS1_30default_config_static_selectorELNS0_4arch9wavefront6targetE1EEEvT1_,@function
_ZN7rocprim17ROCPRIM_400000_NS6detail17trampoline_kernelINS0_14default_configENS1_35adjacent_difference_config_selectorILb1EjEEZNS1_24adjacent_difference_implIS3_Lb1ELb0EPKjPjN6thrust23THRUST_200600_302600_NS4plusIjEEEE10hipError_tPvRmT2_T3_mT4_P12ihipStream_tbEUlT_E_NS1_11comp_targetILNS1_3genE0ELNS1_11target_archE4294967295ELNS1_3gpuE0ELNS1_3repE0EEENS1_30default_config_static_selectorELNS0_4arch9wavefront6targetE1EEEvT1_: ; @_ZN7rocprim17ROCPRIM_400000_NS6detail17trampoline_kernelINS0_14default_configENS1_35adjacent_difference_config_selectorILb1EjEEZNS1_24adjacent_difference_implIS3_Lb1ELb0EPKjPjN6thrust23THRUST_200600_302600_NS4plusIjEEEE10hipError_tPvRmT2_T3_mT4_P12ihipStream_tbEUlT_E_NS1_11comp_targetILNS1_3genE0ELNS1_11target_archE4294967295ELNS1_3gpuE0ELNS1_3repE0EEENS1_30default_config_static_selectorELNS0_4arch9wavefront6targetE1EEEvT1_
; %bb.0:
	.section	.rodata,"a",@progbits
	.p2align	6, 0x0
	.amdhsa_kernel _ZN7rocprim17ROCPRIM_400000_NS6detail17trampoline_kernelINS0_14default_configENS1_35adjacent_difference_config_selectorILb1EjEEZNS1_24adjacent_difference_implIS3_Lb1ELb0EPKjPjN6thrust23THRUST_200600_302600_NS4plusIjEEEE10hipError_tPvRmT2_T3_mT4_P12ihipStream_tbEUlT_E_NS1_11comp_targetILNS1_3genE0ELNS1_11target_archE4294967295ELNS1_3gpuE0ELNS1_3repE0EEENS1_30default_config_static_selectorELNS0_4arch9wavefront6targetE1EEEvT1_
		.amdhsa_group_segment_fixed_size 0
		.amdhsa_private_segment_fixed_size 0
		.amdhsa_kernarg_size 56
		.amdhsa_user_sgpr_count 2
		.amdhsa_user_sgpr_dispatch_ptr 0
		.amdhsa_user_sgpr_queue_ptr 0
		.amdhsa_user_sgpr_kernarg_segment_ptr 1
		.amdhsa_user_sgpr_dispatch_id 0
		.amdhsa_user_sgpr_kernarg_preload_length 0
		.amdhsa_user_sgpr_kernarg_preload_offset 0
		.amdhsa_user_sgpr_private_segment_size 0
		.amdhsa_uses_dynamic_stack 0
		.amdhsa_enable_private_segment 0
		.amdhsa_system_sgpr_workgroup_id_x 1
		.amdhsa_system_sgpr_workgroup_id_y 0
		.amdhsa_system_sgpr_workgroup_id_z 0
		.amdhsa_system_sgpr_workgroup_info 0
		.amdhsa_system_vgpr_workitem_id 0
		.amdhsa_next_free_vgpr 1
		.amdhsa_next_free_sgpr 0
		.amdhsa_accum_offset 4
		.amdhsa_reserve_vcc 0
		.amdhsa_float_round_mode_32 0
		.amdhsa_float_round_mode_16_64 0
		.amdhsa_float_denorm_mode_32 3
		.amdhsa_float_denorm_mode_16_64 3
		.amdhsa_dx10_clamp 1
		.amdhsa_ieee_mode 1
		.amdhsa_fp16_overflow 0
		.amdhsa_tg_split 0
		.amdhsa_exception_fp_ieee_invalid_op 0
		.amdhsa_exception_fp_denorm_src 0
		.amdhsa_exception_fp_ieee_div_zero 0
		.amdhsa_exception_fp_ieee_overflow 0
		.amdhsa_exception_fp_ieee_underflow 0
		.amdhsa_exception_fp_ieee_inexact 0
		.amdhsa_exception_int_div_zero 0
	.end_amdhsa_kernel
	.section	.text._ZN7rocprim17ROCPRIM_400000_NS6detail17trampoline_kernelINS0_14default_configENS1_35adjacent_difference_config_selectorILb1EjEEZNS1_24adjacent_difference_implIS3_Lb1ELb0EPKjPjN6thrust23THRUST_200600_302600_NS4plusIjEEEE10hipError_tPvRmT2_T3_mT4_P12ihipStream_tbEUlT_E_NS1_11comp_targetILNS1_3genE0ELNS1_11target_archE4294967295ELNS1_3gpuE0ELNS1_3repE0EEENS1_30default_config_static_selectorELNS0_4arch9wavefront6targetE1EEEvT1_,"axG",@progbits,_ZN7rocprim17ROCPRIM_400000_NS6detail17trampoline_kernelINS0_14default_configENS1_35adjacent_difference_config_selectorILb1EjEEZNS1_24adjacent_difference_implIS3_Lb1ELb0EPKjPjN6thrust23THRUST_200600_302600_NS4plusIjEEEE10hipError_tPvRmT2_T3_mT4_P12ihipStream_tbEUlT_E_NS1_11comp_targetILNS1_3genE0ELNS1_11target_archE4294967295ELNS1_3gpuE0ELNS1_3repE0EEENS1_30default_config_static_selectorELNS0_4arch9wavefront6targetE1EEEvT1_,comdat
.Lfunc_end608:
	.size	_ZN7rocprim17ROCPRIM_400000_NS6detail17trampoline_kernelINS0_14default_configENS1_35adjacent_difference_config_selectorILb1EjEEZNS1_24adjacent_difference_implIS3_Lb1ELb0EPKjPjN6thrust23THRUST_200600_302600_NS4plusIjEEEE10hipError_tPvRmT2_T3_mT4_P12ihipStream_tbEUlT_E_NS1_11comp_targetILNS1_3genE0ELNS1_11target_archE4294967295ELNS1_3gpuE0ELNS1_3repE0EEENS1_30default_config_static_selectorELNS0_4arch9wavefront6targetE1EEEvT1_, .Lfunc_end608-_ZN7rocprim17ROCPRIM_400000_NS6detail17trampoline_kernelINS0_14default_configENS1_35adjacent_difference_config_selectorILb1EjEEZNS1_24adjacent_difference_implIS3_Lb1ELb0EPKjPjN6thrust23THRUST_200600_302600_NS4plusIjEEEE10hipError_tPvRmT2_T3_mT4_P12ihipStream_tbEUlT_E_NS1_11comp_targetILNS1_3genE0ELNS1_11target_archE4294967295ELNS1_3gpuE0ELNS1_3repE0EEENS1_30default_config_static_selectorELNS0_4arch9wavefront6targetE1EEEvT1_
                                        ; -- End function
	.section	.AMDGPU.csdata,"",@progbits
; Kernel info:
; codeLenInByte = 0
; NumSgprs: 6
; NumVgprs: 0
; NumAgprs: 0
; TotalNumVgprs: 0
; ScratchSize: 0
; MemoryBound: 0
; FloatMode: 240
; IeeeMode: 1
; LDSByteSize: 0 bytes/workgroup (compile time only)
; SGPRBlocks: 0
; VGPRBlocks: 0
; NumSGPRsForWavesPerEU: 6
; NumVGPRsForWavesPerEU: 1
; AccumOffset: 4
; Occupancy: 8
; WaveLimiterHint : 0
; COMPUTE_PGM_RSRC2:SCRATCH_EN: 0
; COMPUTE_PGM_RSRC2:USER_SGPR: 2
; COMPUTE_PGM_RSRC2:TRAP_HANDLER: 0
; COMPUTE_PGM_RSRC2:TGID_X_EN: 1
; COMPUTE_PGM_RSRC2:TGID_Y_EN: 0
; COMPUTE_PGM_RSRC2:TGID_Z_EN: 0
; COMPUTE_PGM_RSRC2:TIDIG_COMP_CNT: 0
; COMPUTE_PGM_RSRC3_GFX90A:ACCUM_OFFSET: 0
; COMPUTE_PGM_RSRC3_GFX90A:TG_SPLIT: 0
	.section	.text._ZN7rocprim17ROCPRIM_400000_NS6detail17trampoline_kernelINS0_14default_configENS1_35adjacent_difference_config_selectorILb1EjEEZNS1_24adjacent_difference_implIS3_Lb1ELb0EPKjPjN6thrust23THRUST_200600_302600_NS4plusIjEEEE10hipError_tPvRmT2_T3_mT4_P12ihipStream_tbEUlT_E_NS1_11comp_targetILNS1_3genE10ELNS1_11target_archE1201ELNS1_3gpuE5ELNS1_3repE0EEENS1_30default_config_static_selectorELNS0_4arch9wavefront6targetE1EEEvT1_,"axG",@progbits,_ZN7rocprim17ROCPRIM_400000_NS6detail17trampoline_kernelINS0_14default_configENS1_35adjacent_difference_config_selectorILb1EjEEZNS1_24adjacent_difference_implIS3_Lb1ELb0EPKjPjN6thrust23THRUST_200600_302600_NS4plusIjEEEE10hipError_tPvRmT2_T3_mT4_P12ihipStream_tbEUlT_E_NS1_11comp_targetILNS1_3genE10ELNS1_11target_archE1201ELNS1_3gpuE5ELNS1_3repE0EEENS1_30default_config_static_selectorELNS0_4arch9wavefront6targetE1EEEvT1_,comdat
	.protected	_ZN7rocprim17ROCPRIM_400000_NS6detail17trampoline_kernelINS0_14default_configENS1_35adjacent_difference_config_selectorILb1EjEEZNS1_24adjacent_difference_implIS3_Lb1ELb0EPKjPjN6thrust23THRUST_200600_302600_NS4plusIjEEEE10hipError_tPvRmT2_T3_mT4_P12ihipStream_tbEUlT_E_NS1_11comp_targetILNS1_3genE10ELNS1_11target_archE1201ELNS1_3gpuE5ELNS1_3repE0EEENS1_30default_config_static_selectorELNS0_4arch9wavefront6targetE1EEEvT1_ ; -- Begin function _ZN7rocprim17ROCPRIM_400000_NS6detail17trampoline_kernelINS0_14default_configENS1_35adjacent_difference_config_selectorILb1EjEEZNS1_24adjacent_difference_implIS3_Lb1ELb0EPKjPjN6thrust23THRUST_200600_302600_NS4plusIjEEEE10hipError_tPvRmT2_T3_mT4_P12ihipStream_tbEUlT_E_NS1_11comp_targetILNS1_3genE10ELNS1_11target_archE1201ELNS1_3gpuE5ELNS1_3repE0EEENS1_30default_config_static_selectorELNS0_4arch9wavefront6targetE1EEEvT1_
	.globl	_ZN7rocprim17ROCPRIM_400000_NS6detail17trampoline_kernelINS0_14default_configENS1_35adjacent_difference_config_selectorILb1EjEEZNS1_24adjacent_difference_implIS3_Lb1ELb0EPKjPjN6thrust23THRUST_200600_302600_NS4plusIjEEEE10hipError_tPvRmT2_T3_mT4_P12ihipStream_tbEUlT_E_NS1_11comp_targetILNS1_3genE10ELNS1_11target_archE1201ELNS1_3gpuE5ELNS1_3repE0EEENS1_30default_config_static_selectorELNS0_4arch9wavefront6targetE1EEEvT1_
	.p2align	8
	.type	_ZN7rocprim17ROCPRIM_400000_NS6detail17trampoline_kernelINS0_14default_configENS1_35adjacent_difference_config_selectorILb1EjEEZNS1_24adjacent_difference_implIS3_Lb1ELb0EPKjPjN6thrust23THRUST_200600_302600_NS4plusIjEEEE10hipError_tPvRmT2_T3_mT4_P12ihipStream_tbEUlT_E_NS1_11comp_targetILNS1_3genE10ELNS1_11target_archE1201ELNS1_3gpuE5ELNS1_3repE0EEENS1_30default_config_static_selectorELNS0_4arch9wavefront6targetE1EEEvT1_,@function
_ZN7rocprim17ROCPRIM_400000_NS6detail17trampoline_kernelINS0_14default_configENS1_35adjacent_difference_config_selectorILb1EjEEZNS1_24adjacent_difference_implIS3_Lb1ELb0EPKjPjN6thrust23THRUST_200600_302600_NS4plusIjEEEE10hipError_tPvRmT2_T3_mT4_P12ihipStream_tbEUlT_E_NS1_11comp_targetILNS1_3genE10ELNS1_11target_archE1201ELNS1_3gpuE5ELNS1_3repE0EEENS1_30default_config_static_selectorELNS0_4arch9wavefront6targetE1EEEvT1_: ; @_ZN7rocprim17ROCPRIM_400000_NS6detail17trampoline_kernelINS0_14default_configENS1_35adjacent_difference_config_selectorILb1EjEEZNS1_24adjacent_difference_implIS3_Lb1ELb0EPKjPjN6thrust23THRUST_200600_302600_NS4plusIjEEEE10hipError_tPvRmT2_T3_mT4_P12ihipStream_tbEUlT_E_NS1_11comp_targetILNS1_3genE10ELNS1_11target_archE1201ELNS1_3gpuE5ELNS1_3repE0EEENS1_30default_config_static_selectorELNS0_4arch9wavefront6targetE1EEEvT1_
; %bb.0:
	.section	.rodata,"a",@progbits
	.p2align	6, 0x0
	.amdhsa_kernel _ZN7rocprim17ROCPRIM_400000_NS6detail17trampoline_kernelINS0_14default_configENS1_35adjacent_difference_config_selectorILb1EjEEZNS1_24adjacent_difference_implIS3_Lb1ELb0EPKjPjN6thrust23THRUST_200600_302600_NS4plusIjEEEE10hipError_tPvRmT2_T3_mT4_P12ihipStream_tbEUlT_E_NS1_11comp_targetILNS1_3genE10ELNS1_11target_archE1201ELNS1_3gpuE5ELNS1_3repE0EEENS1_30default_config_static_selectorELNS0_4arch9wavefront6targetE1EEEvT1_
		.amdhsa_group_segment_fixed_size 0
		.amdhsa_private_segment_fixed_size 0
		.amdhsa_kernarg_size 56
		.amdhsa_user_sgpr_count 2
		.amdhsa_user_sgpr_dispatch_ptr 0
		.amdhsa_user_sgpr_queue_ptr 0
		.amdhsa_user_sgpr_kernarg_segment_ptr 1
		.amdhsa_user_sgpr_dispatch_id 0
		.amdhsa_user_sgpr_kernarg_preload_length 0
		.amdhsa_user_sgpr_kernarg_preload_offset 0
		.amdhsa_user_sgpr_private_segment_size 0
		.amdhsa_uses_dynamic_stack 0
		.amdhsa_enable_private_segment 0
		.amdhsa_system_sgpr_workgroup_id_x 1
		.amdhsa_system_sgpr_workgroup_id_y 0
		.amdhsa_system_sgpr_workgroup_id_z 0
		.amdhsa_system_sgpr_workgroup_info 0
		.amdhsa_system_vgpr_workitem_id 0
		.amdhsa_next_free_vgpr 1
		.amdhsa_next_free_sgpr 0
		.amdhsa_accum_offset 4
		.amdhsa_reserve_vcc 0
		.amdhsa_float_round_mode_32 0
		.amdhsa_float_round_mode_16_64 0
		.amdhsa_float_denorm_mode_32 3
		.amdhsa_float_denorm_mode_16_64 3
		.amdhsa_dx10_clamp 1
		.amdhsa_ieee_mode 1
		.amdhsa_fp16_overflow 0
		.amdhsa_tg_split 0
		.amdhsa_exception_fp_ieee_invalid_op 0
		.amdhsa_exception_fp_denorm_src 0
		.amdhsa_exception_fp_ieee_div_zero 0
		.amdhsa_exception_fp_ieee_overflow 0
		.amdhsa_exception_fp_ieee_underflow 0
		.amdhsa_exception_fp_ieee_inexact 0
		.amdhsa_exception_int_div_zero 0
	.end_amdhsa_kernel
	.section	.text._ZN7rocprim17ROCPRIM_400000_NS6detail17trampoline_kernelINS0_14default_configENS1_35adjacent_difference_config_selectorILb1EjEEZNS1_24adjacent_difference_implIS3_Lb1ELb0EPKjPjN6thrust23THRUST_200600_302600_NS4plusIjEEEE10hipError_tPvRmT2_T3_mT4_P12ihipStream_tbEUlT_E_NS1_11comp_targetILNS1_3genE10ELNS1_11target_archE1201ELNS1_3gpuE5ELNS1_3repE0EEENS1_30default_config_static_selectorELNS0_4arch9wavefront6targetE1EEEvT1_,"axG",@progbits,_ZN7rocprim17ROCPRIM_400000_NS6detail17trampoline_kernelINS0_14default_configENS1_35adjacent_difference_config_selectorILb1EjEEZNS1_24adjacent_difference_implIS3_Lb1ELb0EPKjPjN6thrust23THRUST_200600_302600_NS4plusIjEEEE10hipError_tPvRmT2_T3_mT4_P12ihipStream_tbEUlT_E_NS1_11comp_targetILNS1_3genE10ELNS1_11target_archE1201ELNS1_3gpuE5ELNS1_3repE0EEENS1_30default_config_static_selectorELNS0_4arch9wavefront6targetE1EEEvT1_,comdat
.Lfunc_end609:
	.size	_ZN7rocprim17ROCPRIM_400000_NS6detail17trampoline_kernelINS0_14default_configENS1_35adjacent_difference_config_selectorILb1EjEEZNS1_24adjacent_difference_implIS3_Lb1ELb0EPKjPjN6thrust23THRUST_200600_302600_NS4plusIjEEEE10hipError_tPvRmT2_T3_mT4_P12ihipStream_tbEUlT_E_NS1_11comp_targetILNS1_3genE10ELNS1_11target_archE1201ELNS1_3gpuE5ELNS1_3repE0EEENS1_30default_config_static_selectorELNS0_4arch9wavefront6targetE1EEEvT1_, .Lfunc_end609-_ZN7rocprim17ROCPRIM_400000_NS6detail17trampoline_kernelINS0_14default_configENS1_35adjacent_difference_config_selectorILb1EjEEZNS1_24adjacent_difference_implIS3_Lb1ELb0EPKjPjN6thrust23THRUST_200600_302600_NS4plusIjEEEE10hipError_tPvRmT2_T3_mT4_P12ihipStream_tbEUlT_E_NS1_11comp_targetILNS1_3genE10ELNS1_11target_archE1201ELNS1_3gpuE5ELNS1_3repE0EEENS1_30default_config_static_selectorELNS0_4arch9wavefront6targetE1EEEvT1_
                                        ; -- End function
	.section	.AMDGPU.csdata,"",@progbits
; Kernel info:
; codeLenInByte = 0
; NumSgprs: 6
; NumVgprs: 0
; NumAgprs: 0
; TotalNumVgprs: 0
; ScratchSize: 0
; MemoryBound: 0
; FloatMode: 240
; IeeeMode: 1
; LDSByteSize: 0 bytes/workgroup (compile time only)
; SGPRBlocks: 0
; VGPRBlocks: 0
; NumSGPRsForWavesPerEU: 6
; NumVGPRsForWavesPerEU: 1
; AccumOffset: 4
; Occupancy: 8
; WaveLimiterHint : 0
; COMPUTE_PGM_RSRC2:SCRATCH_EN: 0
; COMPUTE_PGM_RSRC2:USER_SGPR: 2
; COMPUTE_PGM_RSRC2:TRAP_HANDLER: 0
; COMPUTE_PGM_RSRC2:TGID_X_EN: 1
; COMPUTE_PGM_RSRC2:TGID_Y_EN: 0
; COMPUTE_PGM_RSRC2:TGID_Z_EN: 0
; COMPUTE_PGM_RSRC2:TIDIG_COMP_CNT: 0
; COMPUTE_PGM_RSRC3_GFX90A:ACCUM_OFFSET: 0
; COMPUTE_PGM_RSRC3_GFX90A:TG_SPLIT: 0
	.section	.text._ZN7rocprim17ROCPRIM_400000_NS6detail17trampoline_kernelINS0_14default_configENS1_35adjacent_difference_config_selectorILb1EjEEZNS1_24adjacent_difference_implIS3_Lb1ELb0EPKjPjN6thrust23THRUST_200600_302600_NS4plusIjEEEE10hipError_tPvRmT2_T3_mT4_P12ihipStream_tbEUlT_E_NS1_11comp_targetILNS1_3genE5ELNS1_11target_archE942ELNS1_3gpuE9ELNS1_3repE0EEENS1_30default_config_static_selectorELNS0_4arch9wavefront6targetE1EEEvT1_,"axG",@progbits,_ZN7rocprim17ROCPRIM_400000_NS6detail17trampoline_kernelINS0_14default_configENS1_35adjacent_difference_config_selectorILb1EjEEZNS1_24adjacent_difference_implIS3_Lb1ELb0EPKjPjN6thrust23THRUST_200600_302600_NS4plusIjEEEE10hipError_tPvRmT2_T3_mT4_P12ihipStream_tbEUlT_E_NS1_11comp_targetILNS1_3genE5ELNS1_11target_archE942ELNS1_3gpuE9ELNS1_3repE0EEENS1_30default_config_static_selectorELNS0_4arch9wavefront6targetE1EEEvT1_,comdat
	.protected	_ZN7rocprim17ROCPRIM_400000_NS6detail17trampoline_kernelINS0_14default_configENS1_35adjacent_difference_config_selectorILb1EjEEZNS1_24adjacent_difference_implIS3_Lb1ELb0EPKjPjN6thrust23THRUST_200600_302600_NS4plusIjEEEE10hipError_tPvRmT2_T3_mT4_P12ihipStream_tbEUlT_E_NS1_11comp_targetILNS1_3genE5ELNS1_11target_archE942ELNS1_3gpuE9ELNS1_3repE0EEENS1_30default_config_static_selectorELNS0_4arch9wavefront6targetE1EEEvT1_ ; -- Begin function _ZN7rocprim17ROCPRIM_400000_NS6detail17trampoline_kernelINS0_14default_configENS1_35adjacent_difference_config_selectorILb1EjEEZNS1_24adjacent_difference_implIS3_Lb1ELb0EPKjPjN6thrust23THRUST_200600_302600_NS4plusIjEEEE10hipError_tPvRmT2_T3_mT4_P12ihipStream_tbEUlT_E_NS1_11comp_targetILNS1_3genE5ELNS1_11target_archE942ELNS1_3gpuE9ELNS1_3repE0EEENS1_30default_config_static_selectorELNS0_4arch9wavefront6targetE1EEEvT1_
	.globl	_ZN7rocprim17ROCPRIM_400000_NS6detail17trampoline_kernelINS0_14default_configENS1_35adjacent_difference_config_selectorILb1EjEEZNS1_24adjacent_difference_implIS3_Lb1ELb0EPKjPjN6thrust23THRUST_200600_302600_NS4plusIjEEEE10hipError_tPvRmT2_T3_mT4_P12ihipStream_tbEUlT_E_NS1_11comp_targetILNS1_3genE5ELNS1_11target_archE942ELNS1_3gpuE9ELNS1_3repE0EEENS1_30default_config_static_selectorELNS0_4arch9wavefront6targetE1EEEvT1_
	.p2align	8
	.type	_ZN7rocprim17ROCPRIM_400000_NS6detail17trampoline_kernelINS0_14default_configENS1_35adjacent_difference_config_selectorILb1EjEEZNS1_24adjacent_difference_implIS3_Lb1ELb0EPKjPjN6thrust23THRUST_200600_302600_NS4plusIjEEEE10hipError_tPvRmT2_T3_mT4_P12ihipStream_tbEUlT_E_NS1_11comp_targetILNS1_3genE5ELNS1_11target_archE942ELNS1_3gpuE9ELNS1_3repE0EEENS1_30default_config_static_selectorELNS0_4arch9wavefront6targetE1EEEvT1_,@function
_ZN7rocprim17ROCPRIM_400000_NS6detail17trampoline_kernelINS0_14default_configENS1_35adjacent_difference_config_selectorILb1EjEEZNS1_24adjacent_difference_implIS3_Lb1ELb0EPKjPjN6thrust23THRUST_200600_302600_NS4plusIjEEEE10hipError_tPvRmT2_T3_mT4_P12ihipStream_tbEUlT_E_NS1_11comp_targetILNS1_3genE5ELNS1_11target_archE942ELNS1_3gpuE9ELNS1_3repE0EEENS1_30default_config_static_selectorELNS0_4arch9wavefront6targetE1EEEvT1_: ; @_ZN7rocprim17ROCPRIM_400000_NS6detail17trampoline_kernelINS0_14default_configENS1_35adjacent_difference_config_selectorILb1EjEEZNS1_24adjacent_difference_implIS3_Lb1ELb0EPKjPjN6thrust23THRUST_200600_302600_NS4plusIjEEEE10hipError_tPvRmT2_T3_mT4_P12ihipStream_tbEUlT_E_NS1_11comp_targetILNS1_3genE5ELNS1_11target_archE942ELNS1_3gpuE9ELNS1_3repE0EEENS1_30default_config_static_selectorELNS0_4arch9wavefront6targetE1EEEvT1_
; %bb.0:
	s_load_dwordx8 s[4:11], s[0:1], 0x0
	s_load_dwordx4 s[12:15], s[0:1], 0x28
	s_mov_b32 s0, 0x59999780
	s_movk_i32 s16, 0xa00
	s_mov_b32 s3, 0
	s_waitcnt lgkmcnt(0)
	s_lshl_b64 s[6:7], s[6:7], 2
	s_add_u32 s26, s4, s6
	s_addc_u32 s27, s5, s7
	s_add_u32 s0, 0xe0, s0
	s_addc_u32 s5, 0, 0
	v_add_co_u32_e64 v1, s[0:1], s0, 2.0
	s_cmp_lg_u64 s[0:1], 0
	s_addc_u32 s0, s5, 0x199999
	v_readfirstlane_b32 s5, v1
	s_mul_hi_u32 s17, s5, 0xfffff600
	s_mul_i32 s1, s0, 0xfffff600
	s_sub_i32 s17, s17, s5
	s_add_i32 s17, s17, s1
	s_mul_i32 s19, s5, 0xfffff600
	s_mul_hi_u32 s1, s5, s17
	s_mul_i32 s18, s5, s17
	s_mul_hi_u32 s5, s5, s19
	s_add_u32 s5, s5, s18
	s_addc_u32 s1, 0, s1
	s_mul_hi_u32 s20, s0, s19
	s_mul_i32 s19, s0, s19
	s_add_u32 s5, s5, s19
	s_mul_hi_u32 s18, s0, s17
	s_addc_u32 s1, s1, s20
	s_addc_u32 s5, s18, 0
	s_mul_i32 s17, s0, s17
	s_add_u32 s1, s1, s17
	s_addc_u32 s5, 0, s5
	v_add_co_u32_e32 v1, vcc, s1, v1
	s_cmp_lg_u64 vcc, 0
	s_addc_u32 s0, s0, s5
	v_readfirstlane_b32 s17, v1
	s_mul_i32 s5, s10, s0
	s_mul_hi_u32 s18, s10, s17
	s_mul_hi_u32 s1, s10, s0
	s_add_u32 s5, s18, s5
	s_addc_u32 s1, 0, s1
	s_mul_hi_u32 s19, s11, s17
	s_mul_i32 s17, s11, s17
	s_add_u32 s5, s5, s17
	s_mul_hi_u32 s18, s11, s0
	s_addc_u32 s1, s1, s19
	s_addc_u32 s5, s18, 0
	s_mul_i32 s0, s11, s0
	s_add_u32 s0, s1, s0
	s_addc_u32 s1, 0, s5
	s_add_u32 s5, s0, 1
	s_addc_u32 s17, s1, 0
	s_add_u32 s18, s0, 2
	s_mul_i32 s20, s1, 0xa00
	s_mul_hi_u32 s21, s0, 0xa00
	s_addc_u32 s19, s1, 0
	s_add_i32 s21, s21, s20
	s_mul_i32 s20, s0, 0xa00
	v_mov_b32_e32 v1, s20
	v_sub_co_u32_e32 v1, vcc, s10, v1
	s_cmp_lg_u64 vcc, 0
	s_subb_u32 s20, s11, s21
	v_subrev_co_u32_e32 v2, vcc, s16, v1
	s_cmp_lg_u64 vcc, 0
	s_subb_u32 s16, s20, 0
	v_readfirstlane_b32 s21, v2
	s_cmpk_gt_u32 s21, 0x9ff
	s_cselect_b32 s21, -1, 0
	s_cmp_eq_u32 s16, 0
	s_cselect_b32 s16, s21, -1
	s_cmp_lg_u32 s16, 0
	s_cselect_b32 s16, s19, s17
	v_readfirstlane_b32 s17, v1
	s_cselect_b32 s5, s18, s5
	s_cmpk_gt_u32 s17, 0x9ff
	s_cselect_b32 s17, -1, 0
	s_cmp_eq_u32 s20, 0
	s_cselect_b32 s17, s17, -1
	s_cmp_lg_u32 s17, 0
	s_cselect_b32 s17, s16, s1
	s_cselect_b32 s5, s5, s0
	s_mul_i32 s0, s17, 0xa00
	s_mul_hi_u32 s1, s5, 0xa00
	s_add_i32 s1, s1, s0
	s_mul_i32 s0, s5, 0xa00
	s_sub_u32 s0, s10, s0
	s_subb_u32 s1, s11, s1
	s_cmp_lg_u64 s[0:1], 0
	s_cselect_b64 s[0:1], -1, 0
	v_cndmask_b32_e64 v1, 0, 1, s[0:1]
	s_mul_i32 s4, s2, 0xa00
	v_readfirstlane_b32 s0, v1
	s_add_u32 s16, s5, s0
	s_addc_u32 s17, s17, 0
	s_add_u32 s18, s14, s2
	s_addc_u32 s19, s15, 0
	s_add_u32 s20, s16, -1
	s_addc_u32 s21, s17, -1
	v_mov_b64_e32 v[2:3], s[20:21]
	v_cmp_ge_u64_e64 s[0:1], s[18:19], v[2:3]
	s_mov_b64 s[22:23], -1
	s_and_b64 vcc, exec, s[0:1]
	s_mul_i32 s11, s20, 0xfffff600
	s_cbranch_vccz .LBB610_12
; %bb.1:
	s_mov_b32 s5, s3
	s_add_i32 s28, s11, s10
	s_lshl_b64 s[22:23], s[4:5], 2
	s_add_u32 s22, s26, s22
	s_addc_u32 s23, s27, s23
	v_cmp_gt_u32_e32 vcc, s28, v0
                                        ; implicit-def: $vgpr2_vgpr3_vgpr4_vgpr5_vgpr6
	s_and_saveexec_b64 s[24:25], vcc
	s_cbranch_execz .LBB610_3
; %bb.2:
	v_lshlrev_b32_e32 v1, 2, v0
	global_load_dword v2, v1, s[22:23]
.LBB610_3:
	s_or_b64 exec, exec, s[24:25]
	v_or_b32_e32 v1, 0x200, v0
	v_cmp_gt_u32_e32 vcc, s28, v1
	s_and_saveexec_b64 s[24:25], vcc
	s_cbranch_execz .LBB610_5
; %bb.4:
	v_lshlrev_b32_e32 v1, 2, v0
	global_load_dword v3, v1, s[22:23] offset:2048
.LBB610_5:
	s_or_b64 exec, exec, s[24:25]
	v_or_b32_e32 v1, 0x400, v0
	v_cmp_gt_u32_e32 vcc, s28, v1
	s_and_saveexec_b64 s[24:25], vcc
	s_cbranch_execz .LBB610_7
; %bb.6:
	v_lshlrev_b32_e32 v1, 2, v1
	global_load_dword v4, v1, s[22:23]
.LBB610_7:
	s_or_b64 exec, exec, s[24:25]
	v_or_b32_e32 v1, 0x600, v0
	v_cmp_gt_u32_e32 vcc, s28, v1
	s_and_saveexec_b64 s[24:25], vcc
	s_cbranch_execz .LBB610_9
; %bb.8:
	v_lshlrev_b32_e32 v1, 2, v1
	global_load_dword v5, v1, s[22:23]
.LBB610_9:
	;; [unrolled: 9-line block ×3, first 2 shown]
	s_or_b64 exec, exec, s[24:25]
	v_lshlrev_b32_e32 v1, 2, v0
	s_mov_b64 s[22:23], 0
	s_waitcnt vmcnt(0)
	ds_write2st64_b32 v1, v2, v3 offset1:8
	ds_write2st64_b32 v1, v4, v5 offset0:16 offset1:24
	ds_write_b32 v1, v6 offset:8192
	s_waitcnt lgkmcnt(0)
	s_barrier
.LBB610_12:
	s_and_b64 vcc, exec, s[22:23]
	v_lshlrev_b32_e32 v20, 2, v0
	s_cbranch_vccz .LBB610_14
; %bb.13:
	s_mov_b32 s5, 0
	s_lshl_b64 s[22:23], s[4:5], 2
	s_add_u32 s22, s26, s22
	s_addc_u32 s23, s27, s23
	v_mov_b32_e32 v21, 0
	v_lshl_add_u64 v[2:3], s[22:23], 0, v[20:21]
	v_add_co_u32_e32 v4, vcc, 0x1000, v2
	global_load_dword v1, v20, s[22:23]
	global_load_dword v6, v20, s[22:23] offset:2048
	v_addc_co_u32_e32 v5, vcc, 0, v3, vcc
	global_load_dword v7, v[4:5], off
	global_load_dword v8, v[4:5], off offset:2048
	v_add_co_u32_e32 v2, vcc, 0x2000, v2
	s_nop 1
	v_addc_co_u32_e32 v3, vcc, 0, v3, vcc
	global_load_dword v2, v[2:3], off
	s_waitcnt vmcnt(3)
	ds_write2st64_b32 v20, v1, v6 offset1:8
	s_waitcnt vmcnt(1)
	ds_write2st64_b32 v20, v7, v8 offset0:16 offset1:24
	s_waitcnt vmcnt(0)
	ds_write_b32 v20, v2 offset:8192
	s_waitcnt lgkmcnt(0)
	s_barrier
.LBB610_14:
	v_mul_u32_u24_e32 v1, 5, v0
	v_lshlrev_b32_e32 v1, 2, v1
	ds_read_b32 v2, v1
	ds_read2_b32 v[22:23], v1 offset0:1 offset1:2
	ds_read2_b32 v[24:25], v1 offset0:3 offset1:4
	s_cmp_eq_u64 s[18:19], 0
	s_waitcnt lgkmcnt(0)
	s_barrier
	s_cbranch_scc1 .LBB610_19
; %bb.15:
	s_lshl_b64 s[14:15], s[14:15], 2
	s_add_u32 s5, s12, s14
	s_addc_u32 s12, s13, s15
	s_lshl_b64 s[2:3], s[2:3], 2
	s_add_u32 s2, s5, s2
	s_addc_u32 s3, s12, s3
	s_add_u32 s2, s2, -4
	s_addc_u32 s3, s3, -1
	s_load_dword s5, s[2:3], 0x0
	s_cmp_eq_u64 s[18:19], s[20:21]
	s_cbranch_scc1 .LBB610_20
; %bb.16:
	v_cmp_ne_u32_e32 vcc, 0, v0
	s_waitcnt lgkmcnt(0)
	v_mov_b32_e32 v1, s5
	ds_write_b32 v20, v25
	s_waitcnt lgkmcnt(0)
	s_barrier
	s_and_saveexec_b64 s[2:3], vcc
	s_cbranch_execz .LBB610_18
; %bb.17:
	v_add_u32_e32 v1, -4, v20
	ds_read_b32 v1, v1
.LBB610_18:
	s_or_b64 exec, exec, s[2:3]
	v_add_u32_e32 v8, v25, v24
	v_add_u32_e32 v9, v24, v23
	v_add_u32_e32 v12, v23, v22
	v_add_u32_e32 v15, v22, v2
	s_cbranch_execz .LBB610_21
	s_branch .LBB610_24
.LBB610_19:
                                        ; implicit-def: $vgpr14_vgpr15_vgpr16_vgpr17_vgpr18
                                        ; implicit-def: $vgpr10_vgpr11_vgpr12_vgpr13_vgpr14
	s_mov_b64 s[12:13], 0
                                        ; implicit-def: $vgpr6_vgpr7_vgpr8_vgpr9_vgpr10
                                        ; implicit-def: $vgpr1
                                        ; implicit-def: $vgpr4_vgpr5_vgpr6_vgpr7_vgpr8
	s_branch .LBB610_25
.LBB610_20:
                                        ; implicit-def: $vgpr14_vgpr15_vgpr16_vgpr17_vgpr18
                                        ; implicit-def: $vgpr10_vgpr11_vgpr12_vgpr13_vgpr14
                                        ; implicit-def: $vgpr1
                                        ; implicit-def: $vgpr6_vgpr7_vgpr8_vgpr9_vgpr10
                                        ; implicit-def: $vgpr4_vgpr5_vgpr6_vgpr7_vgpr8
.LBB610_21:
	s_waitcnt lgkmcnt(0)
	v_mul_u32_u24_e32 v1, 5, v0
	v_cmp_ne_u32_e32 vcc, 0, v0
	v_mov_b32_e32 v3, s5
	ds_write_b32 v20, v25
	s_waitcnt lgkmcnt(0)
	s_barrier
	s_and_saveexec_b64 s[2:3], vcc
	s_cbranch_execz .LBB610_23
; %bb.22:
	v_add_u32_e32 v3, -4, v20
	ds_read_b32 v3, v3
.LBB610_23:
	s_or_b64 exec, exec, s[2:3]
	s_mul_i32 s2, s18, 0xfffff600
	s_add_i32 s2, s2, s10
	v_add_u32_e32 v4, 4, v1
	v_add_u32_e32 v5, v25, v24
	v_cmp_gt_u32_e32 vcc, s2, v4
	v_add_u32_e32 v4, 3, v1
	s_nop 0
	v_cndmask_b32_e32 v8, v25, v5, vcc
	v_add_u32_e32 v5, v24, v23
	v_cmp_gt_u32_e32 vcc, s2, v4
	v_add_u32_e32 v4, 2, v1
	s_nop 0
	v_cndmask_b32_e32 v9, v24, v5, vcc
	;; [unrolled: 5-line block ×3, first 2 shown]
	v_add_u32_e32 v5, v22, v2
	v_cmp_gt_u32_e32 vcc, s2, v4
	s_nop 1
	v_cndmask_b32_e32 v15, v22, v5, vcc
	v_cmp_gt_u32_e32 vcc, s2, v1
	s_waitcnt lgkmcnt(0)
	s_nop 0
	v_cndmask_b32_e32 v1, 0, v3, vcc
.LBB610_24:
	s_mov_b64 s[12:13], -1
	s_cbranch_execnz .LBB610_33
.LBB610_25:
	s_cmp_lg_u64 s[16:17], 1
	v_add_u32_e32 v9, v24, v23
	v_add_u32_e32 v8, v25, v24
	;; [unrolled: 1-line block ×4, first 2 shown]
	v_cmp_ne_u32_e32 vcc, 0, v0
	s_cbranch_scc0 .LBB610_29
; %bb.26:
	ds_write_b32 v20, v25
	s_waitcnt lgkmcnt(0)
	s_barrier
	s_waitcnt lgkmcnt(0)
                                        ; implicit-def: $vgpr1
	s_and_saveexec_b64 s[2:3], vcc
	s_cbranch_execz .LBB610_28
; %bb.27:
	v_add_u32_e32 v1, -4, v20
	ds_read_b32 v1, v1
	s_or_b64 s[12:13], s[12:13], exec
.LBB610_28:
	s_or_b64 exec, exec, s[2:3]
	s_branch .LBB610_33
.LBB610_29:
                                        ; implicit-def: $vgpr1
	s_cbranch_execz .LBB610_33
; %bb.30:
	v_mad_u32_u24 v3, v0, 5, 4
	v_cmp_gt_u32_e32 vcc, s10, v3
	v_mad_u32_u24 v3, v0, 5, 3
	s_waitcnt lgkmcnt(0)
	v_mul_u32_u24_e32 v1, 5, v0
	v_cndmask_b32_e32 v8, v25, v8, vcc
	v_cmp_gt_u32_e32 vcc, s10, v3
	v_mad_u32_u24 v3, v0, 5, 2
	v_cmp_gt_u32_e64 s[2:3], s10, v1
	v_cndmask_b32_e32 v9, v24, v9, vcc
	v_cmp_gt_u32_e32 vcc, s10, v3
	v_mad_u32_u24 v3, v0, 5, 1
	ds_write_b32 v20, v25
	v_cndmask_b32_e32 v12, v23, v12, vcc
	v_cmp_gt_u32_e32 vcc, s10, v3
	s_waitcnt lgkmcnt(0)
	s_barrier
	v_cndmask_b32_e32 v15, v22, v15, vcc
	v_cmp_ne_u32_e32 vcc, 0, v0
	s_and_b64 s[14:15], vcc, s[2:3]
	s_waitcnt lgkmcnt(0)
                                        ; implicit-def: $vgpr1
	s_and_saveexec_b64 s[2:3], s[14:15]
	s_cbranch_execz .LBB610_32
; %bb.31:
	v_add_u32_e32 v1, -4, v20
	ds_read_b32 v1, v1
	s_or_b64 s[12:13], s[12:13], exec
.LBB610_32:
	s_or_b64 exec, exec, s[2:3]
.LBB610_33:
	s_and_saveexec_b64 s[2:3], s[12:13]
	s_cbranch_execz .LBB610_35
; %bb.34:
	s_waitcnt lgkmcnt(0)
	v_add_u32_e32 v2, v1, v2
.LBB610_35:
	s_or_b64 exec, exec, s[2:3]
	s_add_u32 s6, s8, s6
	s_addc_u32 s7, s9, s7
	s_and_b64 vcc, exec, s[0:1]
	s_waitcnt lgkmcnt(0)
	v_mul_u32_u24_e32 v1, 20, v0
	v_lshlrev_b32_e32 v3, 4, v0
	s_barrier
	s_cbranch_vccz .LBB610_45
; %bb.36:
	v_sub_u32_e32 v4, v1, v3
	s_mov_b32 s5, 0
	ds_write2_b32 v1, v2, v15 offset1:1
	ds_write2_b32 v1, v12, v9 offset0:2 offset1:3
	ds_write_b32 v1, v8 offset:16
	s_waitcnt lgkmcnt(0)
	s_barrier
	ds_read2st64_b32 v[10:11], v4 offset0:8 offset1:16
	ds_read2st64_b32 v[4:5], v4 offset0:24 offset1:32
	s_add_i32 s11, s11, s10
	s_lshl_b64 s[0:1], s[4:5], 2
	s_add_u32 s0, s6, s0
	s_addc_u32 s1, s7, s1
	v_mov_b32_e32 v21, 0
	v_lshl_add_u64 v[6:7], s[0:1], 0, v[20:21]
	v_cmp_gt_u32_e32 vcc, s11, v0
	s_and_saveexec_b64 s[0:1], vcc
	s_cbranch_execz .LBB610_38
; %bb.37:
	v_sub_u32_e32 v13, 0, v3
	v_add_u32_e32 v13, v1, v13
	ds_read_b32 v13, v13
	s_waitcnt lgkmcnt(0)
	global_store_dword v[6:7], v13, off
.LBB610_38:
	s_or_b64 exec, exec, s[0:1]
	v_or_b32_e32 v13, 0x200, v0
	v_cmp_gt_u32_e32 vcc, s11, v13
	s_and_saveexec_b64 s[0:1], vcc
	s_cbranch_execz .LBB610_40
; %bb.39:
	s_waitcnt lgkmcnt(1)
	global_store_dword v[6:7], v10, off offset:2048
.LBB610_40:
	s_or_b64 exec, exec, s[0:1]
	s_waitcnt lgkmcnt(1)
	v_or_b32_e32 v10, 0x400, v0
	v_cmp_gt_u32_e32 vcc, s11, v10
	s_and_saveexec_b64 s[0:1], vcc
	s_cbranch_execz .LBB610_42
; %bb.41:
	v_add_co_u32_e32 v16, vcc, 0x1000, v6
	s_nop 1
	v_addc_co_u32_e32 v17, vcc, 0, v7, vcc
	global_store_dword v[16:17], v11, off
.LBB610_42:
	s_or_b64 exec, exec, s[0:1]
	v_or_b32_e32 v10, 0x600, v0
	v_cmp_gt_u32_e32 vcc, s11, v10
	s_and_saveexec_b64 s[0:1], vcc
	s_cbranch_execz .LBB610_44
; %bb.43:
	v_add_co_u32_e32 v10, vcc, 0x1000, v6
	s_nop 1
	v_addc_co_u32_e32 v11, vcc, 0, v7, vcc
	s_waitcnt lgkmcnt(0)
	global_store_dword v[10:11], v4, off offset:2048
.LBB610_44:
	s_or_b64 exec, exec, s[0:1]
	v_or_b32_e32 v0, 0x800, v0
	v_cmp_gt_u32_e64 s[0:1], s11, v0
	s_branch .LBB610_47
.LBB610_45:
	s_mov_b64 s[0:1], 0
                                        ; implicit-def: $vgpr5
                                        ; implicit-def: $vgpr6_vgpr7
	s_cbranch_execz .LBB610_47
; %bb.46:
	s_mov_b32 s5, 0
	s_lshl_b64 s[2:3], s[4:5], 2
	s_waitcnt lgkmcnt(0)
	v_sub_u32_e32 v4, v1, v3
	s_add_u32 s2, s6, s2
	ds_write2_b32 v1, v2, v15 offset1:1
	ds_write2_b32 v1, v12, v9 offset0:2 offset1:3
	ds_write_b32 v1, v8 offset:16
	s_waitcnt lgkmcnt(0)
	s_barrier
	ds_read2st64_b32 v[0:1], v4 offset1:8
	ds_read2st64_b32 v[2:3], v4 offset0:16 offset1:24
	ds_read_b32 v5, v4 offset:8192
	s_addc_u32 s3, s7, s3
	v_mov_b32_e32 v21, 0
	v_lshl_add_u64 v[6:7], s[2:3], 0, v[20:21]
	s_waitcnt lgkmcnt(2)
	global_store_dword v20, v0, s[2:3]
	global_store_dword v20, v1, s[2:3] offset:2048
	v_add_co_u32_e32 v0, vcc, 0x1000, v6
	s_or_b64 s[0:1], s[0:1], exec
	s_nop 0
	v_addc_co_u32_e32 v1, vcc, 0, v7, vcc
	s_waitcnt lgkmcnt(1)
	global_store_dword v[0:1], v2, off
	global_store_dword v[0:1], v3, off offset:2048
.LBB610_47:
	s_and_saveexec_b64 s[2:3], s[0:1]
	s_cbranch_execnz .LBB610_49
; %bb.48:
	s_endpgm
.LBB610_49:
	v_add_co_u32_e32 v0, vcc, 0x2000, v6
	s_nop 1
	v_addc_co_u32_e32 v1, vcc, 0, v7, vcc
	s_waitcnt lgkmcnt(0)
	global_store_dword v[0:1], v5, off
	s_endpgm
	.section	.rodata,"a",@progbits
	.p2align	6, 0x0
	.amdhsa_kernel _ZN7rocprim17ROCPRIM_400000_NS6detail17trampoline_kernelINS0_14default_configENS1_35adjacent_difference_config_selectorILb1EjEEZNS1_24adjacent_difference_implIS3_Lb1ELb0EPKjPjN6thrust23THRUST_200600_302600_NS4plusIjEEEE10hipError_tPvRmT2_T3_mT4_P12ihipStream_tbEUlT_E_NS1_11comp_targetILNS1_3genE5ELNS1_11target_archE942ELNS1_3gpuE9ELNS1_3repE0EEENS1_30default_config_static_selectorELNS0_4arch9wavefront6targetE1EEEvT1_
		.amdhsa_group_segment_fixed_size 10240
		.amdhsa_private_segment_fixed_size 0
		.amdhsa_kernarg_size 56
		.amdhsa_user_sgpr_count 2
		.amdhsa_user_sgpr_dispatch_ptr 0
		.amdhsa_user_sgpr_queue_ptr 0
		.amdhsa_user_sgpr_kernarg_segment_ptr 1
		.amdhsa_user_sgpr_dispatch_id 0
		.amdhsa_user_sgpr_kernarg_preload_length 0
		.amdhsa_user_sgpr_kernarg_preload_offset 0
		.amdhsa_user_sgpr_private_segment_size 0
		.amdhsa_uses_dynamic_stack 0
		.amdhsa_enable_private_segment 0
		.amdhsa_system_sgpr_workgroup_id_x 1
		.amdhsa_system_sgpr_workgroup_id_y 0
		.amdhsa_system_sgpr_workgroup_id_z 0
		.amdhsa_system_sgpr_workgroup_info 0
		.amdhsa_system_vgpr_workitem_id 0
		.amdhsa_next_free_vgpr 26
		.amdhsa_next_free_sgpr 29
		.amdhsa_accum_offset 28
		.amdhsa_reserve_vcc 1
		.amdhsa_float_round_mode_32 0
		.amdhsa_float_round_mode_16_64 0
		.amdhsa_float_denorm_mode_32 3
		.amdhsa_float_denorm_mode_16_64 3
		.amdhsa_dx10_clamp 1
		.amdhsa_ieee_mode 1
		.amdhsa_fp16_overflow 0
		.amdhsa_tg_split 0
		.amdhsa_exception_fp_ieee_invalid_op 0
		.amdhsa_exception_fp_denorm_src 0
		.amdhsa_exception_fp_ieee_div_zero 0
		.amdhsa_exception_fp_ieee_overflow 0
		.amdhsa_exception_fp_ieee_underflow 0
		.amdhsa_exception_fp_ieee_inexact 0
		.amdhsa_exception_int_div_zero 0
	.end_amdhsa_kernel
	.section	.text._ZN7rocprim17ROCPRIM_400000_NS6detail17trampoline_kernelINS0_14default_configENS1_35adjacent_difference_config_selectorILb1EjEEZNS1_24adjacent_difference_implIS3_Lb1ELb0EPKjPjN6thrust23THRUST_200600_302600_NS4plusIjEEEE10hipError_tPvRmT2_T3_mT4_P12ihipStream_tbEUlT_E_NS1_11comp_targetILNS1_3genE5ELNS1_11target_archE942ELNS1_3gpuE9ELNS1_3repE0EEENS1_30default_config_static_selectorELNS0_4arch9wavefront6targetE1EEEvT1_,"axG",@progbits,_ZN7rocprim17ROCPRIM_400000_NS6detail17trampoline_kernelINS0_14default_configENS1_35adjacent_difference_config_selectorILb1EjEEZNS1_24adjacent_difference_implIS3_Lb1ELb0EPKjPjN6thrust23THRUST_200600_302600_NS4plusIjEEEE10hipError_tPvRmT2_T3_mT4_P12ihipStream_tbEUlT_E_NS1_11comp_targetILNS1_3genE5ELNS1_11target_archE942ELNS1_3gpuE9ELNS1_3repE0EEENS1_30default_config_static_selectorELNS0_4arch9wavefront6targetE1EEEvT1_,comdat
.Lfunc_end610:
	.size	_ZN7rocprim17ROCPRIM_400000_NS6detail17trampoline_kernelINS0_14default_configENS1_35adjacent_difference_config_selectorILb1EjEEZNS1_24adjacent_difference_implIS3_Lb1ELb0EPKjPjN6thrust23THRUST_200600_302600_NS4plusIjEEEE10hipError_tPvRmT2_T3_mT4_P12ihipStream_tbEUlT_E_NS1_11comp_targetILNS1_3genE5ELNS1_11target_archE942ELNS1_3gpuE9ELNS1_3repE0EEENS1_30default_config_static_selectorELNS0_4arch9wavefront6targetE1EEEvT1_, .Lfunc_end610-_ZN7rocprim17ROCPRIM_400000_NS6detail17trampoline_kernelINS0_14default_configENS1_35adjacent_difference_config_selectorILb1EjEEZNS1_24adjacent_difference_implIS3_Lb1ELb0EPKjPjN6thrust23THRUST_200600_302600_NS4plusIjEEEE10hipError_tPvRmT2_T3_mT4_P12ihipStream_tbEUlT_E_NS1_11comp_targetILNS1_3genE5ELNS1_11target_archE942ELNS1_3gpuE9ELNS1_3repE0EEENS1_30default_config_static_selectorELNS0_4arch9wavefront6targetE1EEEvT1_
                                        ; -- End function
	.section	.AMDGPU.csdata,"",@progbits
; Kernel info:
; codeLenInByte = 2004
; NumSgprs: 35
; NumVgprs: 26
; NumAgprs: 0
; TotalNumVgprs: 26
; ScratchSize: 0
; MemoryBound: 0
; FloatMode: 240
; IeeeMode: 1
; LDSByteSize: 10240 bytes/workgroup (compile time only)
; SGPRBlocks: 4
; VGPRBlocks: 3
; NumSGPRsForWavesPerEU: 35
; NumVGPRsForWavesPerEU: 26
; AccumOffset: 28
; Occupancy: 8
; WaveLimiterHint : 1
; COMPUTE_PGM_RSRC2:SCRATCH_EN: 0
; COMPUTE_PGM_RSRC2:USER_SGPR: 2
; COMPUTE_PGM_RSRC2:TRAP_HANDLER: 0
; COMPUTE_PGM_RSRC2:TGID_X_EN: 1
; COMPUTE_PGM_RSRC2:TGID_Y_EN: 0
; COMPUTE_PGM_RSRC2:TGID_Z_EN: 0
; COMPUTE_PGM_RSRC2:TIDIG_COMP_CNT: 0
; COMPUTE_PGM_RSRC3_GFX90A:ACCUM_OFFSET: 6
; COMPUTE_PGM_RSRC3_GFX90A:TG_SPLIT: 0
	.section	.text._ZN7rocprim17ROCPRIM_400000_NS6detail17trampoline_kernelINS0_14default_configENS1_35adjacent_difference_config_selectorILb1EjEEZNS1_24adjacent_difference_implIS3_Lb1ELb0EPKjPjN6thrust23THRUST_200600_302600_NS4plusIjEEEE10hipError_tPvRmT2_T3_mT4_P12ihipStream_tbEUlT_E_NS1_11comp_targetILNS1_3genE4ELNS1_11target_archE910ELNS1_3gpuE8ELNS1_3repE0EEENS1_30default_config_static_selectorELNS0_4arch9wavefront6targetE1EEEvT1_,"axG",@progbits,_ZN7rocprim17ROCPRIM_400000_NS6detail17trampoline_kernelINS0_14default_configENS1_35adjacent_difference_config_selectorILb1EjEEZNS1_24adjacent_difference_implIS3_Lb1ELb0EPKjPjN6thrust23THRUST_200600_302600_NS4plusIjEEEE10hipError_tPvRmT2_T3_mT4_P12ihipStream_tbEUlT_E_NS1_11comp_targetILNS1_3genE4ELNS1_11target_archE910ELNS1_3gpuE8ELNS1_3repE0EEENS1_30default_config_static_selectorELNS0_4arch9wavefront6targetE1EEEvT1_,comdat
	.protected	_ZN7rocprim17ROCPRIM_400000_NS6detail17trampoline_kernelINS0_14default_configENS1_35adjacent_difference_config_selectorILb1EjEEZNS1_24adjacent_difference_implIS3_Lb1ELb0EPKjPjN6thrust23THRUST_200600_302600_NS4plusIjEEEE10hipError_tPvRmT2_T3_mT4_P12ihipStream_tbEUlT_E_NS1_11comp_targetILNS1_3genE4ELNS1_11target_archE910ELNS1_3gpuE8ELNS1_3repE0EEENS1_30default_config_static_selectorELNS0_4arch9wavefront6targetE1EEEvT1_ ; -- Begin function _ZN7rocprim17ROCPRIM_400000_NS6detail17trampoline_kernelINS0_14default_configENS1_35adjacent_difference_config_selectorILb1EjEEZNS1_24adjacent_difference_implIS3_Lb1ELb0EPKjPjN6thrust23THRUST_200600_302600_NS4plusIjEEEE10hipError_tPvRmT2_T3_mT4_P12ihipStream_tbEUlT_E_NS1_11comp_targetILNS1_3genE4ELNS1_11target_archE910ELNS1_3gpuE8ELNS1_3repE0EEENS1_30default_config_static_selectorELNS0_4arch9wavefront6targetE1EEEvT1_
	.globl	_ZN7rocprim17ROCPRIM_400000_NS6detail17trampoline_kernelINS0_14default_configENS1_35adjacent_difference_config_selectorILb1EjEEZNS1_24adjacent_difference_implIS3_Lb1ELb0EPKjPjN6thrust23THRUST_200600_302600_NS4plusIjEEEE10hipError_tPvRmT2_T3_mT4_P12ihipStream_tbEUlT_E_NS1_11comp_targetILNS1_3genE4ELNS1_11target_archE910ELNS1_3gpuE8ELNS1_3repE0EEENS1_30default_config_static_selectorELNS0_4arch9wavefront6targetE1EEEvT1_
	.p2align	8
	.type	_ZN7rocprim17ROCPRIM_400000_NS6detail17trampoline_kernelINS0_14default_configENS1_35adjacent_difference_config_selectorILb1EjEEZNS1_24adjacent_difference_implIS3_Lb1ELb0EPKjPjN6thrust23THRUST_200600_302600_NS4plusIjEEEE10hipError_tPvRmT2_T3_mT4_P12ihipStream_tbEUlT_E_NS1_11comp_targetILNS1_3genE4ELNS1_11target_archE910ELNS1_3gpuE8ELNS1_3repE0EEENS1_30default_config_static_selectorELNS0_4arch9wavefront6targetE1EEEvT1_,@function
_ZN7rocprim17ROCPRIM_400000_NS6detail17trampoline_kernelINS0_14default_configENS1_35adjacent_difference_config_selectorILb1EjEEZNS1_24adjacent_difference_implIS3_Lb1ELb0EPKjPjN6thrust23THRUST_200600_302600_NS4plusIjEEEE10hipError_tPvRmT2_T3_mT4_P12ihipStream_tbEUlT_E_NS1_11comp_targetILNS1_3genE4ELNS1_11target_archE910ELNS1_3gpuE8ELNS1_3repE0EEENS1_30default_config_static_selectorELNS0_4arch9wavefront6targetE1EEEvT1_: ; @_ZN7rocprim17ROCPRIM_400000_NS6detail17trampoline_kernelINS0_14default_configENS1_35adjacent_difference_config_selectorILb1EjEEZNS1_24adjacent_difference_implIS3_Lb1ELb0EPKjPjN6thrust23THRUST_200600_302600_NS4plusIjEEEE10hipError_tPvRmT2_T3_mT4_P12ihipStream_tbEUlT_E_NS1_11comp_targetILNS1_3genE4ELNS1_11target_archE910ELNS1_3gpuE8ELNS1_3repE0EEENS1_30default_config_static_selectorELNS0_4arch9wavefront6targetE1EEEvT1_
; %bb.0:
	.section	.rodata,"a",@progbits
	.p2align	6, 0x0
	.amdhsa_kernel _ZN7rocprim17ROCPRIM_400000_NS6detail17trampoline_kernelINS0_14default_configENS1_35adjacent_difference_config_selectorILb1EjEEZNS1_24adjacent_difference_implIS3_Lb1ELb0EPKjPjN6thrust23THRUST_200600_302600_NS4plusIjEEEE10hipError_tPvRmT2_T3_mT4_P12ihipStream_tbEUlT_E_NS1_11comp_targetILNS1_3genE4ELNS1_11target_archE910ELNS1_3gpuE8ELNS1_3repE0EEENS1_30default_config_static_selectorELNS0_4arch9wavefront6targetE1EEEvT1_
		.amdhsa_group_segment_fixed_size 0
		.amdhsa_private_segment_fixed_size 0
		.amdhsa_kernarg_size 56
		.amdhsa_user_sgpr_count 2
		.amdhsa_user_sgpr_dispatch_ptr 0
		.amdhsa_user_sgpr_queue_ptr 0
		.amdhsa_user_sgpr_kernarg_segment_ptr 1
		.amdhsa_user_sgpr_dispatch_id 0
		.amdhsa_user_sgpr_kernarg_preload_length 0
		.amdhsa_user_sgpr_kernarg_preload_offset 0
		.amdhsa_user_sgpr_private_segment_size 0
		.amdhsa_uses_dynamic_stack 0
		.amdhsa_enable_private_segment 0
		.amdhsa_system_sgpr_workgroup_id_x 1
		.amdhsa_system_sgpr_workgroup_id_y 0
		.amdhsa_system_sgpr_workgroup_id_z 0
		.amdhsa_system_sgpr_workgroup_info 0
		.amdhsa_system_vgpr_workitem_id 0
		.amdhsa_next_free_vgpr 1
		.amdhsa_next_free_sgpr 0
		.amdhsa_accum_offset 4
		.amdhsa_reserve_vcc 0
		.amdhsa_float_round_mode_32 0
		.amdhsa_float_round_mode_16_64 0
		.amdhsa_float_denorm_mode_32 3
		.amdhsa_float_denorm_mode_16_64 3
		.amdhsa_dx10_clamp 1
		.amdhsa_ieee_mode 1
		.amdhsa_fp16_overflow 0
		.amdhsa_tg_split 0
		.amdhsa_exception_fp_ieee_invalid_op 0
		.amdhsa_exception_fp_denorm_src 0
		.amdhsa_exception_fp_ieee_div_zero 0
		.amdhsa_exception_fp_ieee_overflow 0
		.amdhsa_exception_fp_ieee_underflow 0
		.amdhsa_exception_fp_ieee_inexact 0
		.amdhsa_exception_int_div_zero 0
	.end_amdhsa_kernel
	.section	.text._ZN7rocprim17ROCPRIM_400000_NS6detail17trampoline_kernelINS0_14default_configENS1_35adjacent_difference_config_selectorILb1EjEEZNS1_24adjacent_difference_implIS3_Lb1ELb0EPKjPjN6thrust23THRUST_200600_302600_NS4plusIjEEEE10hipError_tPvRmT2_T3_mT4_P12ihipStream_tbEUlT_E_NS1_11comp_targetILNS1_3genE4ELNS1_11target_archE910ELNS1_3gpuE8ELNS1_3repE0EEENS1_30default_config_static_selectorELNS0_4arch9wavefront6targetE1EEEvT1_,"axG",@progbits,_ZN7rocprim17ROCPRIM_400000_NS6detail17trampoline_kernelINS0_14default_configENS1_35adjacent_difference_config_selectorILb1EjEEZNS1_24adjacent_difference_implIS3_Lb1ELb0EPKjPjN6thrust23THRUST_200600_302600_NS4plusIjEEEE10hipError_tPvRmT2_T3_mT4_P12ihipStream_tbEUlT_E_NS1_11comp_targetILNS1_3genE4ELNS1_11target_archE910ELNS1_3gpuE8ELNS1_3repE0EEENS1_30default_config_static_selectorELNS0_4arch9wavefront6targetE1EEEvT1_,comdat
.Lfunc_end611:
	.size	_ZN7rocprim17ROCPRIM_400000_NS6detail17trampoline_kernelINS0_14default_configENS1_35adjacent_difference_config_selectorILb1EjEEZNS1_24adjacent_difference_implIS3_Lb1ELb0EPKjPjN6thrust23THRUST_200600_302600_NS4plusIjEEEE10hipError_tPvRmT2_T3_mT4_P12ihipStream_tbEUlT_E_NS1_11comp_targetILNS1_3genE4ELNS1_11target_archE910ELNS1_3gpuE8ELNS1_3repE0EEENS1_30default_config_static_selectorELNS0_4arch9wavefront6targetE1EEEvT1_, .Lfunc_end611-_ZN7rocprim17ROCPRIM_400000_NS6detail17trampoline_kernelINS0_14default_configENS1_35adjacent_difference_config_selectorILb1EjEEZNS1_24adjacent_difference_implIS3_Lb1ELb0EPKjPjN6thrust23THRUST_200600_302600_NS4plusIjEEEE10hipError_tPvRmT2_T3_mT4_P12ihipStream_tbEUlT_E_NS1_11comp_targetILNS1_3genE4ELNS1_11target_archE910ELNS1_3gpuE8ELNS1_3repE0EEENS1_30default_config_static_selectorELNS0_4arch9wavefront6targetE1EEEvT1_
                                        ; -- End function
	.section	.AMDGPU.csdata,"",@progbits
; Kernel info:
; codeLenInByte = 0
; NumSgprs: 6
; NumVgprs: 0
; NumAgprs: 0
; TotalNumVgprs: 0
; ScratchSize: 0
; MemoryBound: 0
; FloatMode: 240
; IeeeMode: 1
; LDSByteSize: 0 bytes/workgroup (compile time only)
; SGPRBlocks: 0
; VGPRBlocks: 0
; NumSGPRsForWavesPerEU: 6
; NumVGPRsForWavesPerEU: 1
; AccumOffset: 4
; Occupancy: 8
; WaveLimiterHint : 0
; COMPUTE_PGM_RSRC2:SCRATCH_EN: 0
; COMPUTE_PGM_RSRC2:USER_SGPR: 2
; COMPUTE_PGM_RSRC2:TRAP_HANDLER: 0
; COMPUTE_PGM_RSRC2:TGID_X_EN: 1
; COMPUTE_PGM_RSRC2:TGID_Y_EN: 0
; COMPUTE_PGM_RSRC2:TGID_Z_EN: 0
; COMPUTE_PGM_RSRC2:TIDIG_COMP_CNT: 0
; COMPUTE_PGM_RSRC3_GFX90A:ACCUM_OFFSET: 0
; COMPUTE_PGM_RSRC3_GFX90A:TG_SPLIT: 0
	.section	.text._ZN7rocprim17ROCPRIM_400000_NS6detail17trampoline_kernelINS0_14default_configENS1_35adjacent_difference_config_selectorILb1EjEEZNS1_24adjacent_difference_implIS3_Lb1ELb0EPKjPjN6thrust23THRUST_200600_302600_NS4plusIjEEEE10hipError_tPvRmT2_T3_mT4_P12ihipStream_tbEUlT_E_NS1_11comp_targetILNS1_3genE3ELNS1_11target_archE908ELNS1_3gpuE7ELNS1_3repE0EEENS1_30default_config_static_selectorELNS0_4arch9wavefront6targetE1EEEvT1_,"axG",@progbits,_ZN7rocprim17ROCPRIM_400000_NS6detail17trampoline_kernelINS0_14default_configENS1_35adjacent_difference_config_selectorILb1EjEEZNS1_24adjacent_difference_implIS3_Lb1ELb0EPKjPjN6thrust23THRUST_200600_302600_NS4plusIjEEEE10hipError_tPvRmT2_T3_mT4_P12ihipStream_tbEUlT_E_NS1_11comp_targetILNS1_3genE3ELNS1_11target_archE908ELNS1_3gpuE7ELNS1_3repE0EEENS1_30default_config_static_selectorELNS0_4arch9wavefront6targetE1EEEvT1_,comdat
	.protected	_ZN7rocprim17ROCPRIM_400000_NS6detail17trampoline_kernelINS0_14default_configENS1_35adjacent_difference_config_selectorILb1EjEEZNS1_24adjacent_difference_implIS3_Lb1ELb0EPKjPjN6thrust23THRUST_200600_302600_NS4plusIjEEEE10hipError_tPvRmT2_T3_mT4_P12ihipStream_tbEUlT_E_NS1_11comp_targetILNS1_3genE3ELNS1_11target_archE908ELNS1_3gpuE7ELNS1_3repE0EEENS1_30default_config_static_selectorELNS0_4arch9wavefront6targetE1EEEvT1_ ; -- Begin function _ZN7rocprim17ROCPRIM_400000_NS6detail17trampoline_kernelINS0_14default_configENS1_35adjacent_difference_config_selectorILb1EjEEZNS1_24adjacent_difference_implIS3_Lb1ELb0EPKjPjN6thrust23THRUST_200600_302600_NS4plusIjEEEE10hipError_tPvRmT2_T3_mT4_P12ihipStream_tbEUlT_E_NS1_11comp_targetILNS1_3genE3ELNS1_11target_archE908ELNS1_3gpuE7ELNS1_3repE0EEENS1_30default_config_static_selectorELNS0_4arch9wavefront6targetE1EEEvT1_
	.globl	_ZN7rocprim17ROCPRIM_400000_NS6detail17trampoline_kernelINS0_14default_configENS1_35adjacent_difference_config_selectorILb1EjEEZNS1_24adjacent_difference_implIS3_Lb1ELb0EPKjPjN6thrust23THRUST_200600_302600_NS4plusIjEEEE10hipError_tPvRmT2_T3_mT4_P12ihipStream_tbEUlT_E_NS1_11comp_targetILNS1_3genE3ELNS1_11target_archE908ELNS1_3gpuE7ELNS1_3repE0EEENS1_30default_config_static_selectorELNS0_4arch9wavefront6targetE1EEEvT1_
	.p2align	8
	.type	_ZN7rocprim17ROCPRIM_400000_NS6detail17trampoline_kernelINS0_14default_configENS1_35adjacent_difference_config_selectorILb1EjEEZNS1_24adjacent_difference_implIS3_Lb1ELb0EPKjPjN6thrust23THRUST_200600_302600_NS4plusIjEEEE10hipError_tPvRmT2_T3_mT4_P12ihipStream_tbEUlT_E_NS1_11comp_targetILNS1_3genE3ELNS1_11target_archE908ELNS1_3gpuE7ELNS1_3repE0EEENS1_30default_config_static_selectorELNS0_4arch9wavefront6targetE1EEEvT1_,@function
_ZN7rocprim17ROCPRIM_400000_NS6detail17trampoline_kernelINS0_14default_configENS1_35adjacent_difference_config_selectorILb1EjEEZNS1_24adjacent_difference_implIS3_Lb1ELb0EPKjPjN6thrust23THRUST_200600_302600_NS4plusIjEEEE10hipError_tPvRmT2_T3_mT4_P12ihipStream_tbEUlT_E_NS1_11comp_targetILNS1_3genE3ELNS1_11target_archE908ELNS1_3gpuE7ELNS1_3repE0EEENS1_30default_config_static_selectorELNS0_4arch9wavefront6targetE1EEEvT1_: ; @_ZN7rocprim17ROCPRIM_400000_NS6detail17trampoline_kernelINS0_14default_configENS1_35adjacent_difference_config_selectorILb1EjEEZNS1_24adjacent_difference_implIS3_Lb1ELb0EPKjPjN6thrust23THRUST_200600_302600_NS4plusIjEEEE10hipError_tPvRmT2_T3_mT4_P12ihipStream_tbEUlT_E_NS1_11comp_targetILNS1_3genE3ELNS1_11target_archE908ELNS1_3gpuE7ELNS1_3repE0EEENS1_30default_config_static_selectorELNS0_4arch9wavefront6targetE1EEEvT1_
; %bb.0:
	.section	.rodata,"a",@progbits
	.p2align	6, 0x0
	.amdhsa_kernel _ZN7rocprim17ROCPRIM_400000_NS6detail17trampoline_kernelINS0_14default_configENS1_35adjacent_difference_config_selectorILb1EjEEZNS1_24adjacent_difference_implIS3_Lb1ELb0EPKjPjN6thrust23THRUST_200600_302600_NS4plusIjEEEE10hipError_tPvRmT2_T3_mT4_P12ihipStream_tbEUlT_E_NS1_11comp_targetILNS1_3genE3ELNS1_11target_archE908ELNS1_3gpuE7ELNS1_3repE0EEENS1_30default_config_static_selectorELNS0_4arch9wavefront6targetE1EEEvT1_
		.amdhsa_group_segment_fixed_size 0
		.amdhsa_private_segment_fixed_size 0
		.amdhsa_kernarg_size 56
		.amdhsa_user_sgpr_count 2
		.amdhsa_user_sgpr_dispatch_ptr 0
		.amdhsa_user_sgpr_queue_ptr 0
		.amdhsa_user_sgpr_kernarg_segment_ptr 1
		.amdhsa_user_sgpr_dispatch_id 0
		.amdhsa_user_sgpr_kernarg_preload_length 0
		.amdhsa_user_sgpr_kernarg_preload_offset 0
		.amdhsa_user_sgpr_private_segment_size 0
		.amdhsa_uses_dynamic_stack 0
		.amdhsa_enable_private_segment 0
		.amdhsa_system_sgpr_workgroup_id_x 1
		.amdhsa_system_sgpr_workgroup_id_y 0
		.amdhsa_system_sgpr_workgroup_id_z 0
		.amdhsa_system_sgpr_workgroup_info 0
		.amdhsa_system_vgpr_workitem_id 0
		.amdhsa_next_free_vgpr 1
		.amdhsa_next_free_sgpr 0
		.amdhsa_accum_offset 4
		.amdhsa_reserve_vcc 0
		.amdhsa_float_round_mode_32 0
		.amdhsa_float_round_mode_16_64 0
		.amdhsa_float_denorm_mode_32 3
		.amdhsa_float_denorm_mode_16_64 3
		.amdhsa_dx10_clamp 1
		.amdhsa_ieee_mode 1
		.amdhsa_fp16_overflow 0
		.amdhsa_tg_split 0
		.amdhsa_exception_fp_ieee_invalid_op 0
		.amdhsa_exception_fp_denorm_src 0
		.amdhsa_exception_fp_ieee_div_zero 0
		.amdhsa_exception_fp_ieee_overflow 0
		.amdhsa_exception_fp_ieee_underflow 0
		.amdhsa_exception_fp_ieee_inexact 0
		.amdhsa_exception_int_div_zero 0
	.end_amdhsa_kernel
	.section	.text._ZN7rocprim17ROCPRIM_400000_NS6detail17trampoline_kernelINS0_14default_configENS1_35adjacent_difference_config_selectorILb1EjEEZNS1_24adjacent_difference_implIS3_Lb1ELb0EPKjPjN6thrust23THRUST_200600_302600_NS4plusIjEEEE10hipError_tPvRmT2_T3_mT4_P12ihipStream_tbEUlT_E_NS1_11comp_targetILNS1_3genE3ELNS1_11target_archE908ELNS1_3gpuE7ELNS1_3repE0EEENS1_30default_config_static_selectorELNS0_4arch9wavefront6targetE1EEEvT1_,"axG",@progbits,_ZN7rocprim17ROCPRIM_400000_NS6detail17trampoline_kernelINS0_14default_configENS1_35adjacent_difference_config_selectorILb1EjEEZNS1_24adjacent_difference_implIS3_Lb1ELb0EPKjPjN6thrust23THRUST_200600_302600_NS4plusIjEEEE10hipError_tPvRmT2_T3_mT4_P12ihipStream_tbEUlT_E_NS1_11comp_targetILNS1_3genE3ELNS1_11target_archE908ELNS1_3gpuE7ELNS1_3repE0EEENS1_30default_config_static_selectorELNS0_4arch9wavefront6targetE1EEEvT1_,comdat
.Lfunc_end612:
	.size	_ZN7rocprim17ROCPRIM_400000_NS6detail17trampoline_kernelINS0_14default_configENS1_35adjacent_difference_config_selectorILb1EjEEZNS1_24adjacent_difference_implIS3_Lb1ELb0EPKjPjN6thrust23THRUST_200600_302600_NS4plusIjEEEE10hipError_tPvRmT2_T3_mT4_P12ihipStream_tbEUlT_E_NS1_11comp_targetILNS1_3genE3ELNS1_11target_archE908ELNS1_3gpuE7ELNS1_3repE0EEENS1_30default_config_static_selectorELNS0_4arch9wavefront6targetE1EEEvT1_, .Lfunc_end612-_ZN7rocprim17ROCPRIM_400000_NS6detail17trampoline_kernelINS0_14default_configENS1_35adjacent_difference_config_selectorILb1EjEEZNS1_24adjacent_difference_implIS3_Lb1ELb0EPKjPjN6thrust23THRUST_200600_302600_NS4plusIjEEEE10hipError_tPvRmT2_T3_mT4_P12ihipStream_tbEUlT_E_NS1_11comp_targetILNS1_3genE3ELNS1_11target_archE908ELNS1_3gpuE7ELNS1_3repE0EEENS1_30default_config_static_selectorELNS0_4arch9wavefront6targetE1EEEvT1_
                                        ; -- End function
	.section	.AMDGPU.csdata,"",@progbits
; Kernel info:
; codeLenInByte = 0
; NumSgprs: 6
; NumVgprs: 0
; NumAgprs: 0
; TotalNumVgprs: 0
; ScratchSize: 0
; MemoryBound: 0
; FloatMode: 240
; IeeeMode: 1
; LDSByteSize: 0 bytes/workgroup (compile time only)
; SGPRBlocks: 0
; VGPRBlocks: 0
; NumSGPRsForWavesPerEU: 6
; NumVGPRsForWavesPerEU: 1
; AccumOffset: 4
; Occupancy: 8
; WaveLimiterHint : 0
; COMPUTE_PGM_RSRC2:SCRATCH_EN: 0
; COMPUTE_PGM_RSRC2:USER_SGPR: 2
; COMPUTE_PGM_RSRC2:TRAP_HANDLER: 0
; COMPUTE_PGM_RSRC2:TGID_X_EN: 1
; COMPUTE_PGM_RSRC2:TGID_Y_EN: 0
; COMPUTE_PGM_RSRC2:TGID_Z_EN: 0
; COMPUTE_PGM_RSRC2:TIDIG_COMP_CNT: 0
; COMPUTE_PGM_RSRC3_GFX90A:ACCUM_OFFSET: 0
; COMPUTE_PGM_RSRC3_GFX90A:TG_SPLIT: 0
	.section	.text._ZN7rocprim17ROCPRIM_400000_NS6detail17trampoline_kernelINS0_14default_configENS1_35adjacent_difference_config_selectorILb1EjEEZNS1_24adjacent_difference_implIS3_Lb1ELb0EPKjPjN6thrust23THRUST_200600_302600_NS4plusIjEEEE10hipError_tPvRmT2_T3_mT4_P12ihipStream_tbEUlT_E_NS1_11comp_targetILNS1_3genE2ELNS1_11target_archE906ELNS1_3gpuE6ELNS1_3repE0EEENS1_30default_config_static_selectorELNS0_4arch9wavefront6targetE1EEEvT1_,"axG",@progbits,_ZN7rocprim17ROCPRIM_400000_NS6detail17trampoline_kernelINS0_14default_configENS1_35adjacent_difference_config_selectorILb1EjEEZNS1_24adjacent_difference_implIS3_Lb1ELb0EPKjPjN6thrust23THRUST_200600_302600_NS4plusIjEEEE10hipError_tPvRmT2_T3_mT4_P12ihipStream_tbEUlT_E_NS1_11comp_targetILNS1_3genE2ELNS1_11target_archE906ELNS1_3gpuE6ELNS1_3repE0EEENS1_30default_config_static_selectorELNS0_4arch9wavefront6targetE1EEEvT1_,comdat
	.protected	_ZN7rocprim17ROCPRIM_400000_NS6detail17trampoline_kernelINS0_14default_configENS1_35adjacent_difference_config_selectorILb1EjEEZNS1_24adjacent_difference_implIS3_Lb1ELb0EPKjPjN6thrust23THRUST_200600_302600_NS4plusIjEEEE10hipError_tPvRmT2_T3_mT4_P12ihipStream_tbEUlT_E_NS1_11comp_targetILNS1_3genE2ELNS1_11target_archE906ELNS1_3gpuE6ELNS1_3repE0EEENS1_30default_config_static_selectorELNS0_4arch9wavefront6targetE1EEEvT1_ ; -- Begin function _ZN7rocprim17ROCPRIM_400000_NS6detail17trampoline_kernelINS0_14default_configENS1_35adjacent_difference_config_selectorILb1EjEEZNS1_24adjacent_difference_implIS3_Lb1ELb0EPKjPjN6thrust23THRUST_200600_302600_NS4plusIjEEEE10hipError_tPvRmT2_T3_mT4_P12ihipStream_tbEUlT_E_NS1_11comp_targetILNS1_3genE2ELNS1_11target_archE906ELNS1_3gpuE6ELNS1_3repE0EEENS1_30default_config_static_selectorELNS0_4arch9wavefront6targetE1EEEvT1_
	.globl	_ZN7rocprim17ROCPRIM_400000_NS6detail17trampoline_kernelINS0_14default_configENS1_35adjacent_difference_config_selectorILb1EjEEZNS1_24adjacent_difference_implIS3_Lb1ELb0EPKjPjN6thrust23THRUST_200600_302600_NS4plusIjEEEE10hipError_tPvRmT2_T3_mT4_P12ihipStream_tbEUlT_E_NS1_11comp_targetILNS1_3genE2ELNS1_11target_archE906ELNS1_3gpuE6ELNS1_3repE0EEENS1_30default_config_static_selectorELNS0_4arch9wavefront6targetE1EEEvT1_
	.p2align	8
	.type	_ZN7rocprim17ROCPRIM_400000_NS6detail17trampoline_kernelINS0_14default_configENS1_35adjacent_difference_config_selectorILb1EjEEZNS1_24adjacent_difference_implIS3_Lb1ELb0EPKjPjN6thrust23THRUST_200600_302600_NS4plusIjEEEE10hipError_tPvRmT2_T3_mT4_P12ihipStream_tbEUlT_E_NS1_11comp_targetILNS1_3genE2ELNS1_11target_archE906ELNS1_3gpuE6ELNS1_3repE0EEENS1_30default_config_static_selectorELNS0_4arch9wavefront6targetE1EEEvT1_,@function
_ZN7rocprim17ROCPRIM_400000_NS6detail17trampoline_kernelINS0_14default_configENS1_35adjacent_difference_config_selectorILb1EjEEZNS1_24adjacent_difference_implIS3_Lb1ELb0EPKjPjN6thrust23THRUST_200600_302600_NS4plusIjEEEE10hipError_tPvRmT2_T3_mT4_P12ihipStream_tbEUlT_E_NS1_11comp_targetILNS1_3genE2ELNS1_11target_archE906ELNS1_3gpuE6ELNS1_3repE0EEENS1_30default_config_static_selectorELNS0_4arch9wavefront6targetE1EEEvT1_: ; @_ZN7rocprim17ROCPRIM_400000_NS6detail17trampoline_kernelINS0_14default_configENS1_35adjacent_difference_config_selectorILb1EjEEZNS1_24adjacent_difference_implIS3_Lb1ELb0EPKjPjN6thrust23THRUST_200600_302600_NS4plusIjEEEE10hipError_tPvRmT2_T3_mT4_P12ihipStream_tbEUlT_E_NS1_11comp_targetILNS1_3genE2ELNS1_11target_archE906ELNS1_3gpuE6ELNS1_3repE0EEENS1_30default_config_static_selectorELNS0_4arch9wavefront6targetE1EEEvT1_
; %bb.0:
	.section	.rodata,"a",@progbits
	.p2align	6, 0x0
	.amdhsa_kernel _ZN7rocprim17ROCPRIM_400000_NS6detail17trampoline_kernelINS0_14default_configENS1_35adjacent_difference_config_selectorILb1EjEEZNS1_24adjacent_difference_implIS3_Lb1ELb0EPKjPjN6thrust23THRUST_200600_302600_NS4plusIjEEEE10hipError_tPvRmT2_T3_mT4_P12ihipStream_tbEUlT_E_NS1_11comp_targetILNS1_3genE2ELNS1_11target_archE906ELNS1_3gpuE6ELNS1_3repE0EEENS1_30default_config_static_selectorELNS0_4arch9wavefront6targetE1EEEvT1_
		.amdhsa_group_segment_fixed_size 0
		.amdhsa_private_segment_fixed_size 0
		.amdhsa_kernarg_size 56
		.amdhsa_user_sgpr_count 2
		.amdhsa_user_sgpr_dispatch_ptr 0
		.amdhsa_user_sgpr_queue_ptr 0
		.amdhsa_user_sgpr_kernarg_segment_ptr 1
		.amdhsa_user_sgpr_dispatch_id 0
		.amdhsa_user_sgpr_kernarg_preload_length 0
		.amdhsa_user_sgpr_kernarg_preload_offset 0
		.amdhsa_user_sgpr_private_segment_size 0
		.amdhsa_uses_dynamic_stack 0
		.amdhsa_enable_private_segment 0
		.amdhsa_system_sgpr_workgroup_id_x 1
		.amdhsa_system_sgpr_workgroup_id_y 0
		.amdhsa_system_sgpr_workgroup_id_z 0
		.amdhsa_system_sgpr_workgroup_info 0
		.amdhsa_system_vgpr_workitem_id 0
		.amdhsa_next_free_vgpr 1
		.amdhsa_next_free_sgpr 0
		.amdhsa_accum_offset 4
		.amdhsa_reserve_vcc 0
		.amdhsa_float_round_mode_32 0
		.amdhsa_float_round_mode_16_64 0
		.amdhsa_float_denorm_mode_32 3
		.amdhsa_float_denorm_mode_16_64 3
		.amdhsa_dx10_clamp 1
		.amdhsa_ieee_mode 1
		.amdhsa_fp16_overflow 0
		.amdhsa_tg_split 0
		.amdhsa_exception_fp_ieee_invalid_op 0
		.amdhsa_exception_fp_denorm_src 0
		.amdhsa_exception_fp_ieee_div_zero 0
		.amdhsa_exception_fp_ieee_overflow 0
		.amdhsa_exception_fp_ieee_underflow 0
		.amdhsa_exception_fp_ieee_inexact 0
		.amdhsa_exception_int_div_zero 0
	.end_amdhsa_kernel
	.section	.text._ZN7rocprim17ROCPRIM_400000_NS6detail17trampoline_kernelINS0_14default_configENS1_35adjacent_difference_config_selectorILb1EjEEZNS1_24adjacent_difference_implIS3_Lb1ELb0EPKjPjN6thrust23THRUST_200600_302600_NS4plusIjEEEE10hipError_tPvRmT2_T3_mT4_P12ihipStream_tbEUlT_E_NS1_11comp_targetILNS1_3genE2ELNS1_11target_archE906ELNS1_3gpuE6ELNS1_3repE0EEENS1_30default_config_static_selectorELNS0_4arch9wavefront6targetE1EEEvT1_,"axG",@progbits,_ZN7rocprim17ROCPRIM_400000_NS6detail17trampoline_kernelINS0_14default_configENS1_35adjacent_difference_config_selectorILb1EjEEZNS1_24adjacent_difference_implIS3_Lb1ELb0EPKjPjN6thrust23THRUST_200600_302600_NS4plusIjEEEE10hipError_tPvRmT2_T3_mT4_P12ihipStream_tbEUlT_E_NS1_11comp_targetILNS1_3genE2ELNS1_11target_archE906ELNS1_3gpuE6ELNS1_3repE0EEENS1_30default_config_static_selectorELNS0_4arch9wavefront6targetE1EEEvT1_,comdat
.Lfunc_end613:
	.size	_ZN7rocprim17ROCPRIM_400000_NS6detail17trampoline_kernelINS0_14default_configENS1_35adjacent_difference_config_selectorILb1EjEEZNS1_24adjacent_difference_implIS3_Lb1ELb0EPKjPjN6thrust23THRUST_200600_302600_NS4plusIjEEEE10hipError_tPvRmT2_T3_mT4_P12ihipStream_tbEUlT_E_NS1_11comp_targetILNS1_3genE2ELNS1_11target_archE906ELNS1_3gpuE6ELNS1_3repE0EEENS1_30default_config_static_selectorELNS0_4arch9wavefront6targetE1EEEvT1_, .Lfunc_end613-_ZN7rocprim17ROCPRIM_400000_NS6detail17trampoline_kernelINS0_14default_configENS1_35adjacent_difference_config_selectorILb1EjEEZNS1_24adjacent_difference_implIS3_Lb1ELb0EPKjPjN6thrust23THRUST_200600_302600_NS4plusIjEEEE10hipError_tPvRmT2_T3_mT4_P12ihipStream_tbEUlT_E_NS1_11comp_targetILNS1_3genE2ELNS1_11target_archE906ELNS1_3gpuE6ELNS1_3repE0EEENS1_30default_config_static_selectorELNS0_4arch9wavefront6targetE1EEEvT1_
                                        ; -- End function
	.section	.AMDGPU.csdata,"",@progbits
; Kernel info:
; codeLenInByte = 0
; NumSgprs: 6
; NumVgprs: 0
; NumAgprs: 0
; TotalNumVgprs: 0
; ScratchSize: 0
; MemoryBound: 0
; FloatMode: 240
; IeeeMode: 1
; LDSByteSize: 0 bytes/workgroup (compile time only)
; SGPRBlocks: 0
; VGPRBlocks: 0
; NumSGPRsForWavesPerEU: 6
; NumVGPRsForWavesPerEU: 1
; AccumOffset: 4
; Occupancy: 8
; WaveLimiterHint : 0
; COMPUTE_PGM_RSRC2:SCRATCH_EN: 0
; COMPUTE_PGM_RSRC2:USER_SGPR: 2
; COMPUTE_PGM_RSRC2:TRAP_HANDLER: 0
; COMPUTE_PGM_RSRC2:TGID_X_EN: 1
; COMPUTE_PGM_RSRC2:TGID_Y_EN: 0
; COMPUTE_PGM_RSRC2:TGID_Z_EN: 0
; COMPUTE_PGM_RSRC2:TIDIG_COMP_CNT: 0
; COMPUTE_PGM_RSRC3_GFX90A:ACCUM_OFFSET: 0
; COMPUTE_PGM_RSRC3_GFX90A:TG_SPLIT: 0
	.section	.text._ZN7rocprim17ROCPRIM_400000_NS6detail17trampoline_kernelINS0_14default_configENS1_35adjacent_difference_config_selectorILb1EjEEZNS1_24adjacent_difference_implIS3_Lb1ELb0EPKjPjN6thrust23THRUST_200600_302600_NS4plusIjEEEE10hipError_tPvRmT2_T3_mT4_P12ihipStream_tbEUlT_E_NS1_11comp_targetILNS1_3genE9ELNS1_11target_archE1100ELNS1_3gpuE3ELNS1_3repE0EEENS1_30default_config_static_selectorELNS0_4arch9wavefront6targetE1EEEvT1_,"axG",@progbits,_ZN7rocprim17ROCPRIM_400000_NS6detail17trampoline_kernelINS0_14default_configENS1_35adjacent_difference_config_selectorILb1EjEEZNS1_24adjacent_difference_implIS3_Lb1ELb0EPKjPjN6thrust23THRUST_200600_302600_NS4plusIjEEEE10hipError_tPvRmT2_T3_mT4_P12ihipStream_tbEUlT_E_NS1_11comp_targetILNS1_3genE9ELNS1_11target_archE1100ELNS1_3gpuE3ELNS1_3repE0EEENS1_30default_config_static_selectorELNS0_4arch9wavefront6targetE1EEEvT1_,comdat
	.protected	_ZN7rocprim17ROCPRIM_400000_NS6detail17trampoline_kernelINS0_14default_configENS1_35adjacent_difference_config_selectorILb1EjEEZNS1_24adjacent_difference_implIS3_Lb1ELb0EPKjPjN6thrust23THRUST_200600_302600_NS4plusIjEEEE10hipError_tPvRmT2_T3_mT4_P12ihipStream_tbEUlT_E_NS1_11comp_targetILNS1_3genE9ELNS1_11target_archE1100ELNS1_3gpuE3ELNS1_3repE0EEENS1_30default_config_static_selectorELNS0_4arch9wavefront6targetE1EEEvT1_ ; -- Begin function _ZN7rocprim17ROCPRIM_400000_NS6detail17trampoline_kernelINS0_14default_configENS1_35adjacent_difference_config_selectorILb1EjEEZNS1_24adjacent_difference_implIS3_Lb1ELb0EPKjPjN6thrust23THRUST_200600_302600_NS4plusIjEEEE10hipError_tPvRmT2_T3_mT4_P12ihipStream_tbEUlT_E_NS1_11comp_targetILNS1_3genE9ELNS1_11target_archE1100ELNS1_3gpuE3ELNS1_3repE0EEENS1_30default_config_static_selectorELNS0_4arch9wavefront6targetE1EEEvT1_
	.globl	_ZN7rocprim17ROCPRIM_400000_NS6detail17trampoline_kernelINS0_14default_configENS1_35adjacent_difference_config_selectorILb1EjEEZNS1_24adjacent_difference_implIS3_Lb1ELb0EPKjPjN6thrust23THRUST_200600_302600_NS4plusIjEEEE10hipError_tPvRmT2_T3_mT4_P12ihipStream_tbEUlT_E_NS1_11comp_targetILNS1_3genE9ELNS1_11target_archE1100ELNS1_3gpuE3ELNS1_3repE0EEENS1_30default_config_static_selectorELNS0_4arch9wavefront6targetE1EEEvT1_
	.p2align	8
	.type	_ZN7rocprim17ROCPRIM_400000_NS6detail17trampoline_kernelINS0_14default_configENS1_35adjacent_difference_config_selectorILb1EjEEZNS1_24adjacent_difference_implIS3_Lb1ELb0EPKjPjN6thrust23THRUST_200600_302600_NS4plusIjEEEE10hipError_tPvRmT2_T3_mT4_P12ihipStream_tbEUlT_E_NS1_11comp_targetILNS1_3genE9ELNS1_11target_archE1100ELNS1_3gpuE3ELNS1_3repE0EEENS1_30default_config_static_selectorELNS0_4arch9wavefront6targetE1EEEvT1_,@function
_ZN7rocprim17ROCPRIM_400000_NS6detail17trampoline_kernelINS0_14default_configENS1_35adjacent_difference_config_selectorILb1EjEEZNS1_24adjacent_difference_implIS3_Lb1ELb0EPKjPjN6thrust23THRUST_200600_302600_NS4plusIjEEEE10hipError_tPvRmT2_T3_mT4_P12ihipStream_tbEUlT_E_NS1_11comp_targetILNS1_3genE9ELNS1_11target_archE1100ELNS1_3gpuE3ELNS1_3repE0EEENS1_30default_config_static_selectorELNS0_4arch9wavefront6targetE1EEEvT1_: ; @_ZN7rocprim17ROCPRIM_400000_NS6detail17trampoline_kernelINS0_14default_configENS1_35adjacent_difference_config_selectorILb1EjEEZNS1_24adjacent_difference_implIS3_Lb1ELb0EPKjPjN6thrust23THRUST_200600_302600_NS4plusIjEEEE10hipError_tPvRmT2_T3_mT4_P12ihipStream_tbEUlT_E_NS1_11comp_targetILNS1_3genE9ELNS1_11target_archE1100ELNS1_3gpuE3ELNS1_3repE0EEENS1_30default_config_static_selectorELNS0_4arch9wavefront6targetE1EEEvT1_
; %bb.0:
	.section	.rodata,"a",@progbits
	.p2align	6, 0x0
	.amdhsa_kernel _ZN7rocprim17ROCPRIM_400000_NS6detail17trampoline_kernelINS0_14default_configENS1_35adjacent_difference_config_selectorILb1EjEEZNS1_24adjacent_difference_implIS3_Lb1ELb0EPKjPjN6thrust23THRUST_200600_302600_NS4plusIjEEEE10hipError_tPvRmT2_T3_mT4_P12ihipStream_tbEUlT_E_NS1_11comp_targetILNS1_3genE9ELNS1_11target_archE1100ELNS1_3gpuE3ELNS1_3repE0EEENS1_30default_config_static_selectorELNS0_4arch9wavefront6targetE1EEEvT1_
		.amdhsa_group_segment_fixed_size 0
		.amdhsa_private_segment_fixed_size 0
		.amdhsa_kernarg_size 56
		.amdhsa_user_sgpr_count 2
		.amdhsa_user_sgpr_dispatch_ptr 0
		.amdhsa_user_sgpr_queue_ptr 0
		.amdhsa_user_sgpr_kernarg_segment_ptr 1
		.amdhsa_user_sgpr_dispatch_id 0
		.amdhsa_user_sgpr_kernarg_preload_length 0
		.amdhsa_user_sgpr_kernarg_preload_offset 0
		.amdhsa_user_sgpr_private_segment_size 0
		.amdhsa_uses_dynamic_stack 0
		.amdhsa_enable_private_segment 0
		.amdhsa_system_sgpr_workgroup_id_x 1
		.amdhsa_system_sgpr_workgroup_id_y 0
		.amdhsa_system_sgpr_workgroup_id_z 0
		.amdhsa_system_sgpr_workgroup_info 0
		.amdhsa_system_vgpr_workitem_id 0
		.amdhsa_next_free_vgpr 1
		.amdhsa_next_free_sgpr 0
		.amdhsa_accum_offset 4
		.amdhsa_reserve_vcc 0
		.amdhsa_float_round_mode_32 0
		.amdhsa_float_round_mode_16_64 0
		.amdhsa_float_denorm_mode_32 3
		.amdhsa_float_denorm_mode_16_64 3
		.amdhsa_dx10_clamp 1
		.amdhsa_ieee_mode 1
		.amdhsa_fp16_overflow 0
		.amdhsa_tg_split 0
		.amdhsa_exception_fp_ieee_invalid_op 0
		.amdhsa_exception_fp_denorm_src 0
		.amdhsa_exception_fp_ieee_div_zero 0
		.amdhsa_exception_fp_ieee_overflow 0
		.amdhsa_exception_fp_ieee_underflow 0
		.amdhsa_exception_fp_ieee_inexact 0
		.amdhsa_exception_int_div_zero 0
	.end_amdhsa_kernel
	.section	.text._ZN7rocprim17ROCPRIM_400000_NS6detail17trampoline_kernelINS0_14default_configENS1_35adjacent_difference_config_selectorILb1EjEEZNS1_24adjacent_difference_implIS3_Lb1ELb0EPKjPjN6thrust23THRUST_200600_302600_NS4plusIjEEEE10hipError_tPvRmT2_T3_mT4_P12ihipStream_tbEUlT_E_NS1_11comp_targetILNS1_3genE9ELNS1_11target_archE1100ELNS1_3gpuE3ELNS1_3repE0EEENS1_30default_config_static_selectorELNS0_4arch9wavefront6targetE1EEEvT1_,"axG",@progbits,_ZN7rocprim17ROCPRIM_400000_NS6detail17trampoline_kernelINS0_14default_configENS1_35adjacent_difference_config_selectorILb1EjEEZNS1_24adjacent_difference_implIS3_Lb1ELb0EPKjPjN6thrust23THRUST_200600_302600_NS4plusIjEEEE10hipError_tPvRmT2_T3_mT4_P12ihipStream_tbEUlT_E_NS1_11comp_targetILNS1_3genE9ELNS1_11target_archE1100ELNS1_3gpuE3ELNS1_3repE0EEENS1_30default_config_static_selectorELNS0_4arch9wavefront6targetE1EEEvT1_,comdat
.Lfunc_end614:
	.size	_ZN7rocprim17ROCPRIM_400000_NS6detail17trampoline_kernelINS0_14default_configENS1_35adjacent_difference_config_selectorILb1EjEEZNS1_24adjacent_difference_implIS3_Lb1ELb0EPKjPjN6thrust23THRUST_200600_302600_NS4plusIjEEEE10hipError_tPvRmT2_T3_mT4_P12ihipStream_tbEUlT_E_NS1_11comp_targetILNS1_3genE9ELNS1_11target_archE1100ELNS1_3gpuE3ELNS1_3repE0EEENS1_30default_config_static_selectorELNS0_4arch9wavefront6targetE1EEEvT1_, .Lfunc_end614-_ZN7rocprim17ROCPRIM_400000_NS6detail17trampoline_kernelINS0_14default_configENS1_35adjacent_difference_config_selectorILb1EjEEZNS1_24adjacent_difference_implIS3_Lb1ELb0EPKjPjN6thrust23THRUST_200600_302600_NS4plusIjEEEE10hipError_tPvRmT2_T3_mT4_P12ihipStream_tbEUlT_E_NS1_11comp_targetILNS1_3genE9ELNS1_11target_archE1100ELNS1_3gpuE3ELNS1_3repE0EEENS1_30default_config_static_selectorELNS0_4arch9wavefront6targetE1EEEvT1_
                                        ; -- End function
	.section	.AMDGPU.csdata,"",@progbits
; Kernel info:
; codeLenInByte = 0
; NumSgprs: 6
; NumVgprs: 0
; NumAgprs: 0
; TotalNumVgprs: 0
; ScratchSize: 0
; MemoryBound: 0
; FloatMode: 240
; IeeeMode: 1
; LDSByteSize: 0 bytes/workgroup (compile time only)
; SGPRBlocks: 0
; VGPRBlocks: 0
; NumSGPRsForWavesPerEU: 6
; NumVGPRsForWavesPerEU: 1
; AccumOffset: 4
; Occupancy: 8
; WaveLimiterHint : 0
; COMPUTE_PGM_RSRC2:SCRATCH_EN: 0
; COMPUTE_PGM_RSRC2:USER_SGPR: 2
; COMPUTE_PGM_RSRC2:TRAP_HANDLER: 0
; COMPUTE_PGM_RSRC2:TGID_X_EN: 1
; COMPUTE_PGM_RSRC2:TGID_Y_EN: 0
; COMPUTE_PGM_RSRC2:TGID_Z_EN: 0
; COMPUTE_PGM_RSRC2:TIDIG_COMP_CNT: 0
; COMPUTE_PGM_RSRC3_GFX90A:ACCUM_OFFSET: 0
; COMPUTE_PGM_RSRC3_GFX90A:TG_SPLIT: 0
	.section	.text._ZN7rocprim17ROCPRIM_400000_NS6detail17trampoline_kernelINS0_14default_configENS1_35adjacent_difference_config_selectorILb1EjEEZNS1_24adjacent_difference_implIS3_Lb1ELb0EPKjPjN6thrust23THRUST_200600_302600_NS4plusIjEEEE10hipError_tPvRmT2_T3_mT4_P12ihipStream_tbEUlT_E_NS1_11comp_targetILNS1_3genE8ELNS1_11target_archE1030ELNS1_3gpuE2ELNS1_3repE0EEENS1_30default_config_static_selectorELNS0_4arch9wavefront6targetE1EEEvT1_,"axG",@progbits,_ZN7rocprim17ROCPRIM_400000_NS6detail17trampoline_kernelINS0_14default_configENS1_35adjacent_difference_config_selectorILb1EjEEZNS1_24adjacent_difference_implIS3_Lb1ELb0EPKjPjN6thrust23THRUST_200600_302600_NS4plusIjEEEE10hipError_tPvRmT2_T3_mT4_P12ihipStream_tbEUlT_E_NS1_11comp_targetILNS1_3genE8ELNS1_11target_archE1030ELNS1_3gpuE2ELNS1_3repE0EEENS1_30default_config_static_selectorELNS0_4arch9wavefront6targetE1EEEvT1_,comdat
	.protected	_ZN7rocprim17ROCPRIM_400000_NS6detail17trampoline_kernelINS0_14default_configENS1_35adjacent_difference_config_selectorILb1EjEEZNS1_24adjacent_difference_implIS3_Lb1ELb0EPKjPjN6thrust23THRUST_200600_302600_NS4plusIjEEEE10hipError_tPvRmT2_T3_mT4_P12ihipStream_tbEUlT_E_NS1_11comp_targetILNS1_3genE8ELNS1_11target_archE1030ELNS1_3gpuE2ELNS1_3repE0EEENS1_30default_config_static_selectorELNS0_4arch9wavefront6targetE1EEEvT1_ ; -- Begin function _ZN7rocprim17ROCPRIM_400000_NS6detail17trampoline_kernelINS0_14default_configENS1_35adjacent_difference_config_selectorILb1EjEEZNS1_24adjacent_difference_implIS3_Lb1ELb0EPKjPjN6thrust23THRUST_200600_302600_NS4plusIjEEEE10hipError_tPvRmT2_T3_mT4_P12ihipStream_tbEUlT_E_NS1_11comp_targetILNS1_3genE8ELNS1_11target_archE1030ELNS1_3gpuE2ELNS1_3repE0EEENS1_30default_config_static_selectorELNS0_4arch9wavefront6targetE1EEEvT1_
	.globl	_ZN7rocprim17ROCPRIM_400000_NS6detail17trampoline_kernelINS0_14default_configENS1_35adjacent_difference_config_selectorILb1EjEEZNS1_24adjacent_difference_implIS3_Lb1ELb0EPKjPjN6thrust23THRUST_200600_302600_NS4plusIjEEEE10hipError_tPvRmT2_T3_mT4_P12ihipStream_tbEUlT_E_NS1_11comp_targetILNS1_3genE8ELNS1_11target_archE1030ELNS1_3gpuE2ELNS1_3repE0EEENS1_30default_config_static_selectorELNS0_4arch9wavefront6targetE1EEEvT1_
	.p2align	8
	.type	_ZN7rocprim17ROCPRIM_400000_NS6detail17trampoline_kernelINS0_14default_configENS1_35adjacent_difference_config_selectorILb1EjEEZNS1_24adjacent_difference_implIS3_Lb1ELb0EPKjPjN6thrust23THRUST_200600_302600_NS4plusIjEEEE10hipError_tPvRmT2_T3_mT4_P12ihipStream_tbEUlT_E_NS1_11comp_targetILNS1_3genE8ELNS1_11target_archE1030ELNS1_3gpuE2ELNS1_3repE0EEENS1_30default_config_static_selectorELNS0_4arch9wavefront6targetE1EEEvT1_,@function
_ZN7rocprim17ROCPRIM_400000_NS6detail17trampoline_kernelINS0_14default_configENS1_35adjacent_difference_config_selectorILb1EjEEZNS1_24adjacent_difference_implIS3_Lb1ELb0EPKjPjN6thrust23THRUST_200600_302600_NS4plusIjEEEE10hipError_tPvRmT2_T3_mT4_P12ihipStream_tbEUlT_E_NS1_11comp_targetILNS1_3genE8ELNS1_11target_archE1030ELNS1_3gpuE2ELNS1_3repE0EEENS1_30default_config_static_selectorELNS0_4arch9wavefront6targetE1EEEvT1_: ; @_ZN7rocprim17ROCPRIM_400000_NS6detail17trampoline_kernelINS0_14default_configENS1_35adjacent_difference_config_selectorILb1EjEEZNS1_24adjacent_difference_implIS3_Lb1ELb0EPKjPjN6thrust23THRUST_200600_302600_NS4plusIjEEEE10hipError_tPvRmT2_T3_mT4_P12ihipStream_tbEUlT_E_NS1_11comp_targetILNS1_3genE8ELNS1_11target_archE1030ELNS1_3gpuE2ELNS1_3repE0EEENS1_30default_config_static_selectorELNS0_4arch9wavefront6targetE1EEEvT1_
; %bb.0:
	.section	.rodata,"a",@progbits
	.p2align	6, 0x0
	.amdhsa_kernel _ZN7rocprim17ROCPRIM_400000_NS6detail17trampoline_kernelINS0_14default_configENS1_35adjacent_difference_config_selectorILb1EjEEZNS1_24adjacent_difference_implIS3_Lb1ELb0EPKjPjN6thrust23THRUST_200600_302600_NS4plusIjEEEE10hipError_tPvRmT2_T3_mT4_P12ihipStream_tbEUlT_E_NS1_11comp_targetILNS1_3genE8ELNS1_11target_archE1030ELNS1_3gpuE2ELNS1_3repE0EEENS1_30default_config_static_selectorELNS0_4arch9wavefront6targetE1EEEvT1_
		.amdhsa_group_segment_fixed_size 0
		.amdhsa_private_segment_fixed_size 0
		.amdhsa_kernarg_size 56
		.amdhsa_user_sgpr_count 2
		.amdhsa_user_sgpr_dispatch_ptr 0
		.amdhsa_user_sgpr_queue_ptr 0
		.amdhsa_user_sgpr_kernarg_segment_ptr 1
		.amdhsa_user_sgpr_dispatch_id 0
		.amdhsa_user_sgpr_kernarg_preload_length 0
		.amdhsa_user_sgpr_kernarg_preload_offset 0
		.amdhsa_user_sgpr_private_segment_size 0
		.amdhsa_uses_dynamic_stack 0
		.amdhsa_enable_private_segment 0
		.amdhsa_system_sgpr_workgroup_id_x 1
		.amdhsa_system_sgpr_workgroup_id_y 0
		.amdhsa_system_sgpr_workgroup_id_z 0
		.amdhsa_system_sgpr_workgroup_info 0
		.amdhsa_system_vgpr_workitem_id 0
		.amdhsa_next_free_vgpr 1
		.amdhsa_next_free_sgpr 0
		.amdhsa_accum_offset 4
		.amdhsa_reserve_vcc 0
		.amdhsa_float_round_mode_32 0
		.amdhsa_float_round_mode_16_64 0
		.amdhsa_float_denorm_mode_32 3
		.amdhsa_float_denorm_mode_16_64 3
		.amdhsa_dx10_clamp 1
		.amdhsa_ieee_mode 1
		.amdhsa_fp16_overflow 0
		.amdhsa_tg_split 0
		.amdhsa_exception_fp_ieee_invalid_op 0
		.amdhsa_exception_fp_denorm_src 0
		.amdhsa_exception_fp_ieee_div_zero 0
		.amdhsa_exception_fp_ieee_overflow 0
		.amdhsa_exception_fp_ieee_underflow 0
		.amdhsa_exception_fp_ieee_inexact 0
		.amdhsa_exception_int_div_zero 0
	.end_amdhsa_kernel
	.section	.text._ZN7rocprim17ROCPRIM_400000_NS6detail17trampoline_kernelINS0_14default_configENS1_35adjacent_difference_config_selectorILb1EjEEZNS1_24adjacent_difference_implIS3_Lb1ELb0EPKjPjN6thrust23THRUST_200600_302600_NS4plusIjEEEE10hipError_tPvRmT2_T3_mT4_P12ihipStream_tbEUlT_E_NS1_11comp_targetILNS1_3genE8ELNS1_11target_archE1030ELNS1_3gpuE2ELNS1_3repE0EEENS1_30default_config_static_selectorELNS0_4arch9wavefront6targetE1EEEvT1_,"axG",@progbits,_ZN7rocprim17ROCPRIM_400000_NS6detail17trampoline_kernelINS0_14default_configENS1_35adjacent_difference_config_selectorILb1EjEEZNS1_24adjacent_difference_implIS3_Lb1ELb0EPKjPjN6thrust23THRUST_200600_302600_NS4plusIjEEEE10hipError_tPvRmT2_T3_mT4_P12ihipStream_tbEUlT_E_NS1_11comp_targetILNS1_3genE8ELNS1_11target_archE1030ELNS1_3gpuE2ELNS1_3repE0EEENS1_30default_config_static_selectorELNS0_4arch9wavefront6targetE1EEEvT1_,comdat
.Lfunc_end615:
	.size	_ZN7rocprim17ROCPRIM_400000_NS6detail17trampoline_kernelINS0_14default_configENS1_35adjacent_difference_config_selectorILb1EjEEZNS1_24adjacent_difference_implIS3_Lb1ELb0EPKjPjN6thrust23THRUST_200600_302600_NS4plusIjEEEE10hipError_tPvRmT2_T3_mT4_P12ihipStream_tbEUlT_E_NS1_11comp_targetILNS1_3genE8ELNS1_11target_archE1030ELNS1_3gpuE2ELNS1_3repE0EEENS1_30default_config_static_selectorELNS0_4arch9wavefront6targetE1EEEvT1_, .Lfunc_end615-_ZN7rocprim17ROCPRIM_400000_NS6detail17trampoline_kernelINS0_14default_configENS1_35adjacent_difference_config_selectorILb1EjEEZNS1_24adjacent_difference_implIS3_Lb1ELb0EPKjPjN6thrust23THRUST_200600_302600_NS4plusIjEEEE10hipError_tPvRmT2_T3_mT4_P12ihipStream_tbEUlT_E_NS1_11comp_targetILNS1_3genE8ELNS1_11target_archE1030ELNS1_3gpuE2ELNS1_3repE0EEENS1_30default_config_static_selectorELNS0_4arch9wavefront6targetE1EEEvT1_
                                        ; -- End function
	.section	.AMDGPU.csdata,"",@progbits
; Kernel info:
; codeLenInByte = 0
; NumSgprs: 6
; NumVgprs: 0
; NumAgprs: 0
; TotalNumVgprs: 0
; ScratchSize: 0
; MemoryBound: 0
; FloatMode: 240
; IeeeMode: 1
; LDSByteSize: 0 bytes/workgroup (compile time only)
; SGPRBlocks: 0
; VGPRBlocks: 0
; NumSGPRsForWavesPerEU: 6
; NumVGPRsForWavesPerEU: 1
; AccumOffset: 4
; Occupancy: 8
; WaveLimiterHint : 0
; COMPUTE_PGM_RSRC2:SCRATCH_EN: 0
; COMPUTE_PGM_RSRC2:USER_SGPR: 2
; COMPUTE_PGM_RSRC2:TRAP_HANDLER: 0
; COMPUTE_PGM_RSRC2:TGID_X_EN: 1
; COMPUTE_PGM_RSRC2:TGID_Y_EN: 0
; COMPUTE_PGM_RSRC2:TGID_Z_EN: 0
; COMPUTE_PGM_RSRC2:TIDIG_COMP_CNT: 0
; COMPUTE_PGM_RSRC3_GFX90A:ACCUM_OFFSET: 0
; COMPUTE_PGM_RSRC3_GFX90A:TG_SPLIT: 0
	.section	.text._ZN7rocprim17ROCPRIM_400000_NS6detail17trampoline_kernelINS0_14default_configENS1_35adjacent_difference_config_selectorILb0EfEEZNS1_24adjacent_difference_implIS3_Lb0ELb0EPKfPfN6thrust23THRUST_200600_302600_NS4plusIfEEEE10hipError_tPvRmT2_T3_mT4_P12ihipStream_tbEUlT_E_NS1_11comp_targetILNS1_3genE0ELNS1_11target_archE4294967295ELNS1_3gpuE0ELNS1_3repE0EEENS1_30default_config_static_selectorELNS0_4arch9wavefront6targetE1EEEvT1_,"axG",@progbits,_ZN7rocprim17ROCPRIM_400000_NS6detail17trampoline_kernelINS0_14default_configENS1_35adjacent_difference_config_selectorILb0EfEEZNS1_24adjacent_difference_implIS3_Lb0ELb0EPKfPfN6thrust23THRUST_200600_302600_NS4plusIfEEEE10hipError_tPvRmT2_T3_mT4_P12ihipStream_tbEUlT_E_NS1_11comp_targetILNS1_3genE0ELNS1_11target_archE4294967295ELNS1_3gpuE0ELNS1_3repE0EEENS1_30default_config_static_selectorELNS0_4arch9wavefront6targetE1EEEvT1_,comdat
	.protected	_ZN7rocprim17ROCPRIM_400000_NS6detail17trampoline_kernelINS0_14default_configENS1_35adjacent_difference_config_selectorILb0EfEEZNS1_24adjacent_difference_implIS3_Lb0ELb0EPKfPfN6thrust23THRUST_200600_302600_NS4plusIfEEEE10hipError_tPvRmT2_T3_mT4_P12ihipStream_tbEUlT_E_NS1_11comp_targetILNS1_3genE0ELNS1_11target_archE4294967295ELNS1_3gpuE0ELNS1_3repE0EEENS1_30default_config_static_selectorELNS0_4arch9wavefront6targetE1EEEvT1_ ; -- Begin function _ZN7rocprim17ROCPRIM_400000_NS6detail17trampoline_kernelINS0_14default_configENS1_35adjacent_difference_config_selectorILb0EfEEZNS1_24adjacent_difference_implIS3_Lb0ELb0EPKfPfN6thrust23THRUST_200600_302600_NS4plusIfEEEE10hipError_tPvRmT2_T3_mT4_P12ihipStream_tbEUlT_E_NS1_11comp_targetILNS1_3genE0ELNS1_11target_archE4294967295ELNS1_3gpuE0ELNS1_3repE0EEENS1_30default_config_static_selectorELNS0_4arch9wavefront6targetE1EEEvT1_
	.globl	_ZN7rocprim17ROCPRIM_400000_NS6detail17trampoline_kernelINS0_14default_configENS1_35adjacent_difference_config_selectorILb0EfEEZNS1_24adjacent_difference_implIS3_Lb0ELb0EPKfPfN6thrust23THRUST_200600_302600_NS4plusIfEEEE10hipError_tPvRmT2_T3_mT4_P12ihipStream_tbEUlT_E_NS1_11comp_targetILNS1_3genE0ELNS1_11target_archE4294967295ELNS1_3gpuE0ELNS1_3repE0EEENS1_30default_config_static_selectorELNS0_4arch9wavefront6targetE1EEEvT1_
	.p2align	8
	.type	_ZN7rocprim17ROCPRIM_400000_NS6detail17trampoline_kernelINS0_14default_configENS1_35adjacent_difference_config_selectorILb0EfEEZNS1_24adjacent_difference_implIS3_Lb0ELb0EPKfPfN6thrust23THRUST_200600_302600_NS4plusIfEEEE10hipError_tPvRmT2_T3_mT4_P12ihipStream_tbEUlT_E_NS1_11comp_targetILNS1_3genE0ELNS1_11target_archE4294967295ELNS1_3gpuE0ELNS1_3repE0EEENS1_30default_config_static_selectorELNS0_4arch9wavefront6targetE1EEEvT1_,@function
_ZN7rocprim17ROCPRIM_400000_NS6detail17trampoline_kernelINS0_14default_configENS1_35adjacent_difference_config_selectorILb0EfEEZNS1_24adjacent_difference_implIS3_Lb0ELb0EPKfPfN6thrust23THRUST_200600_302600_NS4plusIfEEEE10hipError_tPvRmT2_T3_mT4_P12ihipStream_tbEUlT_E_NS1_11comp_targetILNS1_3genE0ELNS1_11target_archE4294967295ELNS1_3gpuE0ELNS1_3repE0EEENS1_30default_config_static_selectorELNS0_4arch9wavefront6targetE1EEEvT1_: ; @_ZN7rocprim17ROCPRIM_400000_NS6detail17trampoline_kernelINS0_14default_configENS1_35adjacent_difference_config_selectorILb0EfEEZNS1_24adjacent_difference_implIS3_Lb0ELb0EPKfPfN6thrust23THRUST_200600_302600_NS4plusIfEEEE10hipError_tPvRmT2_T3_mT4_P12ihipStream_tbEUlT_E_NS1_11comp_targetILNS1_3genE0ELNS1_11target_archE4294967295ELNS1_3gpuE0ELNS1_3repE0EEENS1_30default_config_static_selectorELNS0_4arch9wavefront6targetE1EEEvT1_
; %bb.0:
	.section	.rodata,"a",@progbits
	.p2align	6, 0x0
	.amdhsa_kernel _ZN7rocprim17ROCPRIM_400000_NS6detail17trampoline_kernelINS0_14default_configENS1_35adjacent_difference_config_selectorILb0EfEEZNS1_24adjacent_difference_implIS3_Lb0ELb0EPKfPfN6thrust23THRUST_200600_302600_NS4plusIfEEEE10hipError_tPvRmT2_T3_mT4_P12ihipStream_tbEUlT_E_NS1_11comp_targetILNS1_3genE0ELNS1_11target_archE4294967295ELNS1_3gpuE0ELNS1_3repE0EEENS1_30default_config_static_selectorELNS0_4arch9wavefront6targetE1EEEvT1_
		.amdhsa_group_segment_fixed_size 0
		.amdhsa_private_segment_fixed_size 0
		.amdhsa_kernarg_size 56
		.amdhsa_user_sgpr_count 2
		.amdhsa_user_sgpr_dispatch_ptr 0
		.amdhsa_user_sgpr_queue_ptr 0
		.amdhsa_user_sgpr_kernarg_segment_ptr 1
		.amdhsa_user_sgpr_dispatch_id 0
		.amdhsa_user_sgpr_kernarg_preload_length 0
		.amdhsa_user_sgpr_kernarg_preload_offset 0
		.amdhsa_user_sgpr_private_segment_size 0
		.amdhsa_uses_dynamic_stack 0
		.amdhsa_enable_private_segment 0
		.amdhsa_system_sgpr_workgroup_id_x 1
		.amdhsa_system_sgpr_workgroup_id_y 0
		.amdhsa_system_sgpr_workgroup_id_z 0
		.amdhsa_system_sgpr_workgroup_info 0
		.amdhsa_system_vgpr_workitem_id 0
		.amdhsa_next_free_vgpr 1
		.amdhsa_next_free_sgpr 0
		.amdhsa_accum_offset 4
		.amdhsa_reserve_vcc 0
		.amdhsa_float_round_mode_32 0
		.amdhsa_float_round_mode_16_64 0
		.amdhsa_float_denorm_mode_32 3
		.amdhsa_float_denorm_mode_16_64 3
		.amdhsa_dx10_clamp 1
		.amdhsa_ieee_mode 1
		.amdhsa_fp16_overflow 0
		.amdhsa_tg_split 0
		.amdhsa_exception_fp_ieee_invalid_op 0
		.amdhsa_exception_fp_denorm_src 0
		.amdhsa_exception_fp_ieee_div_zero 0
		.amdhsa_exception_fp_ieee_overflow 0
		.amdhsa_exception_fp_ieee_underflow 0
		.amdhsa_exception_fp_ieee_inexact 0
		.amdhsa_exception_int_div_zero 0
	.end_amdhsa_kernel
	.section	.text._ZN7rocprim17ROCPRIM_400000_NS6detail17trampoline_kernelINS0_14default_configENS1_35adjacent_difference_config_selectorILb0EfEEZNS1_24adjacent_difference_implIS3_Lb0ELb0EPKfPfN6thrust23THRUST_200600_302600_NS4plusIfEEEE10hipError_tPvRmT2_T3_mT4_P12ihipStream_tbEUlT_E_NS1_11comp_targetILNS1_3genE0ELNS1_11target_archE4294967295ELNS1_3gpuE0ELNS1_3repE0EEENS1_30default_config_static_selectorELNS0_4arch9wavefront6targetE1EEEvT1_,"axG",@progbits,_ZN7rocprim17ROCPRIM_400000_NS6detail17trampoline_kernelINS0_14default_configENS1_35adjacent_difference_config_selectorILb0EfEEZNS1_24adjacent_difference_implIS3_Lb0ELb0EPKfPfN6thrust23THRUST_200600_302600_NS4plusIfEEEE10hipError_tPvRmT2_T3_mT4_P12ihipStream_tbEUlT_E_NS1_11comp_targetILNS1_3genE0ELNS1_11target_archE4294967295ELNS1_3gpuE0ELNS1_3repE0EEENS1_30default_config_static_selectorELNS0_4arch9wavefront6targetE1EEEvT1_,comdat
.Lfunc_end616:
	.size	_ZN7rocprim17ROCPRIM_400000_NS6detail17trampoline_kernelINS0_14default_configENS1_35adjacent_difference_config_selectorILb0EfEEZNS1_24adjacent_difference_implIS3_Lb0ELb0EPKfPfN6thrust23THRUST_200600_302600_NS4plusIfEEEE10hipError_tPvRmT2_T3_mT4_P12ihipStream_tbEUlT_E_NS1_11comp_targetILNS1_3genE0ELNS1_11target_archE4294967295ELNS1_3gpuE0ELNS1_3repE0EEENS1_30default_config_static_selectorELNS0_4arch9wavefront6targetE1EEEvT1_, .Lfunc_end616-_ZN7rocprim17ROCPRIM_400000_NS6detail17trampoline_kernelINS0_14default_configENS1_35adjacent_difference_config_selectorILb0EfEEZNS1_24adjacent_difference_implIS3_Lb0ELb0EPKfPfN6thrust23THRUST_200600_302600_NS4plusIfEEEE10hipError_tPvRmT2_T3_mT4_P12ihipStream_tbEUlT_E_NS1_11comp_targetILNS1_3genE0ELNS1_11target_archE4294967295ELNS1_3gpuE0ELNS1_3repE0EEENS1_30default_config_static_selectorELNS0_4arch9wavefront6targetE1EEEvT1_
                                        ; -- End function
	.section	.AMDGPU.csdata,"",@progbits
; Kernel info:
; codeLenInByte = 0
; NumSgprs: 6
; NumVgprs: 0
; NumAgprs: 0
; TotalNumVgprs: 0
; ScratchSize: 0
; MemoryBound: 0
; FloatMode: 240
; IeeeMode: 1
; LDSByteSize: 0 bytes/workgroup (compile time only)
; SGPRBlocks: 0
; VGPRBlocks: 0
; NumSGPRsForWavesPerEU: 6
; NumVGPRsForWavesPerEU: 1
; AccumOffset: 4
; Occupancy: 8
; WaveLimiterHint : 0
; COMPUTE_PGM_RSRC2:SCRATCH_EN: 0
; COMPUTE_PGM_RSRC2:USER_SGPR: 2
; COMPUTE_PGM_RSRC2:TRAP_HANDLER: 0
; COMPUTE_PGM_RSRC2:TGID_X_EN: 1
; COMPUTE_PGM_RSRC2:TGID_Y_EN: 0
; COMPUTE_PGM_RSRC2:TGID_Z_EN: 0
; COMPUTE_PGM_RSRC2:TIDIG_COMP_CNT: 0
; COMPUTE_PGM_RSRC3_GFX90A:ACCUM_OFFSET: 0
; COMPUTE_PGM_RSRC3_GFX90A:TG_SPLIT: 0
	.section	.text._ZN7rocprim17ROCPRIM_400000_NS6detail17trampoline_kernelINS0_14default_configENS1_35adjacent_difference_config_selectorILb0EfEEZNS1_24adjacent_difference_implIS3_Lb0ELb0EPKfPfN6thrust23THRUST_200600_302600_NS4plusIfEEEE10hipError_tPvRmT2_T3_mT4_P12ihipStream_tbEUlT_E_NS1_11comp_targetILNS1_3genE10ELNS1_11target_archE1201ELNS1_3gpuE5ELNS1_3repE0EEENS1_30default_config_static_selectorELNS0_4arch9wavefront6targetE1EEEvT1_,"axG",@progbits,_ZN7rocprim17ROCPRIM_400000_NS6detail17trampoline_kernelINS0_14default_configENS1_35adjacent_difference_config_selectorILb0EfEEZNS1_24adjacent_difference_implIS3_Lb0ELb0EPKfPfN6thrust23THRUST_200600_302600_NS4plusIfEEEE10hipError_tPvRmT2_T3_mT4_P12ihipStream_tbEUlT_E_NS1_11comp_targetILNS1_3genE10ELNS1_11target_archE1201ELNS1_3gpuE5ELNS1_3repE0EEENS1_30default_config_static_selectorELNS0_4arch9wavefront6targetE1EEEvT1_,comdat
	.protected	_ZN7rocprim17ROCPRIM_400000_NS6detail17trampoline_kernelINS0_14default_configENS1_35adjacent_difference_config_selectorILb0EfEEZNS1_24adjacent_difference_implIS3_Lb0ELb0EPKfPfN6thrust23THRUST_200600_302600_NS4plusIfEEEE10hipError_tPvRmT2_T3_mT4_P12ihipStream_tbEUlT_E_NS1_11comp_targetILNS1_3genE10ELNS1_11target_archE1201ELNS1_3gpuE5ELNS1_3repE0EEENS1_30default_config_static_selectorELNS0_4arch9wavefront6targetE1EEEvT1_ ; -- Begin function _ZN7rocprim17ROCPRIM_400000_NS6detail17trampoline_kernelINS0_14default_configENS1_35adjacent_difference_config_selectorILb0EfEEZNS1_24adjacent_difference_implIS3_Lb0ELb0EPKfPfN6thrust23THRUST_200600_302600_NS4plusIfEEEE10hipError_tPvRmT2_T3_mT4_P12ihipStream_tbEUlT_E_NS1_11comp_targetILNS1_3genE10ELNS1_11target_archE1201ELNS1_3gpuE5ELNS1_3repE0EEENS1_30default_config_static_selectorELNS0_4arch9wavefront6targetE1EEEvT1_
	.globl	_ZN7rocprim17ROCPRIM_400000_NS6detail17trampoline_kernelINS0_14default_configENS1_35adjacent_difference_config_selectorILb0EfEEZNS1_24adjacent_difference_implIS3_Lb0ELb0EPKfPfN6thrust23THRUST_200600_302600_NS4plusIfEEEE10hipError_tPvRmT2_T3_mT4_P12ihipStream_tbEUlT_E_NS1_11comp_targetILNS1_3genE10ELNS1_11target_archE1201ELNS1_3gpuE5ELNS1_3repE0EEENS1_30default_config_static_selectorELNS0_4arch9wavefront6targetE1EEEvT1_
	.p2align	8
	.type	_ZN7rocprim17ROCPRIM_400000_NS6detail17trampoline_kernelINS0_14default_configENS1_35adjacent_difference_config_selectorILb0EfEEZNS1_24adjacent_difference_implIS3_Lb0ELb0EPKfPfN6thrust23THRUST_200600_302600_NS4plusIfEEEE10hipError_tPvRmT2_T3_mT4_P12ihipStream_tbEUlT_E_NS1_11comp_targetILNS1_3genE10ELNS1_11target_archE1201ELNS1_3gpuE5ELNS1_3repE0EEENS1_30default_config_static_selectorELNS0_4arch9wavefront6targetE1EEEvT1_,@function
_ZN7rocprim17ROCPRIM_400000_NS6detail17trampoline_kernelINS0_14default_configENS1_35adjacent_difference_config_selectorILb0EfEEZNS1_24adjacent_difference_implIS3_Lb0ELb0EPKfPfN6thrust23THRUST_200600_302600_NS4plusIfEEEE10hipError_tPvRmT2_T3_mT4_P12ihipStream_tbEUlT_E_NS1_11comp_targetILNS1_3genE10ELNS1_11target_archE1201ELNS1_3gpuE5ELNS1_3repE0EEENS1_30default_config_static_selectorELNS0_4arch9wavefront6targetE1EEEvT1_: ; @_ZN7rocprim17ROCPRIM_400000_NS6detail17trampoline_kernelINS0_14default_configENS1_35adjacent_difference_config_selectorILb0EfEEZNS1_24adjacent_difference_implIS3_Lb0ELb0EPKfPfN6thrust23THRUST_200600_302600_NS4plusIfEEEE10hipError_tPvRmT2_T3_mT4_P12ihipStream_tbEUlT_E_NS1_11comp_targetILNS1_3genE10ELNS1_11target_archE1201ELNS1_3gpuE5ELNS1_3repE0EEENS1_30default_config_static_selectorELNS0_4arch9wavefront6targetE1EEEvT1_
; %bb.0:
	.section	.rodata,"a",@progbits
	.p2align	6, 0x0
	.amdhsa_kernel _ZN7rocprim17ROCPRIM_400000_NS6detail17trampoline_kernelINS0_14default_configENS1_35adjacent_difference_config_selectorILb0EfEEZNS1_24adjacent_difference_implIS3_Lb0ELb0EPKfPfN6thrust23THRUST_200600_302600_NS4plusIfEEEE10hipError_tPvRmT2_T3_mT4_P12ihipStream_tbEUlT_E_NS1_11comp_targetILNS1_3genE10ELNS1_11target_archE1201ELNS1_3gpuE5ELNS1_3repE0EEENS1_30default_config_static_selectorELNS0_4arch9wavefront6targetE1EEEvT1_
		.amdhsa_group_segment_fixed_size 0
		.amdhsa_private_segment_fixed_size 0
		.amdhsa_kernarg_size 56
		.amdhsa_user_sgpr_count 2
		.amdhsa_user_sgpr_dispatch_ptr 0
		.amdhsa_user_sgpr_queue_ptr 0
		.amdhsa_user_sgpr_kernarg_segment_ptr 1
		.amdhsa_user_sgpr_dispatch_id 0
		.amdhsa_user_sgpr_kernarg_preload_length 0
		.amdhsa_user_sgpr_kernarg_preload_offset 0
		.amdhsa_user_sgpr_private_segment_size 0
		.amdhsa_uses_dynamic_stack 0
		.amdhsa_enable_private_segment 0
		.amdhsa_system_sgpr_workgroup_id_x 1
		.amdhsa_system_sgpr_workgroup_id_y 0
		.amdhsa_system_sgpr_workgroup_id_z 0
		.amdhsa_system_sgpr_workgroup_info 0
		.amdhsa_system_vgpr_workitem_id 0
		.amdhsa_next_free_vgpr 1
		.amdhsa_next_free_sgpr 0
		.amdhsa_accum_offset 4
		.amdhsa_reserve_vcc 0
		.amdhsa_float_round_mode_32 0
		.amdhsa_float_round_mode_16_64 0
		.amdhsa_float_denorm_mode_32 3
		.amdhsa_float_denorm_mode_16_64 3
		.amdhsa_dx10_clamp 1
		.amdhsa_ieee_mode 1
		.amdhsa_fp16_overflow 0
		.amdhsa_tg_split 0
		.amdhsa_exception_fp_ieee_invalid_op 0
		.amdhsa_exception_fp_denorm_src 0
		.amdhsa_exception_fp_ieee_div_zero 0
		.amdhsa_exception_fp_ieee_overflow 0
		.amdhsa_exception_fp_ieee_underflow 0
		.amdhsa_exception_fp_ieee_inexact 0
		.amdhsa_exception_int_div_zero 0
	.end_amdhsa_kernel
	.section	.text._ZN7rocprim17ROCPRIM_400000_NS6detail17trampoline_kernelINS0_14default_configENS1_35adjacent_difference_config_selectorILb0EfEEZNS1_24adjacent_difference_implIS3_Lb0ELb0EPKfPfN6thrust23THRUST_200600_302600_NS4plusIfEEEE10hipError_tPvRmT2_T3_mT4_P12ihipStream_tbEUlT_E_NS1_11comp_targetILNS1_3genE10ELNS1_11target_archE1201ELNS1_3gpuE5ELNS1_3repE0EEENS1_30default_config_static_selectorELNS0_4arch9wavefront6targetE1EEEvT1_,"axG",@progbits,_ZN7rocprim17ROCPRIM_400000_NS6detail17trampoline_kernelINS0_14default_configENS1_35adjacent_difference_config_selectorILb0EfEEZNS1_24adjacent_difference_implIS3_Lb0ELb0EPKfPfN6thrust23THRUST_200600_302600_NS4plusIfEEEE10hipError_tPvRmT2_T3_mT4_P12ihipStream_tbEUlT_E_NS1_11comp_targetILNS1_3genE10ELNS1_11target_archE1201ELNS1_3gpuE5ELNS1_3repE0EEENS1_30default_config_static_selectorELNS0_4arch9wavefront6targetE1EEEvT1_,comdat
.Lfunc_end617:
	.size	_ZN7rocprim17ROCPRIM_400000_NS6detail17trampoline_kernelINS0_14default_configENS1_35adjacent_difference_config_selectorILb0EfEEZNS1_24adjacent_difference_implIS3_Lb0ELb0EPKfPfN6thrust23THRUST_200600_302600_NS4plusIfEEEE10hipError_tPvRmT2_T3_mT4_P12ihipStream_tbEUlT_E_NS1_11comp_targetILNS1_3genE10ELNS1_11target_archE1201ELNS1_3gpuE5ELNS1_3repE0EEENS1_30default_config_static_selectorELNS0_4arch9wavefront6targetE1EEEvT1_, .Lfunc_end617-_ZN7rocprim17ROCPRIM_400000_NS6detail17trampoline_kernelINS0_14default_configENS1_35adjacent_difference_config_selectorILb0EfEEZNS1_24adjacent_difference_implIS3_Lb0ELb0EPKfPfN6thrust23THRUST_200600_302600_NS4plusIfEEEE10hipError_tPvRmT2_T3_mT4_P12ihipStream_tbEUlT_E_NS1_11comp_targetILNS1_3genE10ELNS1_11target_archE1201ELNS1_3gpuE5ELNS1_3repE0EEENS1_30default_config_static_selectorELNS0_4arch9wavefront6targetE1EEEvT1_
                                        ; -- End function
	.section	.AMDGPU.csdata,"",@progbits
; Kernel info:
; codeLenInByte = 0
; NumSgprs: 6
; NumVgprs: 0
; NumAgprs: 0
; TotalNumVgprs: 0
; ScratchSize: 0
; MemoryBound: 0
; FloatMode: 240
; IeeeMode: 1
; LDSByteSize: 0 bytes/workgroup (compile time only)
; SGPRBlocks: 0
; VGPRBlocks: 0
; NumSGPRsForWavesPerEU: 6
; NumVGPRsForWavesPerEU: 1
; AccumOffset: 4
; Occupancy: 8
; WaveLimiterHint : 0
; COMPUTE_PGM_RSRC2:SCRATCH_EN: 0
; COMPUTE_PGM_RSRC2:USER_SGPR: 2
; COMPUTE_PGM_RSRC2:TRAP_HANDLER: 0
; COMPUTE_PGM_RSRC2:TGID_X_EN: 1
; COMPUTE_PGM_RSRC2:TGID_Y_EN: 0
; COMPUTE_PGM_RSRC2:TGID_Z_EN: 0
; COMPUTE_PGM_RSRC2:TIDIG_COMP_CNT: 0
; COMPUTE_PGM_RSRC3_GFX90A:ACCUM_OFFSET: 0
; COMPUTE_PGM_RSRC3_GFX90A:TG_SPLIT: 0
	.section	.text._ZN7rocprim17ROCPRIM_400000_NS6detail17trampoline_kernelINS0_14default_configENS1_35adjacent_difference_config_selectorILb0EfEEZNS1_24adjacent_difference_implIS3_Lb0ELb0EPKfPfN6thrust23THRUST_200600_302600_NS4plusIfEEEE10hipError_tPvRmT2_T3_mT4_P12ihipStream_tbEUlT_E_NS1_11comp_targetILNS1_3genE5ELNS1_11target_archE942ELNS1_3gpuE9ELNS1_3repE0EEENS1_30default_config_static_selectorELNS0_4arch9wavefront6targetE1EEEvT1_,"axG",@progbits,_ZN7rocprim17ROCPRIM_400000_NS6detail17trampoline_kernelINS0_14default_configENS1_35adjacent_difference_config_selectorILb0EfEEZNS1_24adjacent_difference_implIS3_Lb0ELb0EPKfPfN6thrust23THRUST_200600_302600_NS4plusIfEEEE10hipError_tPvRmT2_T3_mT4_P12ihipStream_tbEUlT_E_NS1_11comp_targetILNS1_3genE5ELNS1_11target_archE942ELNS1_3gpuE9ELNS1_3repE0EEENS1_30default_config_static_selectorELNS0_4arch9wavefront6targetE1EEEvT1_,comdat
	.protected	_ZN7rocprim17ROCPRIM_400000_NS6detail17trampoline_kernelINS0_14default_configENS1_35adjacent_difference_config_selectorILb0EfEEZNS1_24adjacent_difference_implIS3_Lb0ELb0EPKfPfN6thrust23THRUST_200600_302600_NS4plusIfEEEE10hipError_tPvRmT2_T3_mT4_P12ihipStream_tbEUlT_E_NS1_11comp_targetILNS1_3genE5ELNS1_11target_archE942ELNS1_3gpuE9ELNS1_3repE0EEENS1_30default_config_static_selectorELNS0_4arch9wavefront6targetE1EEEvT1_ ; -- Begin function _ZN7rocprim17ROCPRIM_400000_NS6detail17trampoline_kernelINS0_14default_configENS1_35adjacent_difference_config_selectorILb0EfEEZNS1_24adjacent_difference_implIS3_Lb0ELb0EPKfPfN6thrust23THRUST_200600_302600_NS4plusIfEEEE10hipError_tPvRmT2_T3_mT4_P12ihipStream_tbEUlT_E_NS1_11comp_targetILNS1_3genE5ELNS1_11target_archE942ELNS1_3gpuE9ELNS1_3repE0EEENS1_30default_config_static_selectorELNS0_4arch9wavefront6targetE1EEEvT1_
	.globl	_ZN7rocprim17ROCPRIM_400000_NS6detail17trampoline_kernelINS0_14default_configENS1_35adjacent_difference_config_selectorILb0EfEEZNS1_24adjacent_difference_implIS3_Lb0ELb0EPKfPfN6thrust23THRUST_200600_302600_NS4plusIfEEEE10hipError_tPvRmT2_T3_mT4_P12ihipStream_tbEUlT_E_NS1_11comp_targetILNS1_3genE5ELNS1_11target_archE942ELNS1_3gpuE9ELNS1_3repE0EEENS1_30default_config_static_selectorELNS0_4arch9wavefront6targetE1EEEvT1_
	.p2align	8
	.type	_ZN7rocprim17ROCPRIM_400000_NS6detail17trampoline_kernelINS0_14default_configENS1_35adjacent_difference_config_selectorILb0EfEEZNS1_24adjacent_difference_implIS3_Lb0ELb0EPKfPfN6thrust23THRUST_200600_302600_NS4plusIfEEEE10hipError_tPvRmT2_T3_mT4_P12ihipStream_tbEUlT_E_NS1_11comp_targetILNS1_3genE5ELNS1_11target_archE942ELNS1_3gpuE9ELNS1_3repE0EEENS1_30default_config_static_selectorELNS0_4arch9wavefront6targetE1EEEvT1_,@function
_ZN7rocprim17ROCPRIM_400000_NS6detail17trampoline_kernelINS0_14default_configENS1_35adjacent_difference_config_selectorILb0EfEEZNS1_24adjacent_difference_implIS3_Lb0ELb0EPKfPfN6thrust23THRUST_200600_302600_NS4plusIfEEEE10hipError_tPvRmT2_T3_mT4_P12ihipStream_tbEUlT_E_NS1_11comp_targetILNS1_3genE5ELNS1_11target_archE942ELNS1_3gpuE9ELNS1_3repE0EEENS1_30default_config_static_selectorELNS0_4arch9wavefront6targetE1EEEvT1_: ; @_ZN7rocprim17ROCPRIM_400000_NS6detail17trampoline_kernelINS0_14default_configENS1_35adjacent_difference_config_selectorILb0EfEEZNS1_24adjacent_difference_implIS3_Lb0ELb0EPKfPfN6thrust23THRUST_200600_302600_NS4plusIfEEEE10hipError_tPvRmT2_T3_mT4_P12ihipStream_tbEUlT_E_NS1_11comp_targetILNS1_3genE5ELNS1_11target_archE942ELNS1_3gpuE9ELNS1_3repE0EEENS1_30default_config_static_selectorELNS0_4arch9wavefront6targetE1EEEvT1_
; %bb.0:
	s_load_dwordx8 s[4:11], s[0:1], 0x0
	v_bfrev_b32_e32 v1, 1
	s_movk_i32 s3, 0x7c0
	s_load_dwordx2 s[0:1], s[0:1], 0x30
	s_mul_i32 s12, s2, 0x7c0
	s_waitcnt lgkmcnt(0)
	s_lshl_b64 s[14:15], s[6:7], 2
	s_add_u32 s20, s4, s14
	s_addc_u32 s21, s5, s15
	s_mov_b32 s4, 0x90841c60
	s_add_u32 s4, 0x230, s4
	s_addc_u32 s5, 0, 0
	v_add_co_u32_e32 v1, vcc, s4, v1
	s_cmp_lg_u64 vcc, 0
	v_readfirstlane_b32 s6, v1
	s_addc_u32 s4, s5, 0x210841
	s_mul_hi_u32 s7, s6, 0xfffff840
	s_mul_i32 s5, s4, 0xfffff840
	s_sub_i32 s7, s7, s6
	s_add_i32 s7, s7, s5
	s_mul_i32 s17, s6, 0xfffff840
	s_mul_hi_u32 s5, s6, s7
	s_mul_i32 s16, s6, s7
	s_mul_hi_u32 s6, s6, s17
	s_add_u32 s6, s6, s16
	s_addc_u32 s5, 0, s5
	s_mul_hi_u32 s18, s4, s17
	s_mul_i32 s17, s4, s17
	s_add_u32 s6, s6, s17
	s_mul_hi_u32 s16, s4, s7
	s_addc_u32 s5, s5, s18
	s_addc_u32 s6, s16, 0
	s_mul_i32 s7, s4, s7
	s_add_u32 s5, s5, s7
	s_addc_u32 s6, 0, s6
	v_add_co_u32_e32 v1, vcc, s5, v1
	s_cmp_lg_u64 vcc, 0
	s_addc_u32 s4, s4, s6
	v_readfirstlane_b32 s7, v1
	s_mul_i32 s6, s10, s4
	s_mul_hi_u32 s16, s10, s7
	s_mul_hi_u32 s5, s10, s4
	s_add_u32 s6, s16, s6
	s_addc_u32 s5, 0, s5
	s_mul_hi_u32 s17, s11, s7
	s_mul_i32 s7, s11, s7
	s_add_u32 s6, s6, s7
	s_mul_hi_u32 s16, s11, s4
	s_addc_u32 s5, s5, s17
	s_addc_u32 s6, s16, 0
	s_mul_i32 s4, s11, s4
	s_add_u32 s4, s5, s4
	s_addc_u32 s5, 0, s6
	s_add_u32 s6, s4, 1
	s_addc_u32 s7, s5, 0
	s_add_u32 s16, s4, 2
	s_mul_i32 s18, s5, 0x7c0
	s_mul_hi_u32 s19, s4, 0x7c0
	s_addc_u32 s17, s5, 0
	s_add_i32 s19, s19, s18
	s_mul_i32 s18, s4, 0x7c0
	v_mov_b32_e32 v1, s18
	v_sub_co_u32_e32 v1, vcc, s10, v1
	s_cmp_lg_u64 vcc, 0
	s_subb_u32 s18, s11, s19
	v_subrev_co_u32_e32 v2, vcc, s3, v1
	s_cmp_lg_u64 vcc, 0
	s_subb_u32 s3, s18, 0
	v_readfirstlane_b32 s19, v2
	s_cmpk_gt_u32 s19, 0x7bf
	s_cselect_b32 s19, -1, 0
	s_cmp_eq_u32 s3, 0
	s_cselect_b32 s3, s19, -1
	s_cmp_lg_u32 s3, 0
	s_cselect_b32 s3, s16, s6
	s_cselect_b32 s6, s17, s7
	v_readfirstlane_b32 s7, v1
	s_cmpk_gt_u32 s7, 0x7bf
	s_cselect_b32 s7, -1, 0
	s_cmp_eq_u32 s18, 0
	s_cselect_b32 s7, s7, -1
	s_cmp_lg_u32 s7, 0
	s_cselect_b32 s6, s6, s5
	s_cselect_b32 s3, s3, s4
	s_mul_i32 s4, s6, 0x7c0
	s_mul_hi_u32 s5, s3, 0x7c0
	s_add_i32 s5, s5, s4
	s_mul_i32 s4, s3, 0x7c0
	s_sub_u32 s4, s10, s4
	s_subb_u32 s5, s11, s5
	s_cmp_lg_u64 s[4:5], 0
	s_cselect_b64 s[4:5], -1, 0
	v_cndmask_b32_e64 v1, 0, 1, s[4:5]
	s_mov_b32 s13, 0
	v_readfirstlane_b32 s4, v1
	s_add_u32 s4, s3, s4
	s_addc_u32 s5, s6, 0
	s_add_u32 s2, s0, s2
	s_addc_u32 s3, s1, 0
	s_add_u32 s6, s4, -1
	s_addc_u32 s7, s5, -1
	v_mov_b64_e32 v[2:3], s[6:7]
	v_cmp_ge_u64_e64 s[0:1], s[2:3], v[2:3]
	s_mov_b64 s[16:17], -1
	s_and_b64 vcc, exec, s[0:1]
	s_mul_i32 s11, s6, 0xfffff840
	s_cbranch_vccz .LBB618_64
; %bb.1:
	s_add_i32 s22, s11, s10
	s_lshl_b64 s[16:17], s[12:13], 2
	s_add_u32 s16, s20, s16
	s_addc_u32 s17, s21, s17
	v_cmp_gt_u32_e32 vcc, s22, v0
                                        ; implicit-def: $vgpr1
	s_and_saveexec_b64 s[18:19], vcc
	s_cbranch_execz .LBB618_3
; %bb.2:
	v_lshlrev_b32_e32 v1, 2, v0
	global_load_dword v1, v1, s[16:17]
.LBB618_3:
	s_or_b64 exec, exec, s[18:19]
	v_or_b32_e32 v2, 64, v0
	v_cmp_gt_u32_e32 vcc, s22, v2
                                        ; implicit-def: $vgpr2
	s_and_saveexec_b64 s[18:19], vcc
	s_cbranch_execz .LBB618_5
; %bb.4:
	v_lshlrev_b32_e32 v2, 2, v0
	global_load_dword v2, v2, s[16:17] offset:256
.LBB618_5:
	s_or_b64 exec, exec, s[18:19]
	v_or_b32_e32 v3, 0x80, v0
	v_cmp_gt_u32_e32 vcc, s22, v3
                                        ; implicit-def: $vgpr3
	s_and_saveexec_b64 s[18:19], vcc
	s_cbranch_execz .LBB618_7
; %bb.6:
	v_lshlrev_b32_e32 v3, 2, v0
	global_load_dword v3, v3, s[16:17] offset:512
.LBB618_7:
	s_or_b64 exec, exec, s[18:19]
	v_or_b32_e32 v4, 0xc0, v0
	v_cmp_gt_u32_e32 vcc, s22, v4
                                        ; implicit-def: $vgpr4
	s_and_saveexec_b64 s[18:19], vcc
	s_cbranch_execz .LBB618_9
; %bb.8:
	v_lshlrev_b32_e32 v4, 2, v0
	global_load_dword v4, v4, s[16:17] offset:768
.LBB618_9:
	s_or_b64 exec, exec, s[18:19]
	v_or_b32_e32 v5, 0x100, v0
	v_cmp_gt_u32_e32 vcc, s22, v5
                                        ; implicit-def: $vgpr5
	s_and_saveexec_b64 s[18:19], vcc
	s_cbranch_execz .LBB618_11
; %bb.10:
	v_lshlrev_b32_e32 v5, 2, v0
	global_load_dword v5, v5, s[16:17] offset:1024
.LBB618_11:
	s_or_b64 exec, exec, s[18:19]
	v_or_b32_e32 v6, 0x140, v0
	v_cmp_gt_u32_e32 vcc, s22, v6
                                        ; implicit-def: $vgpr6
	s_and_saveexec_b64 s[18:19], vcc
	s_cbranch_execz .LBB618_13
; %bb.12:
	v_lshlrev_b32_e32 v6, 2, v0
	global_load_dword v6, v6, s[16:17] offset:1280
.LBB618_13:
	s_or_b64 exec, exec, s[18:19]
	v_or_b32_e32 v7, 0x180, v0
	v_cmp_gt_u32_e32 vcc, s22, v7
                                        ; implicit-def: $vgpr7
	s_and_saveexec_b64 s[18:19], vcc
	s_cbranch_execz .LBB618_15
; %bb.14:
	v_lshlrev_b32_e32 v7, 2, v0
	global_load_dword v7, v7, s[16:17] offset:1536
.LBB618_15:
	s_or_b64 exec, exec, s[18:19]
	v_or_b32_e32 v8, 0x1c0, v0
	v_cmp_gt_u32_e32 vcc, s22, v8
                                        ; implicit-def: $vgpr8
	s_and_saveexec_b64 s[18:19], vcc
	s_cbranch_execz .LBB618_17
; %bb.16:
	v_lshlrev_b32_e32 v8, 2, v0
	global_load_dword v8, v8, s[16:17] offset:1792
.LBB618_17:
	s_or_b64 exec, exec, s[18:19]
	v_or_b32_e32 v9, 0x200, v0
	v_cmp_gt_u32_e32 vcc, s22, v9
                                        ; implicit-def: $vgpr9
	s_and_saveexec_b64 s[18:19], vcc
	s_cbranch_execz .LBB618_19
; %bb.18:
	v_lshlrev_b32_e32 v9, 2, v0
	global_load_dword v9, v9, s[16:17] offset:2048
.LBB618_19:
	s_or_b64 exec, exec, s[18:19]
	v_or_b32_e32 v10, 0x240, v0
	v_cmp_gt_u32_e32 vcc, s22, v10
                                        ; implicit-def: $vgpr10
	s_and_saveexec_b64 s[18:19], vcc
	s_cbranch_execz .LBB618_21
; %bb.20:
	v_lshlrev_b32_e32 v10, 2, v0
	global_load_dword v10, v10, s[16:17] offset:2304
.LBB618_21:
	s_or_b64 exec, exec, s[18:19]
	v_or_b32_e32 v11, 0x280, v0
	v_cmp_gt_u32_e32 vcc, s22, v11
                                        ; implicit-def: $vgpr11
	s_and_saveexec_b64 s[18:19], vcc
	s_cbranch_execz .LBB618_23
; %bb.22:
	v_lshlrev_b32_e32 v11, 2, v0
	global_load_dword v11, v11, s[16:17] offset:2560
.LBB618_23:
	s_or_b64 exec, exec, s[18:19]
	v_or_b32_e32 v12, 0x2c0, v0
	v_cmp_gt_u32_e32 vcc, s22, v12
                                        ; implicit-def: $vgpr12
	s_and_saveexec_b64 s[18:19], vcc
	s_cbranch_execz .LBB618_25
; %bb.24:
	v_lshlrev_b32_e32 v12, 2, v0
	global_load_dword v12, v12, s[16:17] offset:2816
.LBB618_25:
	s_or_b64 exec, exec, s[18:19]
	v_or_b32_e32 v13, 0x300, v0
	v_cmp_gt_u32_e32 vcc, s22, v13
                                        ; implicit-def: $vgpr13
	s_and_saveexec_b64 s[18:19], vcc
	s_cbranch_execz .LBB618_27
; %bb.26:
	v_lshlrev_b32_e32 v13, 2, v0
	global_load_dword v13, v13, s[16:17] offset:3072
.LBB618_27:
	s_or_b64 exec, exec, s[18:19]
	v_or_b32_e32 v14, 0x340, v0
	v_cmp_gt_u32_e32 vcc, s22, v14
                                        ; implicit-def: $vgpr14
	s_and_saveexec_b64 s[18:19], vcc
	s_cbranch_execz .LBB618_29
; %bb.28:
	v_lshlrev_b32_e32 v14, 2, v0
	global_load_dword v14, v14, s[16:17] offset:3328
.LBB618_29:
	s_or_b64 exec, exec, s[18:19]
	v_or_b32_e32 v15, 0x380, v0
	v_cmp_gt_u32_e32 vcc, s22, v15
                                        ; implicit-def: $vgpr15
	s_and_saveexec_b64 s[18:19], vcc
	s_cbranch_execz .LBB618_31
; %bb.30:
	v_lshlrev_b32_e32 v15, 2, v0
	global_load_dword v15, v15, s[16:17] offset:3584
.LBB618_31:
	s_or_b64 exec, exec, s[18:19]
	v_or_b32_e32 v16, 0x3c0, v0
	v_cmp_gt_u32_e32 vcc, s22, v16
                                        ; implicit-def: $vgpr16
	s_and_saveexec_b64 s[18:19], vcc
	s_cbranch_execz .LBB618_33
; %bb.32:
	v_lshlrev_b32_e32 v16, 2, v0
	global_load_dword v16, v16, s[16:17] offset:3840
.LBB618_33:
	s_or_b64 exec, exec, s[18:19]
	v_or_b32_e32 v18, 0x400, v0
	v_cmp_gt_u32_e32 vcc, s22, v18
                                        ; implicit-def: $vgpr17
	s_and_saveexec_b64 s[18:19], vcc
	s_cbranch_execz .LBB618_35
; %bb.34:
	v_lshlrev_b32_e32 v17, 2, v18
	global_load_dword v17, v17, s[16:17]
.LBB618_35:
	s_or_b64 exec, exec, s[18:19]
	v_or_b32_e32 v19, 0x440, v0
	v_cmp_gt_u32_e32 vcc, s22, v19
                                        ; implicit-def: $vgpr18
	s_and_saveexec_b64 s[18:19], vcc
	s_cbranch_execz .LBB618_37
; %bb.36:
	v_lshlrev_b32_e32 v18, 2, v19
	global_load_dword v18, v18, s[16:17]
.LBB618_37:
	s_or_b64 exec, exec, s[18:19]
	v_or_b32_e32 v20, 0x480, v0
	v_cmp_gt_u32_e32 vcc, s22, v20
                                        ; implicit-def: $vgpr19
	s_and_saveexec_b64 s[18:19], vcc
	s_cbranch_execz .LBB618_39
; %bb.38:
	v_lshlrev_b32_e32 v19, 2, v20
	global_load_dword v19, v19, s[16:17]
.LBB618_39:
	s_or_b64 exec, exec, s[18:19]
	v_or_b32_e32 v21, 0x4c0, v0
	v_cmp_gt_u32_e32 vcc, s22, v21
                                        ; implicit-def: $vgpr20
	s_and_saveexec_b64 s[18:19], vcc
	s_cbranch_execz .LBB618_41
; %bb.40:
	v_lshlrev_b32_e32 v20, 2, v21
	global_load_dword v20, v20, s[16:17]
.LBB618_41:
	s_or_b64 exec, exec, s[18:19]
	v_or_b32_e32 v22, 0x500, v0
	v_cmp_gt_u32_e32 vcc, s22, v22
                                        ; implicit-def: $vgpr21
	s_and_saveexec_b64 s[18:19], vcc
	s_cbranch_execz .LBB618_43
; %bb.42:
	v_lshlrev_b32_e32 v21, 2, v22
	global_load_dword v21, v21, s[16:17]
.LBB618_43:
	s_or_b64 exec, exec, s[18:19]
	v_or_b32_e32 v23, 0x540, v0
	v_cmp_gt_u32_e32 vcc, s22, v23
                                        ; implicit-def: $vgpr22
	s_and_saveexec_b64 s[18:19], vcc
	s_cbranch_execz .LBB618_45
; %bb.44:
	v_lshlrev_b32_e32 v22, 2, v23
	global_load_dword v22, v22, s[16:17]
.LBB618_45:
	s_or_b64 exec, exec, s[18:19]
	v_or_b32_e32 v24, 0x580, v0
	v_cmp_gt_u32_e32 vcc, s22, v24
                                        ; implicit-def: $vgpr23
	s_and_saveexec_b64 s[18:19], vcc
	s_cbranch_execz .LBB618_47
; %bb.46:
	v_lshlrev_b32_e32 v23, 2, v24
	global_load_dword v23, v23, s[16:17]
.LBB618_47:
	s_or_b64 exec, exec, s[18:19]
	v_or_b32_e32 v25, 0x5c0, v0
	v_cmp_gt_u32_e32 vcc, s22, v25
                                        ; implicit-def: $vgpr24
	s_and_saveexec_b64 s[18:19], vcc
	s_cbranch_execz .LBB618_49
; %bb.48:
	v_lshlrev_b32_e32 v24, 2, v25
	global_load_dword v24, v24, s[16:17]
.LBB618_49:
	s_or_b64 exec, exec, s[18:19]
	v_or_b32_e32 v26, 0x600, v0
	v_cmp_gt_u32_e32 vcc, s22, v26
                                        ; implicit-def: $vgpr25
	s_and_saveexec_b64 s[18:19], vcc
	s_cbranch_execz .LBB618_51
; %bb.50:
	v_lshlrev_b32_e32 v25, 2, v26
	global_load_dword v25, v25, s[16:17]
.LBB618_51:
	s_or_b64 exec, exec, s[18:19]
	v_or_b32_e32 v27, 0x640, v0
	v_cmp_gt_u32_e32 vcc, s22, v27
                                        ; implicit-def: $vgpr26
	s_and_saveexec_b64 s[18:19], vcc
	s_cbranch_execz .LBB618_53
; %bb.52:
	v_lshlrev_b32_e32 v26, 2, v27
	global_load_dword v26, v26, s[16:17]
.LBB618_53:
	s_or_b64 exec, exec, s[18:19]
	v_or_b32_e32 v28, 0x680, v0
	v_cmp_gt_u32_e32 vcc, s22, v28
                                        ; implicit-def: $vgpr27
	s_and_saveexec_b64 s[18:19], vcc
	s_cbranch_execz .LBB618_55
; %bb.54:
	v_lshlrev_b32_e32 v27, 2, v28
	global_load_dword v27, v27, s[16:17]
.LBB618_55:
	s_or_b64 exec, exec, s[18:19]
	v_or_b32_e32 v29, 0x6c0, v0
	v_cmp_gt_u32_e32 vcc, s22, v29
                                        ; implicit-def: $vgpr28
	s_and_saveexec_b64 s[18:19], vcc
	s_cbranch_execz .LBB618_57
; %bb.56:
	v_lshlrev_b32_e32 v28, 2, v29
	global_load_dword v28, v28, s[16:17]
.LBB618_57:
	s_or_b64 exec, exec, s[18:19]
	v_or_b32_e32 v30, 0x700, v0
	v_cmp_gt_u32_e32 vcc, s22, v30
                                        ; implicit-def: $vgpr29
	s_and_saveexec_b64 s[18:19], vcc
	s_cbranch_execz .LBB618_59
; %bb.58:
	v_lshlrev_b32_e32 v29, 2, v30
	global_load_dword v29, v29, s[16:17]
.LBB618_59:
	s_or_b64 exec, exec, s[18:19]
	v_or_b32_e32 v31, 0x740, v0
	v_cmp_gt_u32_e32 vcc, s22, v31
                                        ; implicit-def: $vgpr30
	s_and_saveexec_b64 s[18:19], vcc
	s_cbranch_execz .LBB618_61
; %bb.60:
	v_lshlrev_b32_e32 v30, 2, v31
	global_load_dword v30, v30, s[16:17]
.LBB618_61:
	s_or_b64 exec, exec, s[18:19]
	v_or_b32_e32 v32, 0x780, v0
	v_cmp_gt_u32_e32 vcc, s22, v32
                                        ; implicit-def: $vgpr31
	s_and_saveexec_b64 s[18:19], vcc
	s_cbranch_execz .LBB618_63
; %bb.62:
	v_lshlrev_b32_e32 v31, 2, v32
	global_load_dword v31, v31, s[16:17]
.LBB618_63:
	s_or_b64 exec, exec, s[18:19]
	v_lshlrev_b32_e32 v32, 2, v0
	s_mov_b64 s[16:17], 0
	s_waitcnt vmcnt(0)
	ds_write2st64_b32 v32, v1, v2 offset1:1
	ds_write2st64_b32 v32, v3, v4 offset0:2 offset1:3
	ds_write2st64_b32 v32, v5, v6 offset0:4 offset1:5
	;; [unrolled: 1-line block ×14, first 2 shown]
	ds_write_b32 v32, v31 offset:7680
	s_waitcnt lgkmcnt(0)
	; wave barrier
.LBB618_64:
	s_and_b64 vcc, exec, s[16:17]
	v_lshlrev_b32_e32 v2, 2, v0
	s_cbranch_vccz .LBB618_66
; %bb.65:
	s_lshl_b64 s[16:17], s[12:13], 2
	s_add_u32 s16, s20, s16
	s_addc_u32 s17, s21, s17
	v_mov_b32_e32 v3, 0
	v_lshl_add_u64 v[4:5], s[16:17], 0, v[2:3]
	s_movk_i32 s13, 0x1000
	v_add_co_u32_e32 v4, vcc, s13, v4
	global_load_dword v1, v2, s[16:17]
	global_load_dword v3, v2, s[16:17] offset:256
	global_load_dword v6, v2, s[16:17] offset:512
	;; [unrolled: 1-line block ×15, first 2 shown]
	v_addc_co_u32_e32 v5, vcc, 0, v5, vcc
	global_load_dword v20, v[4:5], off
	global_load_dword v21, v[4:5], off offset:256
	global_load_dword v22, v[4:5], off offset:512
	;; [unrolled: 1-line block ×14, first 2 shown]
	s_waitcnt vmcnt(29)
	ds_write2st64_b32 v2, v1, v3 offset1:1
	s_waitcnt vmcnt(27)
	ds_write2st64_b32 v2, v6, v7 offset0:2 offset1:3
	s_waitcnt vmcnt(25)
	ds_write2st64_b32 v2, v8, v9 offset0:4 offset1:5
	;; [unrolled: 2-line block ×14, first 2 shown]
	s_waitcnt vmcnt(0)
	ds_write_b32 v2, v34 offset:7680
	s_waitcnt lgkmcnt(0)
	; wave barrier
.LBB618_66:
	v_mul_u32_u24_e32 v1, 31, v0
	v_lshlrev_b32_e32 v1, 2, v1
	s_waitcnt lgkmcnt(0)
	ds_read_b32 v3, v1 offset:120
	ds_read2_b32 v[60:61], v1 offset0:28 offset1:29
	ds_read2_b32 v[58:59], v1 offset0:26 offset1:27
	ds_read2_b32 v[32:33], v1 offset1:25
	ds_read2_b32 v[34:35], v1 offset0:1 offset1:2
	ds_read2_b32 v[36:37], v1 offset0:3 offset1:4
	;; [unrolled: 1-line block ×12, first 2 shown]
	s_cmp_eq_u64 s[2:3], 0
	s_waitcnt lgkmcnt(0)
	; wave barrier
	s_waitcnt lgkmcnt(0)
	s_cbranch_scc1 .LBB618_71
; %bb.67:
	s_mov_b32 s13, 0
	s_lshl_b64 s[16:17], s[12:13], 2
	s_add_u32 s13, s20, s16
	s_addc_u32 s17, s21, s17
	s_add_u32 s16, s13, -4
	s_addc_u32 s17, s17, -1
	s_load_dword s13, s[16:17], 0x0
	s_cmp_eq_u64 s[2:3], s[6:7]
	s_cbranch_scc1 .LBB618_72
; %bb.68:
	v_cmp_ne_u32_e32 vcc, 0, v0
	s_waitcnt lgkmcnt(0)
	v_mov_b32_e32 v62, s13
	ds_write_b32 v2, v3
	s_waitcnt lgkmcnt(0)
	; wave barrier
	s_waitcnt lgkmcnt(0)
	s_and_saveexec_b64 s[6:7], vcc
	s_cbranch_execz .LBB618_70
; %bb.69:
	v_add_u32_e32 v1, -4, v2
	ds_read_b32 v62, v1
.LBB618_70:
	s_or_b64 exec, exec, s[6:7]
	v_mov_b32_e32 v4, v59
	v_mov_b32_e32 v5, v60
	;; [unrolled: 1-line block ×28, first 2 shown]
	v_add_f32_e32 v1, v3, v61
	v_pk_add_f32 v[4:5], v[60:61], v[4:5]
	v_pk_add_f32 v[6:7], v[58:59], v[6:7]
	;; [unrolled: 1-line block ×14, first 2 shown]
	v_add_f32_e32 v65, v32, v34
	s_waitcnt lgkmcnt(0)
	v_add_f32_e32 v64, v32, v62
	s_branch .LBB618_76
.LBB618_71:
                                        ; implicit-def: $vgpr65
                                        ; implicit-def: $vgpr64
                                        ; implicit-def: $vgpr4_vgpr5
                                        ; implicit-def: $vgpr6_vgpr7
                                        ; implicit-def: $vgpr8_vgpr9
                                        ; implicit-def: $vgpr10_vgpr11
                                        ; implicit-def: $vgpr12_vgpr13
                                        ; implicit-def: $vgpr14_vgpr15
                                        ; implicit-def: $vgpr16_vgpr17
                                        ; implicit-def: $vgpr18_vgpr19
                                        ; implicit-def: $vgpr20_vgpr21
                                        ; implicit-def: $vgpr22_vgpr23
                                        ; implicit-def: $vgpr24_vgpr25
                                        ; implicit-def: $vgpr26_vgpr27
                                        ; implicit-def: $vgpr28_vgpr29
                                        ; implicit-def: $vgpr30_vgpr31
                                        ; implicit-def: $vgpr1
	s_branch .LBB618_77
.LBB618_72:
                                        ; implicit-def: $vgpr65
                                        ; implicit-def: $vgpr64
                                        ; implicit-def: $vgpr4_vgpr5
                                        ; implicit-def: $vgpr6_vgpr7
                                        ; implicit-def: $vgpr8_vgpr9
                                        ; implicit-def: $vgpr10_vgpr11
                                        ; implicit-def: $vgpr12_vgpr13
                                        ; implicit-def: $vgpr14_vgpr15
                                        ; implicit-def: $vgpr16_vgpr17
                                        ; implicit-def: $vgpr18_vgpr19
                                        ; implicit-def: $vgpr20_vgpr21
                                        ; implicit-def: $vgpr22_vgpr23
                                        ; implicit-def: $vgpr24_vgpr25
                                        ; implicit-def: $vgpr26_vgpr27
                                        ; implicit-def: $vgpr28_vgpr29
                                        ; implicit-def: $vgpr30_vgpr31
                                        ; implicit-def: $vgpr1
	s_cbranch_execz .LBB618_76
; %bb.73:
	v_mul_u32_u24_e32 v62, 31, v0
	v_cmp_ne_u32_e32 vcc, 0, v0
	s_waitcnt lgkmcnt(0)
	v_mov_b32_e32 v63, s13
	ds_write_b32 v2, v3
	s_waitcnt lgkmcnt(0)
	; wave barrier
	s_waitcnt lgkmcnt(0)
	s_and_saveexec_b64 s[6:7], vcc
	s_cbranch_execz .LBB618_75
; %bb.74:
	v_add_u32_e32 v1, -4, v2
	ds_read_b32 v63, v1
.LBB618_75:
	s_or_b64 exec, exec, s[6:7]
	s_mulk_i32 s2, 0xf840
	s_add_i32 s2, s2, s10
	v_add_u32_e32 v1, 30, v62
	v_add_f32_e32 v4, v3, v61
	v_cmp_gt_u32_e32 vcc, s2, v1
	v_add_u32_e32 v6, 29, v62
	v_mov_b32_e32 v5, v60
	v_cndmask_b32_e32 v1, v3, v4, vcc
	v_mov_b32_e32 v4, v59
	v_add_u32_e32 v7, 28, v62
	v_pk_add_f32 v[4:5], v[60:61], v[4:5]
	v_cmp_gt_u32_e32 vcc, s2, v6
	v_mov_b32_e32 v6, v33
	v_add_u32_e32 v8, 27, v62
	v_cndmask_b32_e32 v5, v61, v5, vcc
	v_cmp_gt_u32_e32 vcc, s2, v7
	v_mov_b32_e32 v7, v58
	v_pk_add_f32 v[6:7], v[58:59], v[6:7]
	v_cndmask_b32_e32 v4, v60, v4, vcc
	v_add_u32_e32 v9, 26, v62
	v_cmp_gt_u32_e32 vcc, s2, v8
	v_mov_b32_e32 v8, v57
	v_add_u32_e32 v10, 25, v62
	v_cndmask_b32_e32 v7, v59, v7, vcc
	v_cmp_gt_u32_e32 vcc, s2, v9
	v_mov_b32_e32 v9, v33
	v_pk_add_f32 v[8:9], v[56:57], v[8:9]
	v_cndmask_b32_e32 v6, v58, v6, vcc
	v_add_u32_e32 v11, 24, v62
	;; [unrolled: 9-line block ×13, first 2 shown]
	v_cmp_gt_u32_e32 vcc, s2, v64
	v_add_u32_e32 v64, 1, v62
	s_waitcnt lgkmcnt(0)
	v_add_f32_e32 v63, v32, v63
	v_cndmask_b32_e32 v31, v36, v31, vcc
	v_cmp_gt_u32_e32 vcc, s2, v65
	v_add_f32_e32 v65, v32, v34
	s_nop 0
	v_cndmask_b32_e32 v30, v35, v30, vcc
	v_cmp_gt_u32_e32 vcc, s2, v64
	s_nop 1
	v_cndmask_b32_e32 v65, v34, v65, vcc
	v_cmp_gt_u32_e32 vcc, s2, v62
	s_nop 1
	v_cndmask_b32_e32 v64, v32, v63, vcc
.LBB618_76:
	s_cbranch_execnz .LBB618_85
.LBB618_77:
	s_cmp_eq_u64 s[4:5], 1
	v_cmp_ne_u32_e32 vcc, 0, v0
	s_cbranch_scc1 .LBB618_81
; %bb.78:
	v_mov_b32_e32 v4, v59
	v_mov_b32_e32 v5, v60
	;; [unrolled: 1-line block ×29, first 2 shown]
	ds_write_b32 v2, v3
	s_waitcnt lgkmcnt(0)
	; wave barrier
	s_waitcnt lgkmcnt(0)
	s_and_saveexec_b64 s[2:3], vcc
	s_cbranch_execz .LBB618_80
; %bb.79:
	v_add_u32_e32 v1, -4, v2
	ds_read_b32 v1, v1
	s_waitcnt lgkmcnt(0)
	v_add_f32_e32 v64, v32, v1
.LBB618_80:
	s_or_b64 exec, exec, s[2:3]
	v_add_f32_e32 v1, v3, v61
	v_pk_add_f32 v[4:5], v[60:61], v[4:5]
	v_pk_add_f32 v[6:7], v[58:59], v[6:7]
	;; [unrolled: 1-line block ×14, first 2 shown]
	v_add_f32_e32 v65, v32, v34
	s_cbranch_execz .LBB618_82
	s_branch .LBB618_85
.LBB618_81:
                                        ; implicit-def: $vgpr65
                                        ; implicit-def: $vgpr64
                                        ; implicit-def: $vgpr4_vgpr5
                                        ; implicit-def: $vgpr6_vgpr7
                                        ; implicit-def: $vgpr8_vgpr9
                                        ; implicit-def: $vgpr10_vgpr11
                                        ; implicit-def: $vgpr12_vgpr13
                                        ; implicit-def: $vgpr14_vgpr15
                                        ; implicit-def: $vgpr16_vgpr17
                                        ; implicit-def: $vgpr18_vgpr19
                                        ; implicit-def: $vgpr20_vgpr21
                                        ; implicit-def: $vgpr22_vgpr23
                                        ; implicit-def: $vgpr24_vgpr25
                                        ; implicit-def: $vgpr26_vgpr27
                                        ; implicit-def: $vgpr28_vgpr29
                                        ; implicit-def: $vgpr30_vgpr31
                                        ; implicit-def: $vgpr1
.LBB618_82:
	v_mad_u32_u24 v6, v0, 31, 29
	v_mov_b32_e32 v4, v59
	v_mov_b32_e32 v5, v60
	v_mad_u32_u24 v7, v0, 31, 28
	v_pk_add_f32 v[4:5], v[60:61], v[4:5]
	v_cmp_gt_u32_e64 s[2:3], s10, v6
	v_mov_b32_e32 v6, v33
	v_mad_u32_u24 v8, v0, 31, 27
	v_cndmask_b32_e64 v5, v61, v5, s[2:3]
	v_cmp_gt_u32_e64 s[2:3], s10, v7
	v_mov_b32_e32 v7, v58
	v_pk_add_f32 v[6:7], v[58:59], v[6:7]
	v_cndmask_b32_e64 v4, v60, v4, s[2:3]
	v_mad_u32_u24 v9, v0, 31, 26
	v_cmp_gt_u32_e64 s[2:3], s10, v8
	v_mov_b32_e32 v8, v57
	v_mad_u32_u24 v10, v0, 31, 25
	v_cndmask_b32_e64 v7, v59, v7, s[2:3]
	v_cmp_gt_u32_e64 s[2:3], s10, v9
	v_mov_b32_e32 v9, v33
	v_pk_add_f32 v[8:9], v[56:57], v[8:9]
	v_cndmask_b32_e64 v6, v58, v6, s[2:3]
	v_mad_u32_u24 v11, v0, 31, 24
	;; [unrolled: 9-line block ×12, first 2 shown]
	v_cmp_gt_u32_e64 s[2:3], s10, v30
	v_mov_b32_e32 v30, v35
	v_mad_u32_u24 v33, v0, 31, 3
	v_cndmask_b32_e64 v29, v38, v29, s[2:3]
	v_cmp_gt_u32_e64 s[2:3], s10, v31
	v_mov_b32_e32 v31, v36
	v_mul_u32_u24_e32 v62, 31, v0
	v_cndmask_b32_e64 v28, v37, v28, s[2:3]
	v_pk_add_f32 v[30:31], v[34:35], v[30:31]
	v_mad_u32_u24 v37, v0, 31, 2
	v_cmp_gt_u32_e64 s[2:3], s10, v33
	v_mad_u32_u24 v1, v0, 31, 30
	v_mad_u32_u24 v33, v0, 31, 1
	v_cndmask_b32_e64 v31, v36, v31, s[2:3]
	v_cmp_gt_u32_e64 s[2:3], s10, v37
	v_cmp_ne_u32_e64 s[4:5], 0, v0
	v_cmp_gt_u32_e64 s[6:7], s10, v62
	v_cmp_gt_u32_e32 vcc, s10, v1
	v_add_f32_e32 v1, v3, v61
	v_cndmask_b32_e64 v30, v35, v30, s[2:3]
	v_cmp_gt_u32_e64 s[2:3], s10, v33
	v_add_f32_e32 v33, v32, v34
	s_and_b64 s[6:7], s[4:5], s[6:7]
	ds_write_b32 v2, v3
	s_waitcnt lgkmcnt(0)
	; wave barrier
	s_waitcnt lgkmcnt(0)
	s_and_saveexec_b64 s[4:5], s[6:7]
	s_cbranch_execz .LBB618_84
; %bb.83:
	v_add_u32_e32 v35, -4, v2
	ds_read_b32 v35, v35
	s_waitcnt lgkmcnt(0)
	v_add_f32_e32 v32, v32, v35
.LBB618_84:
	s_or_b64 exec, exec, s[4:5]
	v_cndmask_b32_e32 v1, v3, v1, vcc
	v_cndmask_b32_e64 v65, v34, v33, s[2:3]
	v_mov_b32_e32 v64, v32
.LBB618_85:
	s_add_u32 s4, s8, s14
	s_addc_u32 s5, s9, s15
	s_and_b64 vcc, exec, s[0:1]
	s_waitcnt lgkmcnt(0)
	; wave barrier
	s_waitcnt lgkmcnt(0)
	s_cbranch_vccz .LBB618_147
; %bb.86:
	s_movk_i32 s2, 0x7c
	v_mul_i32_i24_e32 v67, 0xffffff88, v0
	v_mul_u32_u24_e32 v66, 0x7c, v0
	v_mad_u32_u24 v3, v0, s2, v67
	ds_write2_b32 v66, v64, v65 offset1:1
	ds_write2_b32 v66, v30, v31 offset0:2 offset1:3
	ds_write2_b32 v66, v28, v29 offset0:4 offset1:5
	ds_write2_b32 v66, v26, v27 offset0:6 offset1:7
	ds_write2_b32 v66, v24, v25 offset0:8 offset1:9
	ds_write2_b32 v66, v22, v23 offset0:10 offset1:11
	ds_write2_b32 v66, v20, v21 offset0:12 offset1:13
	ds_write2_b32 v66, v18, v19 offset0:14 offset1:15
	ds_write2_b32 v66, v16, v17 offset0:16 offset1:17
	ds_write2_b32 v66, v14, v15 offset0:18 offset1:19
	ds_write2_b32 v66, v12, v13 offset0:20 offset1:21
	ds_write2_b32 v66, v10, v11 offset0:22 offset1:23
	ds_write2_b32 v66, v8, v9 offset0:24 offset1:25
	ds_write2_b32 v66, v6, v7 offset0:26 offset1:27
	ds_write2_b32 v66, v4, v5 offset0:28 offset1:29
	ds_write_b32 v66, v1 offset:120
	s_waitcnt lgkmcnt(0)
	; wave barrier
	s_waitcnt lgkmcnt(0)
	ds_read2st64_b32 v[62:63], v3 offset0:1 offset1:2
	ds_read2st64_b32 v[60:61], v3 offset0:3 offset1:4
	;; [unrolled: 1-line block ×15, first 2 shown]
	s_mov_b32 s13, 0
	s_add_i32 s11, s11, s10
	s_lshl_b64 s[0:1], s[12:13], 2
	s_add_u32 s0, s4, s0
	s_addc_u32 s1, s5, s1
	v_mov_b32_e32 v3, 0
	v_lshl_add_u64 v[34:35], s[0:1], 0, v[2:3]
	v_cmp_gt_u32_e32 vcc, s11, v0
	s_and_saveexec_b64 s[0:1], vcc
	s_cbranch_execz .LBB618_88
; %bb.87:
	v_add_u32_e32 v3, v66, v67
	ds_read_b32 v3, v3
	s_waitcnt lgkmcnt(0)
	global_store_dword v[34:35], v3, off
.LBB618_88:
	s_or_b64 exec, exec, s[0:1]
	v_or_b32_e32 v3, 64, v0
	v_cmp_gt_u32_e32 vcc, s11, v3
	s_and_saveexec_b64 s[0:1], vcc
	s_cbranch_execz .LBB618_90
; %bb.89:
	s_waitcnt lgkmcnt(14)
	global_store_dword v[34:35], v62, off offset:256
.LBB618_90:
	s_or_b64 exec, exec, s[0:1]
	v_or_b32_e32 v3, 0x80, v0
	v_cmp_gt_u32_e32 vcc, s11, v3
	s_and_saveexec_b64 s[0:1], vcc
	s_cbranch_execz .LBB618_92
; %bb.91:
	s_waitcnt lgkmcnt(14)
	global_store_dword v[34:35], v63, off offset:512
.LBB618_92:
	;; [unrolled: 9-line block ×15, first 2 shown]
	s_or_b64 exec, exec, s[0:1]
	v_or_b32_e32 v3, 0x400, v0
	v_cmp_gt_u32_e32 vcc, s11, v3
	s_and_saveexec_b64 s[0:1], vcc
	s_cbranch_execz .LBB618_120
; %bb.119:
	s_waitcnt lgkmcnt(8)
	v_add_co_u32_e32 v50, vcc, 0x1000, v34
	s_nop 1
	v_addc_co_u32_e32 v51, vcc, 0, v35, vcc
	s_waitcnt lgkmcnt(7)
	global_store_dword v[50:51], v49, off
.LBB618_120:
	s_or_b64 exec, exec, s[0:1]
	v_or_b32_e32 v3, 0x440, v0
	v_cmp_gt_u32_e32 vcc, s11, v3
	s_and_saveexec_b64 s[0:1], vcc
	s_cbranch_execz .LBB618_122
; %bb.121:
	s_waitcnt lgkmcnt(7)
	v_add_co_u32_e32 v48, vcc, 0x1000, v34
	s_nop 1
	v_addc_co_u32_e32 v49, vcc, 0, v35, vcc
	s_waitcnt lgkmcnt(6)
	global_store_dword v[48:49], v46, off offset:256
.LBB618_122:
	s_or_b64 exec, exec, s[0:1]
	v_or_b32_e32 v3, 0x480, v0
	v_cmp_gt_u32_e32 vcc, s11, v3
	s_and_saveexec_b64 s[0:1], vcc
	s_cbranch_execz .LBB618_124
; %bb.123:
	s_waitcnt lgkmcnt(7)
	v_add_co_u32_e32 v48, vcc, 0x1000, v34
	s_nop 1
	v_addc_co_u32_e32 v49, vcc, 0, v35, vcc
	s_waitcnt lgkmcnt(6)
	global_store_dword v[48:49], v47, off offset:512
.LBB618_124:
	;; [unrolled: 13-line block ×13, first 2 shown]
	s_or_b64 exec, exec, s[0:1]
	v_or_b32_e32 v3, 0x780, v0
	v_cmp_gt_u32_e64 s[0:1], s11, v3
	s_branch .LBB618_149
.LBB618_147:
	s_mov_b64 s[0:1], 0
                                        ; implicit-def: $vgpr33
                                        ; implicit-def: $vgpr34_vgpr35
	s_cbranch_execz .LBB618_149
; %bb.148:
	s_mov_b32 s13, 0
	s_lshl_b64 s[2:3], s[12:13], 2
	v_mul_u32_u24_e32 v3, 0x7c, v0
	s_add_u32 s2, s4, s2
	s_movk_i32 s4, 0x7c
	ds_write2_b32 v3, v64, v65 offset1:1
	ds_write2_b32 v3, v30, v31 offset0:2 offset1:3
	ds_write2_b32 v3, v28, v29 offset0:4 offset1:5
	;; [unrolled: 1-line block ×14, first 2 shown]
	ds_write_b32 v3, v1 offset:120
	v_mul_i32_i24_e32 v1, 0xffffff88, v0
	v_mad_u32_u24 v3, v0, s4, v1
	s_addc_u32 s3, s5, s3
	s_waitcnt lgkmcnt(0)
	; wave barrier
	s_waitcnt lgkmcnt(0)
	ds_read2st64_b32 v[0:1], v3 offset1:1
	ds_read2st64_b32 v[4:5], v3 offset0:2 offset1:3
	ds_read2st64_b32 v[6:7], v3 offset0:4 offset1:5
	;; [unrolled: 1-line block ×14, first 2 shown]
	ds_read_b32 v33, v3 offset:7680
	v_mov_b32_e32 v3, 0
	v_lshl_add_u64 v[34:35], s[2:3], 0, v[2:3]
	s_waitcnt lgkmcnt(14)
	global_store_dword v2, v0, s[2:3]
	global_store_dword v2, v1, s[2:3] offset:256
	global_store_dword v2, v4, s[2:3] offset:512
	;; [unrolled: 1-line block ×3, first 2 shown]
	s_waitcnt lgkmcnt(13)
	global_store_dword v2, v6, s[2:3] offset:1024
	global_store_dword v2, v7, s[2:3] offset:1280
	s_waitcnt lgkmcnt(12)
	global_store_dword v2, v8, s[2:3] offset:1536
	global_store_dword v2, v9, s[2:3] offset:1792
	;; [unrolled: 3-line block ×6, first 2 shown]
	s_movk_i32 s2, 0x1000
	v_add_co_u32_e32 v0, vcc, s2, v34
	s_or_b64 s[0:1], s[0:1], exec
	s_nop 0
	v_addc_co_u32_e32 v1, vcc, 0, v35, vcc
	s_waitcnt lgkmcnt(7)
	global_store_dword v[0:1], v18, off
	global_store_dword v[0:1], v19, off offset:256
	s_waitcnt lgkmcnt(6)
	global_store_dword v[0:1], v20, off offset:512
	global_store_dword v[0:1], v21, off offset:768
	s_waitcnt lgkmcnt(5)
	global_store_dword v[0:1], v22, off offset:1024
	;; [unrolled: 3-line block ×6, first 2 shown]
	global_store_dword v[0:1], v31, off offset:3328
.LBB618_149:
	s_and_saveexec_b64 s[2:3], s[0:1]
	s_cbranch_execnz .LBB618_151
; %bb.150:
	s_endpgm
.LBB618_151:
	v_add_co_u32_e32 v0, vcc, 0x1000, v34
	s_nop 1
	v_addc_co_u32_e32 v1, vcc, 0, v35, vcc
	s_waitcnt lgkmcnt(0)
	global_store_dword v[0:1], v33, off offset:3584
	s_endpgm
	.section	.rodata,"a",@progbits
	.p2align	6, 0x0
	.amdhsa_kernel _ZN7rocprim17ROCPRIM_400000_NS6detail17trampoline_kernelINS0_14default_configENS1_35adjacent_difference_config_selectorILb0EfEEZNS1_24adjacent_difference_implIS3_Lb0ELb0EPKfPfN6thrust23THRUST_200600_302600_NS4plusIfEEEE10hipError_tPvRmT2_T3_mT4_P12ihipStream_tbEUlT_E_NS1_11comp_targetILNS1_3genE5ELNS1_11target_archE942ELNS1_3gpuE9ELNS1_3repE0EEENS1_30default_config_static_selectorELNS0_4arch9wavefront6targetE1EEEvT1_
		.amdhsa_group_segment_fixed_size 7936
		.amdhsa_private_segment_fixed_size 0
		.amdhsa_kernarg_size 56
		.amdhsa_user_sgpr_count 2
		.amdhsa_user_sgpr_dispatch_ptr 0
		.amdhsa_user_sgpr_queue_ptr 0
		.amdhsa_user_sgpr_kernarg_segment_ptr 1
		.amdhsa_user_sgpr_dispatch_id 0
		.amdhsa_user_sgpr_kernarg_preload_length 0
		.amdhsa_user_sgpr_kernarg_preload_offset 0
		.amdhsa_user_sgpr_private_segment_size 0
		.amdhsa_uses_dynamic_stack 0
		.amdhsa_enable_private_segment 0
		.amdhsa_system_sgpr_workgroup_id_x 1
		.amdhsa_system_sgpr_workgroup_id_y 0
		.amdhsa_system_sgpr_workgroup_id_z 0
		.amdhsa_system_sgpr_workgroup_info 0
		.amdhsa_system_vgpr_workitem_id 0
		.amdhsa_next_free_vgpr 68
		.amdhsa_next_free_sgpr 23
		.amdhsa_accum_offset 68
		.amdhsa_reserve_vcc 1
		.amdhsa_float_round_mode_32 0
		.amdhsa_float_round_mode_16_64 0
		.amdhsa_float_denorm_mode_32 3
		.amdhsa_float_denorm_mode_16_64 3
		.amdhsa_dx10_clamp 1
		.amdhsa_ieee_mode 1
		.amdhsa_fp16_overflow 0
		.amdhsa_tg_split 0
		.amdhsa_exception_fp_ieee_invalid_op 0
		.amdhsa_exception_fp_denorm_src 0
		.amdhsa_exception_fp_ieee_div_zero 0
		.amdhsa_exception_fp_ieee_overflow 0
		.amdhsa_exception_fp_ieee_underflow 0
		.amdhsa_exception_fp_ieee_inexact 0
		.amdhsa_exception_int_div_zero 0
	.end_amdhsa_kernel
	.section	.text._ZN7rocprim17ROCPRIM_400000_NS6detail17trampoline_kernelINS0_14default_configENS1_35adjacent_difference_config_selectorILb0EfEEZNS1_24adjacent_difference_implIS3_Lb0ELb0EPKfPfN6thrust23THRUST_200600_302600_NS4plusIfEEEE10hipError_tPvRmT2_T3_mT4_P12ihipStream_tbEUlT_E_NS1_11comp_targetILNS1_3genE5ELNS1_11target_archE942ELNS1_3gpuE9ELNS1_3repE0EEENS1_30default_config_static_selectorELNS0_4arch9wavefront6targetE1EEEvT1_,"axG",@progbits,_ZN7rocprim17ROCPRIM_400000_NS6detail17trampoline_kernelINS0_14default_configENS1_35adjacent_difference_config_selectorILb0EfEEZNS1_24adjacent_difference_implIS3_Lb0ELb0EPKfPfN6thrust23THRUST_200600_302600_NS4plusIfEEEE10hipError_tPvRmT2_T3_mT4_P12ihipStream_tbEUlT_E_NS1_11comp_targetILNS1_3genE5ELNS1_11target_archE942ELNS1_3gpuE9ELNS1_3repE0EEENS1_30default_config_static_selectorELNS0_4arch9wavefront6targetE1EEEvT1_,comdat
.Lfunc_end618:
	.size	_ZN7rocprim17ROCPRIM_400000_NS6detail17trampoline_kernelINS0_14default_configENS1_35adjacent_difference_config_selectorILb0EfEEZNS1_24adjacent_difference_implIS3_Lb0ELb0EPKfPfN6thrust23THRUST_200600_302600_NS4plusIfEEEE10hipError_tPvRmT2_T3_mT4_P12ihipStream_tbEUlT_E_NS1_11comp_targetILNS1_3genE5ELNS1_11target_archE942ELNS1_3gpuE9ELNS1_3repE0EEENS1_30default_config_static_selectorELNS0_4arch9wavefront6targetE1EEEvT1_, .Lfunc_end618-_ZN7rocprim17ROCPRIM_400000_NS6detail17trampoline_kernelINS0_14default_configENS1_35adjacent_difference_config_selectorILb0EfEEZNS1_24adjacent_difference_implIS3_Lb0ELb0EPKfPfN6thrust23THRUST_200600_302600_NS4plusIfEEEE10hipError_tPvRmT2_T3_mT4_P12ihipStream_tbEUlT_E_NS1_11comp_targetILNS1_3genE5ELNS1_11target_archE942ELNS1_3gpuE9ELNS1_3repE0EEENS1_30default_config_static_selectorELNS0_4arch9wavefront6targetE1EEEvT1_
                                        ; -- End function
	.section	.AMDGPU.csdata,"",@progbits
; Kernel info:
; codeLenInByte = 7176
; NumSgprs: 29
; NumVgprs: 68
; NumAgprs: 0
; TotalNumVgprs: 68
; ScratchSize: 0
; MemoryBound: 0
; FloatMode: 240
; IeeeMode: 1
; LDSByteSize: 7936 bytes/workgroup (compile time only)
; SGPRBlocks: 3
; VGPRBlocks: 8
; NumSGPRsForWavesPerEU: 29
; NumVGPRsForWavesPerEU: 68
; AccumOffset: 68
; Occupancy: 2
; WaveLimiterHint : 1
; COMPUTE_PGM_RSRC2:SCRATCH_EN: 0
; COMPUTE_PGM_RSRC2:USER_SGPR: 2
; COMPUTE_PGM_RSRC2:TRAP_HANDLER: 0
; COMPUTE_PGM_RSRC2:TGID_X_EN: 1
; COMPUTE_PGM_RSRC2:TGID_Y_EN: 0
; COMPUTE_PGM_RSRC2:TGID_Z_EN: 0
; COMPUTE_PGM_RSRC2:TIDIG_COMP_CNT: 0
; COMPUTE_PGM_RSRC3_GFX90A:ACCUM_OFFSET: 16
; COMPUTE_PGM_RSRC3_GFX90A:TG_SPLIT: 0
	.section	.text._ZN7rocprim17ROCPRIM_400000_NS6detail17trampoline_kernelINS0_14default_configENS1_35adjacent_difference_config_selectorILb0EfEEZNS1_24adjacent_difference_implIS3_Lb0ELb0EPKfPfN6thrust23THRUST_200600_302600_NS4plusIfEEEE10hipError_tPvRmT2_T3_mT4_P12ihipStream_tbEUlT_E_NS1_11comp_targetILNS1_3genE4ELNS1_11target_archE910ELNS1_3gpuE8ELNS1_3repE0EEENS1_30default_config_static_selectorELNS0_4arch9wavefront6targetE1EEEvT1_,"axG",@progbits,_ZN7rocprim17ROCPRIM_400000_NS6detail17trampoline_kernelINS0_14default_configENS1_35adjacent_difference_config_selectorILb0EfEEZNS1_24adjacent_difference_implIS3_Lb0ELb0EPKfPfN6thrust23THRUST_200600_302600_NS4plusIfEEEE10hipError_tPvRmT2_T3_mT4_P12ihipStream_tbEUlT_E_NS1_11comp_targetILNS1_3genE4ELNS1_11target_archE910ELNS1_3gpuE8ELNS1_3repE0EEENS1_30default_config_static_selectorELNS0_4arch9wavefront6targetE1EEEvT1_,comdat
	.protected	_ZN7rocprim17ROCPRIM_400000_NS6detail17trampoline_kernelINS0_14default_configENS1_35adjacent_difference_config_selectorILb0EfEEZNS1_24adjacent_difference_implIS3_Lb0ELb0EPKfPfN6thrust23THRUST_200600_302600_NS4plusIfEEEE10hipError_tPvRmT2_T3_mT4_P12ihipStream_tbEUlT_E_NS1_11comp_targetILNS1_3genE4ELNS1_11target_archE910ELNS1_3gpuE8ELNS1_3repE0EEENS1_30default_config_static_selectorELNS0_4arch9wavefront6targetE1EEEvT1_ ; -- Begin function _ZN7rocprim17ROCPRIM_400000_NS6detail17trampoline_kernelINS0_14default_configENS1_35adjacent_difference_config_selectorILb0EfEEZNS1_24adjacent_difference_implIS3_Lb0ELb0EPKfPfN6thrust23THRUST_200600_302600_NS4plusIfEEEE10hipError_tPvRmT2_T3_mT4_P12ihipStream_tbEUlT_E_NS1_11comp_targetILNS1_3genE4ELNS1_11target_archE910ELNS1_3gpuE8ELNS1_3repE0EEENS1_30default_config_static_selectorELNS0_4arch9wavefront6targetE1EEEvT1_
	.globl	_ZN7rocprim17ROCPRIM_400000_NS6detail17trampoline_kernelINS0_14default_configENS1_35adjacent_difference_config_selectorILb0EfEEZNS1_24adjacent_difference_implIS3_Lb0ELb0EPKfPfN6thrust23THRUST_200600_302600_NS4plusIfEEEE10hipError_tPvRmT2_T3_mT4_P12ihipStream_tbEUlT_E_NS1_11comp_targetILNS1_3genE4ELNS1_11target_archE910ELNS1_3gpuE8ELNS1_3repE0EEENS1_30default_config_static_selectorELNS0_4arch9wavefront6targetE1EEEvT1_
	.p2align	8
	.type	_ZN7rocprim17ROCPRIM_400000_NS6detail17trampoline_kernelINS0_14default_configENS1_35adjacent_difference_config_selectorILb0EfEEZNS1_24adjacent_difference_implIS3_Lb0ELb0EPKfPfN6thrust23THRUST_200600_302600_NS4plusIfEEEE10hipError_tPvRmT2_T3_mT4_P12ihipStream_tbEUlT_E_NS1_11comp_targetILNS1_3genE4ELNS1_11target_archE910ELNS1_3gpuE8ELNS1_3repE0EEENS1_30default_config_static_selectorELNS0_4arch9wavefront6targetE1EEEvT1_,@function
_ZN7rocprim17ROCPRIM_400000_NS6detail17trampoline_kernelINS0_14default_configENS1_35adjacent_difference_config_selectorILb0EfEEZNS1_24adjacent_difference_implIS3_Lb0ELb0EPKfPfN6thrust23THRUST_200600_302600_NS4plusIfEEEE10hipError_tPvRmT2_T3_mT4_P12ihipStream_tbEUlT_E_NS1_11comp_targetILNS1_3genE4ELNS1_11target_archE910ELNS1_3gpuE8ELNS1_3repE0EEENS1_30default_config_static_selectorELNS0_4arch9wavefront6targetE1EEEvT1_: ; @_ZN7rocprim17ROCPRIM_400000_NS6detail17trampoline_kernelINS0_14default_configENS1_35adjacent_difference_config_selectorILb0EfEEZNS1_24adjacent_difference_implIS3_Lb0ELb0EPKfPfN6thrust23THRUST_200600_302600_NS4plusIfEEEE10hipError_tPvRmT2_T3_mT4_P12ihipStream_tbEUlT_E_NS1_11comp_targetILNS1_3genE4ELNS1_11target_archE910ELNS1_3gpuE8ELNS1_3repE0EEENS1_30default_config_static_selectorELNS0_4arch9wavefront6targetE1EEEvT1_
; %bb.0:
	.section	.rodata,"a",@progbits
	.p2align	6, 0x0
	.amdhsa_kernel _ZN7rocprim17ROCPRIM_400000_NS6detail17trampoline_kernelINS0_14default_configENS1_35adjacent_difference_config_selectorILb0EfEEZNS1_24adjacent_difference_implIS3_Lb0ELb0EPKfPfN6thrust23THRUST_200600_302600_NS4plusIfEEEE10hipError_tPvRmT2_T3_mT4_P12ihipStream_tbEUlT_E_NS1_11comp_targetILNS1_3genE4ELNS1_11target_archE910ELNS1_3gpuE8ELNS1_3repE0EEENS1_30default_config_static_selectorELNS0_4arch9wavefront6targetE1EEEvT1_
		.amdhsa_group_segment_fixed_size 0
		.amdhsa_private_segment_fixed_size 0
		.amdhsa_kernarg_size 56
		.amdhsa_user_sgpr_count 2
		.amdhsa_user_sgpr_dispatch_ptr 0
		.amdhsa_user_sgpr_queue_ptr 0
		.amdhsa_user_sgpr_kernarg_segment_ptr 1
		.amdhsa_user_sgpr_dispatch_id 0
		.amdhsa_user_sgpr_kernarg_preload_length 0
		.amdhsa_user_sgpr_kernarg_preload_offset 0
		.amdhsa_user_sgpr_private_segment_size 0
		.amdhsa_uses_dynamic_stack 0
		.amdhsa_enable_private_segment 0
		.amdhsa_system_sgpr_workgroup_id_x 1
		.amdhsa_system_sgpr_workgroup_id_y 0
		.amdhsa_system_sgpr_workgroup_id_z 0
		.amdhsa_system_sgpr_workgroup_info 0
		.amdhsa_system_vgpr_workitem_id 0
		.amdhsa_next_free_vgpr 1
		.amdhsa_next_free_sgpr 0
		.amdhsa_accum_offset 4
		.amdhsa_reserve_vcc 0
		.amdhsa_float_round_mode_32 0
		.amdhsa_float_round_mode_16_64 0
		.amdhsa_float_denorm_mode_32 3
		.amdhsa_float_denorm_mode_16_64 3
		.amdhsa_dx10_clamp 1
		.amdhsa_ieee_mode 1
		.amdhsa_fp16_overflow 0
		.amdhsa_tg_split 0
		.amdhsa_exception_fp_ieee_invalid_op 0
		.amdhsa_exception_fp_denorm_src 0
		.amdhsa_exception_fp_ieee_div_zero 0
		.amdhsa_exception_fp_ieee_overflow 0
		.amdhsa_exception_fp_ieee_underflow 0
		.amdhsa_exception_fp_ieee_inexact 0
		.amdhsa_exception_int_div_zero 0
	.end_amdhsa_kernel
	.section	.text._ZN7rocprim17ROCPRIM_400000_NS6detail17trampoline_kernelINS0_14default_configENS1_35adjacent_difference_config_selectorILb0EfEEZNS1_24adjacent_difference_implIS3_Lb0ELb0EPKfPfN6thrust23THRUST_200600_302600_NS4plusIfEEEE10hipError_tPvRmT2_T3_mT4_P12ihipStream_tbEUlT_E_NS1_11comp_targetILNS1_3genE4ELNS1_11target_archE910ELNS1_3gpuE8ELNS1_3repE0EEENS1_30default_config_static_selectorELNS0_4arch9wavefront6targetE1EEEvT1_,"axG",@progbits,_ZN7rocprim17ROCPRIM_400000_NS6detail17trampoline_kernelINS0_14default_configENS1_35adjacent_difference_config_selectorILb0EfEEZNS1_24adjacent_difference_implIS3_Lb0ELb0EPKfPfN6thrust23THRUST_200600_302600_NS4plusIfEEEE10hipError_tPvRmT2_T3_mT4_P12ihipStream_tbEUlT_E_NS1_11comp_targetILNS1_3genE4ELNS1_11target_archE910ELNS1_3gpuE8ELNS1_3repE0EEENS1_30default_config_static_selectorELNS0_4arch9wavefront6targetE1EEEvT1_,comdat
.Lfunc_end619:
	.size	_ZN7rocprim17ROCPRIM_400000_NS6detail17trampoline_kernelINS0_14default_configENS1_35adjacent_difference_config_selectorILb0EfEEZNS1_24adjacent_difference_implIS3_Lb0ELb0EPKfPfN6thrust23THRUST_200600_302600_NS4plusIfEEEE10hipError_tPvRmT2_T3_mT4_P12ihipStream_tbEUlT_E_NS1_11comp_targetILNS1_3genE4ELNS1_11target_archE910ELNS1_3gpuE8ELNS1_3repE0EEENS1_30default_config_static_selectorELNS0_4arch9wavefront6targetE1EEEvT1_, .Lfunc_end619-_ZN7rocprim17ROCPRIM_400000_NS6detail17trampoline_kernelINS0_14default_configENS1_35adjacent_difference_config_selectorILb0EfEEZNS1_24adjacent_difference_implIS3_Lb0ELb0EPKfPfN6thrust23THRUST_200600_302600_NS4plusIfEEEE10hipError_tPvRmT2_T3_mT4_P12ihipStream_tbEUlT_E_NS1_11comp_targetILNS1_3genE4ELNS1_11target_archE910ELNS1_3gpuE8ELNS1_3repE0EEENS1_30default_config_static_selectorELNS0_4arch9wavefront6targetE1EEEvT1_
                                        ; -- End function
	.section	.AMDGPU.csdata,"",@progbits
; Kernel info:
; codeLenInByte = 0
; NumSgprs: 6
; NumVgprs: 0
; NumAgprs: 0
; TotalNumVgprs: 0
; ScratchSize: 0
; MemoryBound: 0
; FloatMode: 240
; IeeeMode: 1
; LDSByteSize: 0 bytes/workgroup (compile time only)
; SGPRBlocks: 0
; VGPRBlocks: 0
; NumSGPRsForWavesPerEU: 6
; NumVGPRsForWavesPerEU: 1
; AccumOffset: 4
; Occupancy: 8
; WaveLimiterHint : 0
; COMPUTE_PGM_RSRC2:SCRATCH_EN: 0
; COMPUTE_PGM_RSRC2:USER_SGPR: 2
; COMPUTE_PGM_RSRC2:TRAP_HANDLER: 0
; COMPUTE_PGM_RSRC2:TGID_X_EN: 1
; COMPUTE_PGM_RSRC2:TGID_Y_EN: 0
; COMPUTE_PGM_RSRC2:TGID_Z_EN: 0
; COMPUTE_PGM_RSRC2:TIDIG_COMP_CNT: 0
; COMPUTE_PGM_RSRC3_GFX90A:ACCUM_OFFSET: 0
; COMPUTE_PGM_RSRC3_GFX90A:TG_SPLIT: 0
	.section	.text._ZN7rocprim17ROCPRIM_400000_NS6detail17trampoline_kernelINS0_14default_configENS1_35adjacent_difference_config_selectorILb0EfEEZNS1_24adjacent_difference_implIS3_Lb0ELb0EPKfPfN6thrust23THRUST_200600_302600_NS4plusIfEEEE10hipError_tPvRmT2_T3_mT4_P12ihipStream_tbEUlT_E_NS1_11comp_targetILNS1_3genE3ELNS1_11target_archE908ELNS1_3gpuE7ELNS1_3repE0EEENS1_30default_config_static_selectorELNS0_4arch9wavefront6targetE1EEEvT1_,"axG",@progbits,_ZN7rocprim17ROCPRIM_400000_NS6detail17trampoline_kernelINS0_14default_configENS1_35adjacent_difference_config_selectorILb0EfEEZNS1_24adjacent_difference_implIS3_Lb0ELb0EPKfPfN6thrust23THRUST_200600_302600_NS4plusIfEEEE10hipError_tPvRmT2_T3_mT4_P12ihipStream_tbEUlT_E_NS1_11comp_targetILNS1_3genE3ELNS1_11target_archE908ELNS1_3gpuE7ELNS1_3repE0EEENS1_30default_config_static_selectorELNS0_4arch9wavefront6targetE1EEEvT1_,comdat
	.protected	_ZN7rocprim17ROCPRIM_400000_NS6detail17trampoline_kernelINS0_14default_configENS1_35adjacent_difference_config_selectorILb0EfEEZNS1_24adjacent_difference_implIS3_Lb0ELb0EPKfPfN6thrust23THRUST_200600_302600_NS4plusIfEEEE10hipError_tPvRmT2_T3_mT4_P12ihipStream_tbEUlT_E_NS1_11comp_targetILNS1_3genE3ELNS1_11target_archE908ELNS1_3gpuE7ELNS1_3repE0EEENS1_30default_config_static_selectorELNS0_4arch9wavefront6targetE1EEEvT1_ ; -- Begin function _ZN7rocprim17ROCPRIM_400000_NS6detail17trampoline_kernelINS0_14default_configENS1_35adjacent_difference_config_selectorILb0EfEEZNS1_24adjacent_difference_implIS3_Lb0ELb0EPKfPfN6thrust23THRUST_200600_302600_NS4plusIfEEEE10hipError_tPvRmT2_T3_mT4_P12ihipStream_tbEUlT_E_NS1_11comp_targetILNS1_3genE3ELNS1_11target_archE908ELNS1_3gpuE7ELNS1_3repE0EEENS1_30default_config_static_selectorELNS0_4arch9wavefront6targetE1EEEvT1_
	.globl	_ZN7rocprim17ROCPRIM_400000_NS6detail17trampoline_kernelINS0_14default_configENS1_35adjacent_difference_config_selectorILb0EfEEZNS1_24adjacent_difference_implIS3_Lb0ELb0EPKfPfN6thrust23THRUST_200600_302600_NS4plusIfEEEE10hipError_tPvRmT2_T3_mT4_P12ihipStream_tbEUlT_E_NS1_11comp_targetILNS1_3genE3ELNS1_11target_archE908ELNS1_3gpuE7ELNS1_3repE0EEENS1_30default_config_static_selectorELNS0_4arch9wavefront6targetE1EEEvT1_
	.p2align	8
	.type	_ZN7rocprim17ROCPRIM_400000_NS6detail17trampoline_kernelINS0_14default_configENS1_35adjacent_difference_config_selectorILb0EfEEZNS1_24adjacent_difference_implIS3_Lb0ELb0EPKfPfN6thrust23THRUST_200600_302600_NS4plusIfEEEE10hipError_tPvRmT2_T3_mT4_P12ihipStream_tbEUlT_E_NS1_11comp_targetILNS1_3genE3ELNS1_11target_archE908ELNS1_3gpuE7ELNS1_3repE0EEENS1_30default_config_static_selectorELNS0_4arch9wavefront6targetE1EEEvT1_,@function
_ZN7rocprim17ROCPRIM_400000_NS6detail17trampoline_kernelINS0_14default_configENS1_35adjacent_difference_config_selectorILb0EfEEZNS1_24adjacent_difference_implIS3_Lb0ELb0EPKfPfN6thrust23THRUST_200600_302600_NS4plusIfEEEE10hipError_tPvRmT2_T3_mT4_P12ihipStream_tbEUlT_E_NS1_11comp_targetILNS1_3genE3ELNS1_11target_archE908ELNS1_3gpuE7ELNS1_3repE0EEENS1_30default_config_static_selectorELNS0_4arch9wavefront6targetE1EEEvT1_: ; @_ZN7rocprim17ROCPRIM_400000_NS6detail17trampoline_kernelINS0_14default_configENS1_35adjacent_difference_config_selectorILb0EfEEZNS1_24adjacent_difference_implIS3_Lb0ELb0EPKfPfN6thrust23THRUST_200600_302600_NS4plusIfEEEE10hipError_tPvRmT2_T3_mT4_P12ihipStream_tbEUlT_E_NS1_11comp_targetILNS1_3genE3ELNS1_11target_archE908ELNS1_3gpuE7ELNS1_3repE0EEENS1_30default_config_static_selectorELNS0_4arch9wavefront6targetE1EEEvT1_
; %bb.0:
	.section	.rodata,"a",@progbits
	.p2align	6, 0x0
	.amdhsa_kernel _ZN7rocprim17ROCPRIM_400000_NS6detail17trampoline_kernelINS0_14default_configENS1_35adjacent_difference_config_selectorILb0EfEEZNS1_24adjacent_difference_implIS3_Lb0ELb0EPKfPfN6thrust23THRUST_200600_302600_NS4plusIfEEEE10hipError_tPvRmT2_T3_mT4_P12ihipStream_tbEUlT_E_NS1_11comp_targetILNS1_3genE3ELNS1_11target_archE908ELNS1_3gpuE7ELNS1_3repE0EEENS1_30default_config_static_selectorELNS0_4arch9wavefront6targetE1EEEvT1_
		.amdhsa_group_segment_fixed_size 0
		.amdhsa_private_segment_fixed_size 0
		.amdhsa_kernarg_size 56
		.amdhsa_user_sgpr_count 2
		.amdhsa_user_sgpr_dispatch_ptr 0
		.amdhsa_user_sgpr_queue_ptr 0
		.amdhsa_user_sgpr_kernarg_segment_ptr 1
		.amdhsa_user_sgpr_dispatch_id 0
		.amdhsa_user_sgpr_kernarg_preload_length 0
		.amdhsa_user_sgpr_kernarg_preload_offset 0
		.amdhsa_user_sgpr_private_segment_size 0
		.amdhsa_uses_dynamic_stack 0
		.amdhsa_enable_private_segment 0
		.amdhsa_system_sgpr_workgroup_id_x 1
		.amdhsa_system_sgpr_workgroup_id_y 0
		.amdhsa_system_sgpr_workgroup_id_z 0
		.amdhsa_system_sgpr_workgroup_info 0
		.amdhsa_system_vgpr_workitem_id 0
		.amdhsa_next_free_vgpr 1
		.amdhsa_next_free_sgpr 0
		.amdhsa_accum_offset 4
		.amdhsa_reserve_vcc 0
		.amdhsa_float_round_mode_32 0
		.amdhsa_float_round_mode_16_64 0
		.amdhsa_float_denorm_mode_32 3
		.amdhsa_float_denorm_mode_16_64 3
		.amdhsa_dx10_clamp 1
		.amdhsa_ieee_mode 1
		.amdhsa_fp16_overflow 0
		.amdhsa_tg_split 0
		.amdhsa_exception_fp_ieee_invalid_op 0
		.amdhsa_exception_fp_denorm_src 0
		.amdhsa_exception_fp_ieee_div_zero 0
		.amdhsa_exception_fp_ieee_overflow 0
		.amdhsa_exception_fp_ieee_underflow 0
		.amdhsa_exception_fp_ieee_inexact 0
		.amdhsa_exception_int_div_zero 0
	.end_amdhsa_kernel
	.section	.text._ZN7rocprim17ROCPRIM_400000_NS6detail17trampoline_kernelINS0_14default_configENS1_35adjacent_difference_config_selectorILb0EfEEZNS1_24adjacent_difference_implIS3_Lb0ELb0EPKfPfN6thrust23THRUST_200600_302600_NS4plusIfEEEE10hipError_tPvRmT2_T3_mT4_P12ihipStream_tbEUlT_E_NS1_11comp_targetILNS1_3genE3ELNS1_11target_archE908ELNS1_3gpuE7ELNS1_3repE0EEENS1_30default_config_static_selectorELNS0_4arch9wavefront6targetE1EEEvT1_,"axG",@progbits,_ZN7rocprim17ROCPRIM_400000_NS6detail17trampoline_kernelINS0_14default_configENS1_35adjacent_difference_config_selectorILb0EfEEZNS1_24adjacent_difference_implIS3_Lb0ELb0EPKfPfN6thrust23THRUST_200600_302600_NS4plusIfEEEE10hipError_tPvRmT2_T3_mT4_P12ihipStream_tbEUlT_E_NS1_11comp_targetILNS1_3genE3ELNS1_11target_archE908ELNS1_3gpuE7ELNS1_3repE0EEENS1_30default_config_static_selectorELNS0_4arch9wavefront6targetE1EEEvT1_,comdat
.Lfunc_end620:
	.size	_ZN7rocprim17ROCPRIM_400000_NS6detail17trampoline_kernelINS0_14default_configENS1_35adjacent_difference_config_selectorILb0EfEEZNS1_24adjacent_difference_implIS3_Lb0ELb0EPKfPfN6thrust23THRUST_200600_302600_NS4plusIfEEEE10hipError_tPvRmT2_T3_mT4_P12ihipStream_tbEUlT_E_NS1_11comp_targetILNS1_3genE3ELNS1_11target_archE908ELNS1_3gpuE7ELNS1_3repE0EEENS1_30default_config_static_selectorELNS0_4arch9wavefront6targetE1EEEvT1_, .Lfunc_end620-_ZN7rocprim17ROCPRIM_400000_NS6detail17trampoline_kernelINS0_14default_configENS1_35adjacent_difference_config_selectorILb0EfEEZNS1_24adjacent_difference_implIS3_Lb0ELb0EPKfPfN6thrust23THRUST_200600_302600_NS4plusIfEEEE10hipError_tPvRmT2_T3_mT4_P12ihipStream_tbEUlT_E_NS1_11comp_targetILNS1_3genE3ELNS1_11target_archE908ELNS1_3gpuE7ELNS1_3repE0EEENS1_30default_config_static_selectorELNS0_4arch9wavefront6targetE1EEEvT1_
                                        ; -- End function
	.section	.AMDGPU.csdata,"",@progbits
; Kernel info:
; codeLenInByte = 0
; NumSgprs: 6
; NumVgprs: 0
; NumAgprs: 0
; TotalNumVgprs: 0
; ScratchSize: 0
; MemoryBound: 0
; FloatMode: 240
; IeeeMode: 1
; LDSByteSize: 0 bytes/workgroup (compile time only)
; SGPRBlocks: 0
; VGPRBlocks: 0
; NumSGPRsForWavesPerEU: 6
; NumVGPRsForWavesPerEU: 1
; AccumOffset: 4
; Occupancy: 8
; WaveLimiterHint : 0
; COMPUTE_PGM_RSRC2:SCRATCH_EN: 0
; COMPUTE_PGM_RSRC2:USER_SGPR: 2
; COMPUTE_PGM_RSRC2:TRAP_HANDLER: 0
; COMPUTE_PGM_RSRC2:TGID_X_EN: 1
; COMPUTE_PGM_RSRC2:TGID_Y_EN: 0
; COMPUTE_PGM_RSRC2:TGID_Z_EN: 0
; COMPUTE_PGM_RSRC2:TIDIG_COMP_CNT: 0
; COMPUTE_PGM_RSRC3_GFX90A:ACCUM_OFFSET: 0
; COMPUTE_PGM_RSRC3_GFX90A:TG_SPLIT: 0
	.section	.text._ZN7rocprim17ROCPRIM_400000_NS6detail17trampoline_kernelINS0_14default_configENS1_35adjacent_difference_config_selectorILb0EfEEZNS1_24adjacent_difference_implIS3_Lb0ELb0EPKfPfN6thrust23THRUST_200600_302600_NS4plusIfEEEE10hipError_tPvRmT2_T3_mT4_P12ihipStream_tbEUlT_E_NS1_11comp_targetILNS1_3genE2ELNS1_11target_archE906ELNS1_3gpuE6ELNS1_3repE0EEENS1_30default_config_static_selectorELNS0_4arch9wavefront6targetE1EEEvT1_,"axG",@progbits,_ZN7rocprim17ROCPRIM_400000_NS6detail17trampoline_kernelINS0_14default_configENS1_35adjacent_difference_config_selectorILb0EfEEZNS1_24adjacent_difference_implIS3_Lb0ELb0EPKfPfN6thrust23THRUST_200600_302600_NS4plusIfEEEE10hipError_tPvRmT2_T3_mT4_P12ihipStream_tbEUlT_E_NS1_11comp_targetILNS1_3genE2ELNS1_11target_archE906ELNS1_3gpuE6ELNS1_3repE0EEENS1_30default_config_static_selectorELNS0_4arch9wavefront6targetE1EEEvT1_,comdat
	.protected	_ZN7rocprim17ROCPRIM_400000_NS6detail17trampoline_kernelINS0_14default_configENS1_35adjacent_difference_config_selectorILb0EfEEZNS1_24adjacent_difference_implIS3_Lb0ELb0EPKfPfN6thrust23THRUST_200600_302600_NS4plusIfEEEE10hipError_tPvRmT2_T3_mT4_P12ihipStream_tbEUlT_E_NS1_11comp_targetILNS1_3genE2ELNS1_11target_archE906ELNS1_3gpuE6ELNS1_3repE0EEENS1_30default_config_static_selectorELNS0_4arch9wavefront6targetE1EEEvT1_ ; -- Begin function _ZN7rocprim17ROCPRIM_400000_NS6detail17trampoline_kernelINS0_14default_configENS1_35adjacent_difference_config_selectorILb0EfEEZNS1_24adjacent_difference_implIS3_Lb0ELb0EPKfPfN6thrust23THRUST_200600_302600_NS4plusIfEEEE10hipError_tPvRmT2_T3_mT4_P12ihipStream_tbEUlT_E_NS1_11comp_targetILNS1_3genE2ELNS1_11target_archE906ELNS1_3gpuE6ELNS1_3repE0EEENS1_30default_config_static_selectorELNS0_4arch9wavefront6targetE1EEEvT1_
	.globl	_ZN7rocprim17ROCPRIM_400000_NS6detail17trampoline_kernelINS0_14default_configENS1_35adjacent_difference_config_selectorILb0EfEEZNS1_24adjacent_difference_implIS3_Lb0ELb0EPKfPfN6thrust23THRUST_200600_302600_NS4plusIfEEEE10hipError_tPvRmT2_T3_mT4_P12ihipStream_tbEUlT_E_NS1_11comp_targetILNS1_3genE2ELNS1_11target_archE906ELNS1_3gpuE6ELNS1_3repE0EEENS1_30default_config_static_selectorELNS0_4arch9wavefront6targetE1EEEvT1_
	.p2align	8
	.type	_ZN7rocprim17ROCPRIM_400000_NS6detail17trampoline_kernelINS0_14default_configENS1_35adjacent_difference_config_selectorILb0EfEEZNS1_24adjacent_difference_implIS3_Lb0ELb0EPKfPfN6thrust23THRUST_200600_302600_NS4plusIfEEEE10hipError_tPvRmT2_T3_mT4_P12ihipStream_tbEUlT_E_NS1_11comp_targetILNS1_3genE2ELNS1_11target_archE906ELNS1_3gpuE6ELNS1_3repE0EEENS1_30default_config_static_selectorELNS0_4arch9wavefront6targetE1EEEvT1_,@function
_ZN7rocprim17ROCPRIM_400000_NS6detail17trampoline_kernelINS0_14default_configENS1_35adjacent_difference_config_selectorILb0EfEEZNS1_24adjacent_difference_implIS3_Lb0ELb0EPKfPfN6thrust23THRUST_200600_302600_NS4plusIfEEEE10hipError_tPvRmT2_T3_mT4_P12ihipStream_tbEUlT_E_NS1_11comp_targetILNS1_3genE2ELNS1_11target_archE906ELNS1_3gpuE6ELNS1_3repE0EEENS1_30default_config_static_selectorELNS0_4arch9wavefront6targetE1EEEvT1_: ; @_ZN7rocprim17ROCPRIM_400000_NS6detail17trampoline_kernelINS0_14default_configENS1_35adjacent_difference_config_selectorILb0EfEEZNS1_24adjacent_difference_implIS3_Lb0ELb0EPKfPfN6thrust23THRUST_200600_302600_NS4plusIfEEEE10hipError_tPvRmT2_T3_mT4_P12ihipStream_tbEUlT_E_NS1_11comp_targetILNS1_3genE2ELNS1_11target_archE906ELNS1_3gpuE6ELNS1_3repE0EEENS1_30default_config_static_selectorELNS0_4arch9wavefront6targetE1EEEvT1_
; %bb.0:
	.section	.rodata,"a",@progbits
	.p2align	6, 0x0
	.amdhsa_kernel _ZN7rocprim17ROCPRIM_400000_NS6detail17trampoline_kernelINS0_14default_configENS1_35adjacent_difference_config_selectorILb0EfEEZNS1_24adjacent_difference_implIS3_Lb0ELb0EPKfPfN6thrust23THRUST_200600_302600_NS4plusIfEEEE10hipError_tPvRmT2_T3_mT4_P12ihipStream_tbEUlT_E_NS1_11comp_targetILNS1_3genE2ELNS1_11target_archE906ELNS1_3gpuE6ELNS1_3repE0EEENS1_30default_config_static_selectorELNS0_4arch9wavefront6targetE1EEEvT1_
		.amdhsa_group_segment_fixed_size 0
		.amdhsa_private_segment_fixed_size 0
		.amdhsa_kernarg_size 56
		.amdhsa_user_sgpr_count 2
		.amdhsa_user_sgpr_dispatch_ptr 0
		.amdhsa_user_sgpr_queue_ptr 0
		.amdhsa_user_sgpr_kernarg_segment_ptr 1
		.amdhsa_user_sgpr_dispatch_id 0
		.amdhsa_user_sgpr_kernarg_preload_length 0
		.amdhsa_user_sgpr_kernarg_preload_offset 0
		.amdhsa_user_sgpr_private_segment_size 0
		.amdhsa_uses_dynamic_stack 0
		.amdhsa_enable_private_segment 0
		.amdhsa_system_sgpr_workgroup_id_x 1
		.amdhsa_system_sgpr_workgroup_id_y 0
		.amdhsa_system_sgpr_workgroup_id_z 0
		.amdhsa_system_sgpr_workgroup_info 0
		.amdhsa_system_vgpr_workitem_id 0
		.amdhsa_next_free_vgpr 1
		.amdhsa_next_free_sgpr 0
		.amdhsa_accum_offset 4
		.amdhsa_reserve_vcc 0
		.amdhsa_float_round_mode_32 0
		.amdhsa_float_round_mode_16_64 0
		.amdhsa_float_denorm_mode_32 3
		.amdhsa_float_denorm_mode_16_64 3
		.amdhsa_dx10_clamp 1
		.amdhsa_ieee_mode 1
		.amdhsa_fp16_overflow 0
		.amdhsa_tg_split 0
		.amdhsa_exception_fp_ieee_invalid_op 0
		.amdhsa_exception_fp_denorm_src 0
		.amdhsa_exception_fp_ieee_div_zero 0
		.amdhsa_exception_fp_ieee_overflow 0
		.amdhsa_exception_fp_ieee_underflow 0
		.amdhsa_exception_fp_ieee_inexact 0
		.amdhsa_exception_int_div_zero 0
	.end_amdhsa_kernel
	.section	.text._ZN7rocprim17ROCPRIM_400000_NS6detail17trampoline_kernelINS0_14default_configENS1_35adjacent_difference_config_selectorILb0EfEEZNS1_24adjacent_difference_implIS3_Lb0ELb0EPKfPfN6thrust23THRUST_200600_302600_NS4plusIfEEEE10hipError_tPvRmT2_T3_mT4_P12ihipStream_tbEUlT_E_NS1_11comp_targetILNS1_3genE2ELNS1_11target_archE906ELNS1_3gpuE6ELNS1_3repE0EEENS1_30default_config_static_selectorELNS0_4arch9wavefront6targetE1EEEvT1_,"axG",@progbits,_ZN7rocprim17ROCPRIM_400000_NS6detail17trampoline_kernelINS0_14default_configENS1_35adjacent_difference_config_selectorILb0EfEEZNS1_24adjacent_difference_implIS3_Lb0ELb0EPKfPfN6thrust23THRUST_200600_302600_NS4plusIfEEEE10hipError_tPvRmT2_T3_mT4_P12ihipStream_tbEUlT_E_NS1_11comp_targetILNS1_3genE2ELNS1_11target_archE906ELNS1_3gpuE6ELNS1_3repE0EEENS1_30default_config_static_selectorELNS0_4arch9wavefront6targetE1EEEvT1_,comdat
.Lfunc_end621:
	.size	_ZN7rocprim17ROCPRIM_400000_NS6detail17trampoline_kernelINS0_14default_configENS1_35adjacent_difference_config_selectorILb0EfEEZNS1_24adjacent_difference_implIS3_Lb0ELb0EPKfPfN6thrust23THRUST_200600_302600_NS4plusIfEEEE10hipError_tPvRmT2_T3_mT4_P12ihipStream_tbEUlT_E_NS1_11comp_targetILNS1_3genE2ELNS1_11target_archE906ELNS1_3gpuE6ELNS1_3repE0EEENS1_30default_config_static_selectorELNS0_4arch9wavefront6targetE1EEEvT1_, .Lfunc_end621-_ZN7rocprim17ROCPRIM_400000_NS6detail17trampoline_kernelINS0_14default_configENS1_35adjacent_difference_config_selectorILb0EfEEZNS1_24adjacent_difference_implIS3_Lb0ELb0EPKfPfN6thrust23THRUST_200600_302600_NS4plusIfEEEE10hipError_tPvRmT2_T3_mT4_P12ihipStream_tbEUlT_E_NS1_11comp_targetILNS1_3genE2ELNS1_11target_archE906ELNS1_3gpuE6ELNS1_3repE0EEENS1_30default_config_static_selectorELNS0_4arch9wavefront6targetE1EEEvT1_
                                        ; -- End function
	.section	.AMDGPU.csdata,"",@progbits
; Kernel info:
; codeLenInByte = 0
; NumSgprs: 6
; NumVgprs: 0
; NumAgprs: 0
; TotalNumVgprs: 0
; ScratchSize: 0
; MemoryBound: 0
; FloatMode: 240
; IeeeMode: 1
; LDSByteSize: 0 bytes/workgroup (compile time only)
; SGPRBlocks: 0
; VGPRBlocks: 0
; NumSGPRsForWavesPerEU: 6
; NumVGPRsForWavesPerEU: 1
; AccumOffset: 4
; Occupancy: 8
; WaveLimiterHint : 0
; COMPUTE_PGM_RSRC2:SCRATCH_EN: 0
; COMPUTE_PGM_RSRC2:USER_SGPR: 2
; COMPUTE_PGM_RSRC2:TRAP_HANDLER: 0
; COMPUTE_PGM_RSRC2:TGID_X_EN: 1
; COMPUTE_PGM_RSRC2:TGID_Y_EN: 0
; COMPUTE_PGM_RSRC2:TGID_Z_EN: 0
; COMPUTE_PGM_RSRC2:TIDIG_COMP_CNT: 0
; COMPUTE_PGM_RSRC3_GFX90A:ACCUM_OFFSET: 0
; COMPUTE_PGM_RSRC3_GFX90A:TG_SPLIT: 0
	.section	.text._ZN7rocprim17ROCPRIM_400000_NS6detail17trampoline_kernelINS0_14default_configENS1_35adjacent_difference_config_selectorILb0EfEEZNS1_24adjacent_difference_implIS3_Lb0ELb0EPKfPfN6thrust23THRUST_200600_302600_NS4plusIfEEEE10hipError_tPvRmT2_T3_mT4_P12ihipStream_tbEUlT_E_NS1_11comp_targetILNS1_3genE9ELNS1_11target_archE1100ELNS1_3gpuE3ELNS1_3repE0EEENS1_30default_config_static_selectorELNS0_4arch9wavefront6targetE1EEEvT1_,"axG",@progbits,_ZN7rocprim17ROCPRIM_400000_NS6detail17trampoline_kernelINS0_14default_configENS1_35adjacent_difference_config_selectorILb0EfEEZNS1_24adjacent_difference_implIS3_Lb0ELb0EPKfPfN6thrust23THRUST_200600_302600_NS4plusIfEEEE10hipError_tPvRmT2_T3_mT4_P12ihipStream_tbEUlT_E_NS1_11comp_targetILNS1_3genE9ELNS1_11target_archE1100ELNS1_3gpuE3ELNS1_3repE0EEENS1_30default_config_static_selectorELNS0_4arch9wavefront6targetE1EEEvT1_,comdat
	.protected	_ZN7rocprim17ROCPRIM_400000_NS6detail17trampoline_kernelINS0_14default_configENS1_35adjacent_difference_config_selectorILb0EfEEZNS1_24adjacent_difference_implIS3_Lb0ELb0EPKfPfN6thrust23THRUST_200600_302600_NS4plusIfEEEE10hipError_tPvRmT2_T3_mT4_P12ihipStream_tbEUlT_E_NS1_11comp_targetILNS1_3genE9ELNS1_11target_archE1100ELNS1_3gpuE3ELNS1_3repE0EEENS1_30default_config_static_selectorELNS0_4arch9wavefront6targetE1EEEvT1_ ; -- Begin function _ZN7rocprim17ROCPRIM_400000_NS6detail17trampoline_kernelINS0_14default_configENS1_35adjacent_difference_config_selectorILb0EfEEZNS1_24adjacent_difference_implIS3_Lb0ELb0EPKfPfN6thrust23THRUST_200600_302600_NS4plusIfEEEE10hipError_tPvRmT2_T3_mT4_P12ihipStream_tbEUlT_E_NS1_11comp_targetILNS1_3genE9ELNS1_11target_archE1100ELNS1_3gpuE3ELNS1_3repE0EEENS1_30default_config_static_selectorELNS0_4arch9wavefront6targetE1EEEvT1_
	.globl	_ZN7rocprim17ROCPRIM_400000_NS6detail17trampoline_kernelINS0_14default_configENS1_35adjacent_difference_config_selectorILb0EfEEZNS1_24adjacent_difference_implIS3_Lb0ELb0EPKfPfN6thrust23THRUST_200600_302600_NS4plusIfEEEE10hipError_tPvRmT2_T3_mT4_P12ihipStream_tbEUlT_E_NS1_11comp_targetILNS1_3genE9ELNS1_11target_archE1100ELNS1_3gpuE3ELNS1_3repE0EEENS1_30default_config_static_selectorELNS0_4arch9wavefront6targetE1EEEvT1_
	.p2align	8
	.type	_ZN7rocprim17ROCPRIM_400000_NS6detail17trampoline_kernelINS0_14default_configENS1_35adjacent_difference_config_selectorILb0EfEEZNS1_24adjacent_difference_implIS3_Lb0ELb0EPKfPfN6thrust23THRUST_200600_302600_NS4plusIfEEEE10hipError_tPvRmT2_T3_mT4_P12ihipStream_tbEUlT_E_NS1_11comp_targetILNS1_3genE9ELNS1_11target_archE1100ELNS1_3gpuE3ELNS1_3repE0EEENS1_30default_config_static_selectorELNS0_4arch9wavefront6targetE1EEEvT1_,@function
_ZN7rocprim17ROCPRIM_400000_NS6detail17trampoline_kernelINS0_14default_configENS1_35adjacent_difference_config_selectorILb0EfEEZNS1_24adjacent_difference_implIS3_Lb0ELb0EPKfPfN6thrust23THRUST_200600_302600_NS4plusIfEEEE10hipError_tPvRmT2_T3_mT4_P12ihipStream_tbEUlT_E_NS1_11comp_targetILNS1_3genE9ELNS1_11target_archE1100ELNS1_3gpuE3ELNS1_3repE0EEENS1_30default_config_static_selectorELNS0_4arch9wavefront6targetE1EEEvT1_: ; @_ZN7rocprim17ROCPRIM_400000_NS6detail17trampoline_kernelINS0_14default_configENS1_35adjacent_difference_config_selectorILb0EfEEZNS1_24adjacent_difference_implIS3_Lb0ELb0EPKfPfN6thrust23THRUST_200600_302600_NS4plusIfEEEE10hipError_tPvRmT2_T3_mT4_P12ihipStream_tbEUlT_E_NS1_11comp_targetILNS1_3genE9ELNS1_11target_archE1100ELNS1_3gpuE3ELNS1_3repE0EEENS1_30default_config_static_selectorELNS0_4arch9wavefront6targetE1EEEvT1_
; %bb.0:
	.section	.rodata,"a",@progbits
	.p2align	6, 0x0
	.amdhsa_kernel _ZN7rocprim17ROCPRIM_400000_NS6detail17trampoline_kernelINS0_14default_configENS1_35adjacent_difference_config_selectorILb0EfEEZNS1_24adjacent_difference_implIS3_Lb0ELb0EPKfPfN6thrust23THRUST_200600_302600_NS4plusIfEEEE10hipError_tPvRmT2_T3_mT4_P12ihipStream_tbEUlT_E_NS1_11comp_targetILNS1_3genE9ELNS1_11target_archE1100ELNS1_3gpuE3ELNS1_3repE0EEENS1_30default_config_static_selectorELNS0_4arch9wavefront6targetE1EEEvT1_
		.amdhsa_group_segment_fixed_size 0
		.amdhsa_private_segment_fixed_size 0
		.amdhsa_kernarg_size 56
		.amdhsa_user_sgpr_count 2
		.amdhsa_user_sgpr_dispatch_ptr 0
		.amdhsa_user_sgpr_queue_ptr 0
		.amdhsa_user_sgpr_kernarg_segment_ptr 1
		.amdhsa_user_sgpr_dispatch_id 0
		.amdhsa_user_sgpr_kernarg_preload_length 0
		.amdhsa_user_sgpr_kernarg_preload_offset 0
		.amdhsa_user_sgpr_private_segment_size 0
		.amdhsa_uses_dynamic_stack 0
		.amdhsa_enable_private_segment 0
		.amdhsa_system_sgpr_workgroup_id_x 1
		.amdhsa_system_sgpr_workgroup_id_y 0
		.amdhsa_system_sgpr_workgroup_id_z 0
		.amdhsa_system_sgpr_workgroup_info 0
		.amdhsa_system_vgpr_workitem_id 0
		.amdhsa_next_free_vgpr 1
		.amdhsa_next_free_sgpr 0
		.amdhsa_accum_offset 4
		.amdhsa_reserve_vcc 0
		.amdhsa_float_round_mode_32 0
		.amdhsa_float_round_mode_16_64 0
		.amdhsa_float_denorm_mode_32 3
		.amdhsa_float_denorm_mode_16_64 3
		.amdhsa_dx10_clamp 1
		.amdhsa_ieee_mode 1
		.amdhsa_fp16_overflow 0
		.amdhsa_tg_split 0
		.amdhsa_exception_fp_ieee_invalid_op 0
		.amdhsa_exception_fp_denorm_src 0
		.amdhsa_exception_fp_ieee_div_zero 0
		.amdhsa_exception_fp_ieee_overflow 0
		.amdhsa_exception_fp_ieee_underflow 0
		.amdhsa_exception_fp_ieee_inexact 0
		.amdhsa_exception_int_div_zero 0
	.end_amdhsa_kernel
	.section	.text._ZN7rocprim17ROCPRIM_400000_NS6detail17trampoline_kernelINS0_14default_configENS1_35adjacent_difference_config_selectorILb0EfEEZNS1_24adjacent_difference_implIS3_Lb0ELb0EPKfPfN6thrust23THRUST_200600_302600_NS4plusIfEEEE10hipError_tPvRmT2_T3_mT4_P12ihipStream_tbEUlT_E_NS1_11comp_targetILNS1_3genE9ELNS1_11target_archE1100ELNS1_3gpuE3ELNS1_3repE0EEENS1_30default_config_static_selectorELNS0_4arch9wavefront6targetE1EEEvT1_,"axG",@progbits,_ZN7rocprim17ROCPRIM_400000_NS6detail17trampoline_kernelINS0_14default_configENS1_35adjacent_difference_config_selectorILb0EfEEZNS1_24adjacent_difference_implIS3_Lb0ELb0EPKfPfN6thrust23THRUST_200600_302600_NS4plusIfEEEE10hipError_tPvRmT2_T3_mT4_P12ihipStream_tbEUlT_E_NS1_11comp_targetILNS1_3genE9ELNS1_11target_archE1100ELNS1_3gpuE3ELNS1_3repE0EEENS1_30default_config_static_selectorELNS0_4arch9wavefront6targetE1EEEvT1_,comdat
.Lfunc_end622:
	.size	_ZN7rocprim17ROCPRIM_400000_NS6detail17trampoline_kernelINS0_14default_configENS1_35adjacent_difference_config_selectorILb0EfEEZNS1_24adjacent_difference_implIS3_Lb0ELb0EPKfPfN6thrust23THRUST_200600_302600_NS4plusIfEEEE10hipError_tPvRmT2_T3_mT4_P12ihipStream_tbEUlT_E_NS1_11comp_targetILNS1_3genE9ELNS1_11target_archE1100ELNS1_3gpuE3ELNS1_3repE0EEENS1_30default_config_static_selectorELNS0_4arch9wavefront6targetE1EEEvT1_, .Lfunc_end622-_ZN7rocprim17ROCPRIM_400000_NS6detail17trampoline_kernelINS0_14default_configENS1_35adjacent_difference_config_selectorILb0EfEEZNS1_24adjacent_difference_implIS3_Lb0ELb0EPKfPfN6thrust23THRUST_200600_302600_NS4plusIfEEEE10hipError_tPvRmT2_T3_mT4_P12ihipStream_tbEUlT_E_NS1_11comp_targetILNS1_3genE9ELNS1_11target_archE1100ELNS1_3gpuE3ELNS1_3repE0EEENS1_30default_config_static_selectorELNS0_4arch9wavefront6targetE1EEEvT1_
                                        ; -- End function
	.section	.AMDGPU.csdata,"",@progbits
; Kernel info:
; codeLenInByte = 0
; NumSgprs: 6
; NumVgprs: 0
; NumAgprs: 0
; TotalNumVgprs: 0
; ScratchSize: 0
; MemoryBound: 0
; FloatMode: 240
; IeeeMode: 1
; LDSByteSize: 0 bytes/workgroup (compile time only)
; SGPRBlocks: 0
; VGPRBlocks: 0
; NumSGPRsForWavesPerEU: 6
; NumVGPRsForWavesPerEU: 1
; AccumOffset: 4
; Occupancy: 8
; WaveLimiterHint : 0
; COMPUTE_PGM_RSRC2:SCRATCH_EN: 0
; COMPUTE_PGM_RSRC2:USER_SGPR: 2
; COMPUTE_PGM_RSRC2:TRAP_HANDLER: 0
; COMPUTE_PGM_RSRC2:TGID_X_EN: 1
; COMPUTE_PGM_RSRC2:TGID_Y_EN: 0
; COMPUTE_PGM_RSRC2:TGID_Z_EN: 0
; COMPUTE_PGM_RSRC2:TIDIG_COMP_CNT: 0
; COMPUTE_PGM_RSRC3_GFX90A:ACCUM_OFFSET: 0
; COMPUTE_PGM_RSRC3_GFX90A:TG_SPLIT: 0
	.section	.text._ZN7rocprim17ROCPRIM_400000_NS6detail17trampoline_kernelINS0_14default_configENS1_35adjacent_difference_config_selectorILb0EfEEZNS1_24adjacent_difference_implIS3_Lb0ELb0EPKfPfN6thrust23THRUST_200600_302600_NS4plusIfEEEE10hipError_tPvRmT2_T3_mT4_P12ihipStream_tbEUlT_E_NS1_11comp_targetILNS1_3genE8ELNS1_11target_archE1030ELNS1_3gpuE2ELNS1_3repE0EEENS1_30default_config_static_selectorELNS0_4arch9wavefront6targetE1EEEvT1_,"axG",@progbits,_ZN7rocprim17ROCPRIM_400000_NS6detail17trampoline_kernelINS0_14default_configENS1_35adjacent_difference_config_selectorILb0EfEEZNS1_24adjacent_difference_implIS3_Lb0ELb0EPKfPfN6thrust23THRUST_200600_302600_NS4plusIfEEEE10hipError_tPvRmT2_T3_mT4_P12ihipStream_tbEUlT_E_NS1_11comp_targetILNS1_3genE8ELNS1_11target_archE1030ELNS1_3gpuE2ELNS1_3repE0EEENS1_30default_config_static_selectorELNS0_4arch9wavefront6targetE1EEEvT1_,comdat
	.protected	_ZN7rocprim17ROCPRIM_400000_NS6detail17trampoline_kernelINS0_14default_configENS1_35adjacent_difference_config_selectorILb0EfEEZNS1_24adjacent_difference_implIS3_Lb0ELb0EPKfPfN6thrust23THRUST_200600_302600_NS4plusIfEEEE10hipError_tPvRmT2_T3_mT4_P12ihipStream_tbEUlT_E_NS1_11comp_targetILNS1_3genE8ELNS1_11target_archE1030ELNS1_3gpuE2ELNS1_3repE0EEENS1_30default_config_static_selectorELNS0_4arch9wavefront6targetE1EEEvT1_ ; -- Begin function _ZN7rocprim17ROCPRIM_400000_NS6detail17trampoline_kernelINS0_14default_configENS1_35adjacent_difference_config_selectorILb0EfEEZNS1_24adjacent_difference_implIS3_Lb0ELb0EPKfPfN6thrust23THRUST_200600_302600_NS4plusIfEEEE10hipError_tPvRmT2_T3_mT4_P12ihipStream_tbEUlT_E_NS1_11comp_targetILNS1_3genE8ELNS1_11target_archE1030ELNS1_3gpuE2ELNS1_3repE0EEENS1_30default_config_static_selectorELNS0_4arch9wavefront6targetE1EEEvT1_
	.globl	_ZN7rocprim17ROCPRIM_400000_NS6detail17trampoline_kernelINS0_14default_configENS1_35adjacent_difference_config_selectorILb0EfEEZNS1_24adjacent_difference_implIS3_Lb0ELb0EPKfPfN6thrust23THRUST_200600_302600_NS4plusIfEEEE10hipError_tPvRmT2_T3_mT4_P12ihipStream_tbEUlT_E_NS1_11comp_targetILNS1_3genE8ELNS1_11target_archE1030ELNS1_3gpuE2ELNS1_3repE0EEENS1_30default_config_static_selectorELNS0_4arch9wavefront6targetE1EEEvT1_
	.p2align	8
	.type	_ZN7rocprim17ROCPRIM_400000_NS6detail17trampoline_kernelINS0_14default_configENS1_35adjacent_difference_config_selectorILb0EfEEZNS1_24adjacent_difference_implIS3_Lb0ELb0EPKfPfN6thrust23THRUST_200600_302600_NS4plusIfEEEE10hipError_tPvRmT2_T3_mT4_P12ihipStream_tbEUlT_E_NS1_11comp_targetILNS1_3genE8ELNS1_11target_archE1030ELNS1_3gpuE2ELNS1_3repE0EEENS1_30default_config_static_selectorELNS0_4arch9wavefront6targetE1EEEvT1_,@function
_ZN7rocprim17ROCPRIM_400000_NS6detail17trampoline_kernelINS0_14default_configENS1_35adjacent_difference_config_selectorILb0EfEEZNS1_24adjacent_difference_implIS3_Lb0ELb0EPKfPfN6thrust23THRUST_200600_302600_NS4plusIfEEEE10hipError_tPvRmT2_T3_mT4_P12ihipStream_tbEUlT_E_NS1_11comp_targetILNS1_3genE8ELNS1_11target_archE1030ELNS1_3gpuE2ELNS1_3repE0EEENS1_30default_config_static_selectorELNS0_4arch9wavefront6targetE1EEEvT1_: ; @_ZN7rocprim17ROCPRIM_400000_NS6detail17trampoline_kernelINS0_14default_configENS1_35adjacent_difference_config_selectorILb0EfEEZNS1_24adjacent_difference_implIS3_Lb0ELb0EPKfPfN6thrust23THRUST_200600_302600_NS4plusIfEEEE10hipError_tPvRmT2_T3_mT4_P12ihipStream_tbEUlT_E_NS1_11comp_targetILNS1_3genE8ELNS1_11target_archE1030ELNS1_3gpuE2ELNS1_3repE0EEENS1_30default_config_static_selectorELNS0_4arch9wavefront6targetE1EEEvT1_
; %bb.0:
	.section	.rodata,"a",@progbits
	.p2align	6, 0x0
	.amdhsa_kernel _ZN7rocprim17ROCPRIM_400000_NS6detail17trampoline_kernelINS0_14default_configENS1_35adjacent_difference_config_selectorILb0EfEEZNS1_24adjacent_difference_implIS3_Lb0ELb0EPKfPfN6thrust23THRUST_200600_302600_NS4plusIfEEEE10hipError_tPvRmT2_T3_mT4_P12ihipStream_tbEUlT_E_NS1_11comp_targetILNS1_3genE8ELNS1_11target_archE1030ELNS1_3gpuE2ELNS1_3repE0EEENS1_30default_config_static_selectorELNS0_4arch9wavefront6targetE1EEEvT1_
		.amdhsa_group_segment_fixed_size 0
		.amdhsa_private_segment_fixed_size 0
		.amdhsa_kernarg_size 56
		.amdhsa_user_sgpr_count 2
		.amdhsa_user_sgpr_dispatch_ptr 0
		.amdhsa_user_sgpr_queue_ptr 0
		.amdhsa_user_sgpr_kernarg_segment_ptr 1
		.amdhsa_user_sgpr_dispatch_id 0
		.amdhsa_user_sgpr_kernarg_preload_length 0
		.amdhsa_user_sgpr_kernarg_preload_offset 0
		.amdhsa_user_sgpr_private_segment_size 0
		.amdhsa_uses_dynamic_stack 0
		.amdhsa_enable_private_segment 0
		.amdhsa_system_sgpr_workgroup_id_x 1
		.amdhsa_system_sgpr_workgroup_id_y 0
		.amdhsa_system_sgpr_workgroup_id_z 0
		.amdhsa_system_sgpr_workgroup_info 0
		.amdhsa_system_vgpr_workitem_id 0
		.amdhsa_next_free_vgpr 1
		.amdhsa_next_free_sgpr 0
		.amdhsa_accum_offset 4
		.amdhsa_reserve_vcc 0
		.amdhsa_float_round_mode_32 0
		.amdhsa_float_round_mode_16_64 0
		.amdhsa_float_denorm_mode_32 3
		.amdhsa_float_denorm_mode_16_64 3
		.amdhsa_dx10_clamp 1
		.amdhsa_ieee_mode 1
		.amdhsa_fp16_overflow 0
		.amdhsa_tg_split 0
		.amdhsa_exception_fp_ieee_invalid_op 0
		.amdhsa_exception_fp_denorm_src 0
		.amdhsa_exception_fp_ieee_div_zero 0
		.amdhsa_exception_fp_ieee_overflow 0
		.amdhsa_exception_fp_ieee_underflow 0
		.amdhsa_exception_fp_ieee_inexact 0
		.amdhsa_exception_int_div_zero 0
	.end_amdhsa_kernel
	.section	.text._ZN7rocprim17ROCPRIM_400000_NS6detail17trampoline_kernelINS0_14default_configENS1_35adjacent_difference_config_selectorILb0EfEEZNS1_24adjacent_difference_implIS3_Lb0ELb0EPKfPfN6thrust23THRUST_200600_302600_NS4plusIfEEEE10hipError_tPvRmT2_T3_mT4_P12ihipStream_tbEUlT_E_NS1_11comp_targetILNS1_3genE8ELNS1_11target_archE1030ELNS1_3gpuE2ELNS1_3repE0EEENS1_30default_config_static_selectorELNS0_4arch9wavefront6targetE1EEEvT1_,"axG",@progbits,_ZN7rocprim17ROCPRIM_400000_NS6detail17trampoline_kernelINS0_14default_configENS1_35adjacent_difference_config_selectorILb0EfEEZNS1_24adjacent_difference_implIS3_Lb0ELb0EPKfPfN6thrust23THRUST_200600_302600_NS4plusIfEEEE10hipError_tPvRmT2_T3_mT4_P12ihipStream_tbEUlT_E_NS1_11comp_targetILNS1_3genE8ELNS1_11target_archE1030ELNS1_3gpuE2ELNS1_3repE0EEENS1_30default_config_static_selectorELNS0_4arch9wavefront6targetE1EEEvT1_,comdat
.Lfunc_end623:
	.size	_ZN7rocprim17ROCPRIM_400000_NS6detail17trampoline_kernelINS0_14default_configENS1_35adjacent_difference_config_selectorILb0EfEEZNS1_24adjacent_difference_implIS3_Lb0ELb0EPKfPfN6thrust23THRUST_200600_302600_NS4plusIfEEEE10hipError_tPvRmT2_T3_mT4_P12ihipStream_tbEUlT_E_NS1_11comp_targetILNS1_3genE8ELNS1_11target_archE1030ELNS1_3gpuE2ELNS1_3repE0EEENS1_30default_config_static_selectorELNS0_4arch9wavefront6targetE1EEEvT1_, .Lfunc_end623-_ZN7rocprim17ROCPRIM_400000_NS6detail17trampoline_kernelINS0_14default_configENS1_35adjacent_difference_config_selectorILb0EfEEZNS1_24adjacent_difference_implIS3_Lb0ELb0EPKfPfN6thrust23THRUST_200600_302600_NS4plusIfEEEE10hipError_tPvRmT2_T3_mT4_P12ihipStream_tbEUlT_E_NS1_11comp_targetILNS1_3genE8ELNS1_11target_archE1030ELNS1_3gpuE2ELNS1_3repE0EEENS1_30default_config_static_selectorELNS0_4arch9wavefront6targetE1EEEvT1_
                                        ; -- End function
	.section	.AMDGPU.csdata,"",@progbits
; Kernel info:
; codeLenInByte = 0
; NumSgprs: 6
; NumVgprs: 0
; NumAgprs: 0
; TotalNumVgprs: 0
; ScratchSize: 0
; MemoryBound: 0
; FloatMode: 240
; IeeeMode: 1
; LDSByteSize: 0 bytes/workgroup (compile time only)
; SGPRBlocks: 0
; VGPRBlocks: 0
; NumSGPRsForWavesPerEU: 6
; NumVGPRsForWavesPerEU: 1
; AccumOffset: 4
; Occupancy: 8
; WaveLimiterHint : 0
; COMPUTE_PGM_RSRC2:SCRATCH_EN: 0
; COMPUTE_PGM_RSRC2:USER_SGPR: 2
; COMPUTE_PGM_RSRC2:TRAP_HANDLER: 0
; COMPUTE_PGM_RSRC2:TGID_X_EN: 1
; COMPUTE_PGM_RSRC2:TGID_Y_EN: 0
; COMPUTE_PGM_RSRC2:TGID_Z_EN: 0
; COMPUTE_PGM_RSRC2:TIDIG_COMP_CNT: 0
; COMPUTE_PGM_RSRC3_GFX90A:ACCUM_OFFSET: 0
; COMPUTE_PGM_RSRC3_GFX90A:TG_SPLIT: 0
	.section	.text._ZN7rocprim17ROCPRIM_400000_NS6detail17trampoline_kernelINS0_14default_configENS1_25transform_config_selectorIfLb0EEEZNS1_14transform_implILb0ES3_S5_NS0_18transform_iteratorINS0_17counting_iteratorImlEEZNS1_24adjacent_difference_implIS3_Lb1ELb0EPKfPfN6thrust23THRUST_200600_302600_NS4plusIfEEEE10hipError_tPvRmT2_T3_mT4_P12ihipStream_tbEUlmE_fEESD_NS0_8identityIvEEEESI_SL_SM_mSN_SP_bEUlT_E_NS1_11comp_targetILNS1_3genE0ELNS1_11target_archE4294967295ELNS1_3gpuE0ELNS1_3repE0EEENS1_30default_config_static_selectorELNS0_4arch9wavefront6targetE1EEEvT1_,"axG",@progbits,_ZN7rocprim17ROCPRIM_400000_NS6detail17trampoline_kernelINS0_14default_configENS1_25transform_config_selectorIfLb0EEEZNS1_14transform_implILb0ES3_S5_NS0_18transform_iteratorINS0_17counting_iteratorImlEEZNS1_24adjacent_difference_implIS3_Lb1ELb0EPKfPfN6thrust23THRUST_200600_302600_NS4plusIfEEEE10hipError_tPvRmT2_T3_mT4_P12ihipStream_tbEUlmE_fEESD_NS0_8identityIvEEEESI_SL_SM_mSN_SP_bEUlT_E_NS1_11comp_targetILNS1_3genE0ELNS1_11target_archE4294967295ELNS1_3gpuE0ELNS1_3repE0EEENS1_30default_config_static_selectorELNS0_4arch9wavefront6targetE1EEEvT1_,comdat
	.protected	_ZN7rocprim17ROCPRIM_400000_NS6detail17trampoline_kernelINS0_14default_configENS1_25transform_config_selectorIfLb0EEEZNS1_14transform_implILb0ES3_S5_NS0_18transform_iteratorINS0_17counting_iteratorImlEEZNS1_24adjacent_difference_implIS3_Lb1ELb0EPKfPfN6thrust23THRUST_200600_302600_NS4plusIfEEEE10hipError_tPvRmT2_T3_mT4_P12ihipStream_tbEUlmE_fEESD_NS0_8identityIvEEEESI_SL_SM_mSN_SP_bEUlT_E_NS1_11comp_targetILNS1_3genE0ELNS1_11target_archE4294967295ELNS1_3gpuE0ELNS1_3repE0EEENS1_30default_config_static_selectorELNS0_4arch9wavefront6targetE1EEEvT1_ ; -- Begin function _ZN7rocprim17ROCPRIM_400000_NS6detail17trampoline_kernelINS0_14default_configENS1_25transform_config_selectorIfLb0EEEZNS1_14transform_implILb0ES3_S5_NS0_18transform_iteratorINS0_17counting_iteratorImlEEZNS1_24adjacent_difference_implIS3_Lb1ELb0EPKfPfN6thrust23THRUST_200600_302600_NS4plusIfEEEE10hipError_tPvRmT2_T3_mT4_P12ihipStream_tbEUlmE_fEESD_NS0_8identityIvEEEESI_SL_SM_mSN_SP_bEUlT_E_NS1_11comp_targetILNS1_3genE0ELNS1_11target_archE4294967295ELNS1_3gpuE0ELNS1_3repE0EEENS1_30default_config_static_selectorELNS0_4arch9wavefront6targetE1EEEvT1_
	.globl	_ZN7rocprim17ROCPRIM_400000_NS6detail17trampoline_kernelINS0_14default_configENS1_25transform_config_selectorIfLb0EEEZNS1_14transform_implILb0ES3_S5_NS0_18transform_iteratorINS0_17counting_iteratorImlEEZNS1_24adjacent_difference_implIS3_Lb1ELb0EPKfPfN6thrust23THRUST_200600_302600_NS4plusIfEEEE10hipError_tPvRmT2_T3_mT4_P12ihipStream_tbEUlmE_fEESD_NS0_8identityIvEEEESI_SL_SM_mSN_SP_bEUlT_E_NS1_11comp_targetILNS1_3genE0ELNS1_11target_archE4294967295ELNS1_3gpuE0ELNS1_3repE0EEENS1_30default_config_static_selectorELNS0_4arch9wavefront6targetE1EEEvT1_
	.p2align	8
	.type	_ZN7rocprim17ROCPRIM_400000_NS6detail17trampoline_kernelINS0_14default_configENS1_25transform_config_selectorIfLb0EEEZNS1_14transform_implILb0ES3_S5_NS0_18transform_iteratorINS0_17counting_iteratorImlEEZNS1_24adjacent_difference_implIS3_Lb1ELb0EPKfPfN6thrust23THRUST_200600_302600_NS4plusIfEEEE10hipError_tPvRmT2_T3_mT4_P12ihipStream_tbEUlmE_fEESD_NS0_8identityIvEEEESI_SL_SM_mSN_SP_bEUlT_E_NS1_11comp_targetILNS1_3genE0ELNS1_11target_archE4294967295ELNS1_3gpuE0ELNS1_3repE0EEENS1_30default_config_static_selectorELNS0_4arch9wavefront6targetE1EEEvT1_,@function
_ZN7rocprim17ROCPRIM_400000_NS6detail17trampoline_kernelINS0_14default_configENS1_25transform_config_selectorIfLb0EEEZNS1_14transform_implILb0ES3_S5_NS0_18transform_iteratorINS0_17counting_iteratorImlEEZNS1_24adjacent_difference_implIS3_Lb1ELb0EPKfPfN6thrust23THRUST_200600_302600_NS4plusIfEEEE10hipError_tPvRmT2_T3_mT4_P12ihipStream_tbEUlmE_fEESD_NS0_8identityIvEEEESI_SL_SM_mSN_SP_bEUlT_E_NS1_11comp_targetILNS1_3genE0ELNS1_11target_archE4294967295ELNS1_3gpuE0ELNS1_3repE0EEENS1_30default_config_static_selectorELNS0_4arch9wavefront6targetE1EEEvT1_: ; @_ZN7rocprim17ROCPRIM_400000_NS6detail17trampoline_kernelINS0_14default_configENS1_25transform_config_selectorIfLb0EEEZNS1_14transform_implILb0ES3_S5_NS0_18transform_iteratorINS0_17counting_iteratorImlEEZNS1_24adjacent_difference_implIS3_Lb1ELb0EPKfPfN6thrust23THRUST_200600_302600_NS4plusIfEEEE10hipError_tPvRmT2_T3_mT4_P12ihipStream_tbEUlmE_fEESD_NS0_8identityIvEEEESI_SL_SM_mSN_SP_bEUlT_E_NS1_11comp_targetILNS1_3genE0ELNS1_11target_archE4294967295ELNS1_3gpuE0ELNS1_3repE0EEENS1_30default_config_static_selectorELNS0_4arch9wavefront6targetE1EEEvT1_
; %bb.0:
	.section	.rodata,"a",@progbits
	.p2align	6, 0x0
	.amdhsa_kernel _ZN7rocprim17ROCPRIM_400000_NS6detail17trampoline_kernelINS0_14default_configENS1_25transform_config_selectorIfLb0EEEZNS1_14transform_implILb0ES3_S5_NS0_18transform_iteratorINS0_17counting_iteratorImlEEZNS1_24adjacent_difference_implIS3_Lb1ELb0EPKfPfN6thrust23THRUST_200600_302600_NS4plusIfEEEE10hipError_tPvRmT2_T3_mT4_P12ihipStream_tbEUlmE_fEESD_NS0_8identityIvEEEESI_SL_SM_mSN_SP_bEUlT_E_NS1_11comp_targetILNS1_3genE0ELNS1_11target_archE4294967295ELNS1_3gpuE0ELNS1_3repE0EEENS1_30default_config_static_selectorELNS0_4arch9wavefront6targetE1EEEvT1_
		.amdhsa_group_segment_fixed_size 0
		.amdhsa_private_segment_fixed_size 0
		.amdhsa_kernarg_size 56
		.amdhsa_user_sgpr_count 2
		.amdhsa_user_sgpr_dispatch_ptr 0
		.amdhsa_user_sgpr_queue_ptr 0
		.amdhsa_user_sgpr_kernarg_segment_ptr 1
		.amdhsa_user_sgpr_dispatch_id 0
		.amdhsa_user_sgpr_kernarg_preload_length 0
		.amdhsa_user_sgpr_kernarg_preload_offset 0
		.amdhsa_user_sgpr_private_segment_size 0
		.amdhsa_uses_dynamic_stack 0
		.amdhsa_enable_private_segment 0
		.amdhsa_system_sgpr_workgroup_id_x 1
		.amdhsa_system_sgpr_workgroup_id_y 0
		.amdhsa_system_sgpr_workgroup_id_z 0
		.amdhsa_system_sgpr_workgroup_info 0
		.amdhsa_system_vgpr_workitem_id 0
		.amdhsa_next_free_vgpr 1
		.amdhsa_next_free_sgpr 0
		.amdhsa_accum_offset 4
		.amdhsa_reserve_vcc 0
		.amdhsa_float_round_mode_32 0
		.amdhsa_float_round_mode_16_64 0
		.amdhsa_float_denorm_mode_32 3
		.amdhsa_float_denorm_mode_16_64 3
		.amdhsa_dx10_clamp 1
		.amdhsa_ieee_mode 1
		.amdhsa_fp16_overflow 0
		.amdhsa_tg_split 0
		.amdhsa_exception_fp_ieee_invalid_op 0
		.amdhsa_exception_fp_denorm_src 0
		.amdhsa_exception_fp_ieee_div_zero 0
		.amdhsa_exception_fp_ieee_overflow 0
		.amdhsa_exception_fp_ieee_underflow 0
		.amdhsa_exception_fp_ieee_inexact 0
		.amdhsa_exception_int_div_zero 0
	.end_amdhsa_kernel
	.section	.text._ZN7rocprim17ROCPRIM_400000_NS6detail17trampoline_kernelINS0_14default_configENS1_25transform_config_selectorIfLb0EEEZNS1_14transform_implILb0ES3_S5_NS0_18transform_iteratorINS0_17counting_iteratorImlEEZNS1_24adjacent_difference_implIS3_Lb1ELb0EPKfPfN6thrust23THRUST_200600_302600_NS4plusIfEEEE10hipError_tPvRmT2_T3_mT4_P12ihipStream_tbEUlmE_fEESD_NS0_8identityIvEEEESI_SL_SM_mSN_SP_bEUlT_E_NS1_11comp_targetILNS1_3genE0ELNS1_11target_archE4294967295ELNS1_3gpuE0ELNS1_3repE0EEENS1_30default_config_static_selectorELNS0_4arch9wavefront6targetE1EEEvT1_,"axG",@progbits,_ZN7rocprim17ROCPRIM_400000_NS6detail17trampoline_kernelINS0_14default_configENS1_25transform_config_selectorIfLb0EEEZNS1_14transform_implILb0ES3_S5_NS0_18transform_iteratorINS0_17counting_iteratorImlEEZNS1_24adjacent_difference_implIS3_Lb1ELb0EPKfPfN6thrust23THRUST_200600_302600_NS4plusIfEEEE10hipError_tPvRmT2_T3_mT4_P12ihipStream_tbEUlmE_fEESD_NS0_8identityIvEEEESI_SL_SM_mSN_SP_bEUlT_E_NS1_11comp_targetILNS1_3genE0ELNS1_11target_archE4294967295ELNS1_3gpuE0ELNS1_3repE0EEENS1_30default_config_static_selectorELNS0_4arch9wavefront6targetE1EEEvT1_,comdat
.Lfunc_end624:
	.size	_ZN7rocprim17ROCPRIM_400000_NS6detail17trampoline_kernelINS0_14default_configENS1_25transform_config_selectorIfLb0EEEZNS1_14transform_implILb0ES3_S5_NS0_18transform_iteratorINS0_17counting_iteratorImlEEZNS1_24adjacent_difference_implIS3_Lb1ELb0EPKfPfN6thrust23THRUST_200600_302600_NS4plusIfEEEE10hipError_tPvRmT2_T3_mT4_P12ihipStream_tbEUlmE_fEESD_NS0_8identityIvEEEESI_SL_SM_mSN_SP_bEUlT_E_NS1_11comp_targetILNS1_3genE0ELNS1_11target_archE4294967295ELNS1_3gpuE0ELNS1_3repE0EEENS1_30default_config_static_selectorELNS0_4arch9wavefront6targetE1EEEvT1_, .Lfunc_end624-_ZN7rocprim17ROCPRIM_400000_NS6detail17trampoline_kernelINS0_14default_configENS1_25transform_config_selectorIfLb0EEEZNS1_14transform_implILb0ES3_S5_NS0_18transform_iteratorINS0_17counting_iteratorImlEEZNS1_24adjacent_difference_implIS3_Lb1ELb0EPKfPfN6thrust23THRUST_200600_302600_NS4plusIfEEEE10hipError_tPvRmT2_T3_mT4_P12ihipStream_tbEUlmE_fEESD_NS0_8identityIvEEEESI_SL_SM_mSN_SP_bEUlT_E_NS1_11comp_targetILNS1_3genE0ELNS1_11target_archE4294967295ELNS1_3gpuE0ELNS1_3repE0EEENS1_30default_config_static_selectorELNS0_4arch9wavefront6targetE1EEEvT1_
                                        ; -- End function
	.section	.AMDGPU.csdata,"",@progbits
; Kernel info:
; codeLenInByte = 0
; NumSgprs: 6
; NumVgprs: 0
; NumAgprs: 0
; TotalNumVgprs: 0
; ScratchSize: 0
; MemoryBound: 0
; FloatMode: 240
; IeeeMode: 1
; LDSByteSize: 0 bytes/workgroup (compile time only)
; SGPRBlocks: 0
; VGPRBlocks: 0
; NumSGPRsForWavesPerEU: 6
; NumVGPRsForWavesPerEU: 1
; AccumOffset: 4
; Occupancy: 8
; WaveLimiterHint : 0
; COMPUTE_PGM_RSRC2:SCRATCH_EN: 0
; COMPUTE_PGM_RSRC2:USER_SGPR: 2
; COMPUTE_PGM_RSRC2:TRAP_HANDLER: 0
; COMPUTE_PGM_RSRC2:TGID_X_EN: 1
; COMPUTE_PGM_RSRC2:TGID_Y_EN: 0
; COMPUTE_PGM_RSRC2:TGID_Z_EN: 0
; COMPUTE_PGM_RSRC2:TIDIG_COMP_CNT: 0
; COMPUTE_PGM_RSRC3_GFX90A:ACCUM_OFFSET: 0
; COMPUTE_PGM_RSRC3_GFX90A:TG_SPLIT: 0
	.section	.text._ZN7rocprim17ROCPRIM_400000_NS6detail17trampoline_kernelINS0_14default_configENS1_25transform_config_selectorIfLb0EEEZNS1_14transform_implILb0ES3_S5_NS0_18transform_iteratorINS0_17counting_iteratorImlEEZNS1_24adjacent_difference_implIS3_Lb1ELb0EPKfPfN6thrust23THRUST_200600_302600_NS4plusIfEEEE10hipError_tPvRmT2_T3_mT4_P12ihipStream_tbEUlmE_fEESD_NS0_8identityIvEEEESI_SL_SM_mSN_SP_bEUlT_E_NS1_11comp_targetILNS1_3genE5ELNS1_11target_archE942ELNS1_3gpuE9ELNS1_3repE0EEENS1_30default_config_static_selectorELNS0_4arch9wavefront6targetE1EEEvT1_,"axG",@progbits,_ZN7rocprim17ROCPRIM_400000_NS6detail17trampoline_kernelINS0_14default_configENS1_25transform_config_selectorIfLb0EEEZNS1_14transform_implILb0ES3_S5_NS0_18transform_iteratorINS0_17counting_iteratorImlEEZNS1_24adjacent_difference_implIS3_Lb1ELb0EPKfPfN6thrust23THRUST_200600_302600_NS4plusIfEEEE10hipError_tPvRmT2_T3_mT4_P12ihipStream_tbEUlmE_fEESD_NS0_8identityIvEEEESI_SL_SM_mSN_SP_bEUlT_E_NS1_11comp_targetILNS1_3genE5ELNS1_11target_archE942ELNS1_3gpuE9ELNS1_3repE0EEENS1_30default_config_static_selectorELNS0_4arch9wavefront6targetE1EEEvT1_,comdat
	.protected	_ZN7rocprim17ROCPRIM_400000_NS6detail17trampoline_kernelINS0_14default_configENS1_25transform_config_selectorIfLb0EEEZNS1_14transform_implILb0ES3_S5_NS0_18transform_iteratorINS0_17counting_iteratorImlEEZNS1_24adjacent_difference_implIS3_Lb1ELb0EPKfPfN6thrust23THRUST_200600_302600_NS4plusIfEEEE10hipError_tPvRmT2_T3_mT4_P12ihipStream_tbEUlmE_fEESD_NS0_8identityIvEEEESI_SL_SM_mSN_SP_bEUlT_E_NS1_11comp_targetILNS1_3genE5ELNS1_11target_archE942ELNS1_3gpuE9ELNS1_3repE0EEENS1_30default_config_static_selectorELNS0_4arch9wavefront6targetE1EEEvT1_ ; -- Begin function _ZN7rocprim17ROCPRIM_400000_NS6detail17trampoline_kernelINS0_14default_configENS1_25transform_config_selectorIfLb0EEEZNS1_14transform_implILb0ES3_S5_NS0_18transform_iteratorINS0_17counting_iteratorImlEEZNS1_24adjacent_difference_implIS3_Lb1ELb0EPKfPfN6thrust23THRUST_200600_302600_NS4plusIfEEEE10hipError_tPvRmT2_T3_mT4_P12ihipStream_tbEUlmE_fEESD_NS0_8identityIvEEEESI_SL_SM_mSN_SP_bEUlT_E_NS1_11comp_targetILNS1_3genE5ELNS1_11target_archE942ELNS1_3gpuE9ELNS1_3repE0EEENS1_30default_config_static_selectorELNS0_4arch9wavefront6targetE1EEEvT1_
	.globl	_ZN7rocprim17ROCPRIM_400000_NS6detail17trampoline_kernelINS0_14default_configENS1_25transform_config_selectorIfLb0EEEZNS1_14transform_implILb0ES3_S5_NS0_18transform_iteratorINS0_17counting_iteratorImlEEZNS1_24adjacent_difference_implIS3_Lb1ELb0EPKfPfN6thrust23THRUST_200600_302600_NS4plusIfEEEE10hipError_tPvRmT2_T3_mT4_P12ihipStream_tbEUlmE_fEESD_NS0_8identityIvEEEESI_SL_SM_mSN_SP_bEUlT_E_NS1_11comp_targetILNS1_3genE5ELNS1_11target_archE942ELNS1_3gpuE9ELNS1_3repE0EEENS1_30default_config_static_selectorELNS0_4arch9wavefront6targetE1EEEvT1_
	.p2align	8
	.type	_ZN7rocprim17ROCPRIM_400000_NS6detail17trampoline_kernelINS0_14default_configENS1_25transform_config_selectorIfLb0EEEZNS1_14transform_implILb0ES3_S5_NS0_18transform_iteratorINS0_17counting_iteratorImlEEZNS1_24adjacent_difference_implIS3_Lb1ELb0EPKfPfN6thrust23THRUST_200600_302600_NS4plusIfEEEE10hipError_tPvRmT2_T3_mT4_P12ihipStream_tbEUlmE_fEESD_NS0_8identityIvEEEESI_SL_SM_mSN_SP_bEUlT_E_NS1_11comp_targetILNS1_3genE5ELNS1_11target_archE942ELNS1_3gpuE9ELNS1_3repE0EEENS1_30default_config_static_selectorELNS0_4arch9wavefront6targetE1EEEvT1_,@function
_ZN7rocprim17ROCPRIM_400000_NS6detail17trampoline_kernelINS0_14default_configENS1_25transform_config_selectorIfLb0EEEZNS1_14transform_implILb0ES3_S5_NS0_18transform_iteratorINS0_17counting_iteratorImlEEZNS1_24adjacent_difference_implIS3_Lb1ELb0EPKfPfN6thrust23THRUST_200600_302600_NS4plusIfEEEE10hipError_tPvRmT2_T3_mT4_P12ihipStream_tbEUlmE_fEESD_NS0_8identityIvEEEESI_SL_SM_mSN_SP_bEUlT_E_NS1_11comp_targetILNS1_3genE5ELNS1_11target_archE942ELNS1_3gpuE9ELNS1_3repE0EEENS1_30default_config_static_selectorELNS0_4arch9wavefront6targetE1EEEvT1_: ; @_ZN7rocprim17ROCPRIM_400000_NS6detail17trampoline_kernelINS0_14default_configENS1_25transform_config_selectorIfLb0EEEZNS1_14transform_implILb0ES3_S5_NS0_18transform_iteratorINS0_17counting_iteratorImlEEZNS1_24adjacent_difference_implIS3_Lb1ELb0EPKfPfN6thrust23THRUST_200600_302600_NS4plusIfEEEE10hipError_tPvRmT2_T3_mT4_P12ihipStream_tbEUlmE_fEESD_NS0_8identityIvEEEESI_SL_SM_mSN_SP_bEUlT_E_NS1_11comp_targetILNS1_3genE5ELNS1_11target_archE942ELNS1_3gpuE9ELNS1_3repE0EEENS1_30default_config_static_selectorELNS0_4arch9wavefront6targetE1EEEvT1_
; %bb.0:
	s_load_dwordx4 s[8:11], s[0:1], 0x18
	s_load_dwordx2 s[14:15], s[0:1], 0x28
	s_load_dwordx4 s[4:7], s[0:1], 0x0
	s_load_dword s12, s[0:1], 0x10
	s_load_dword s3, s[0:1], 0x38
	s_waitcnt lgkmcnt(0)
	s_lshl_b64 s[0:1], s[8:9], 2
	s_add_u32 s18, s14, s0
	s_addc_u32 s19, s15, s1
	s_lshl_b32 s14, s2, 10
	s_add_i32 s3, s3, -1
	s_add_u32 s0, s4, s14
	s_addc_u32 s1, s5, 0
	s_add_u32 s16, s0, s8
	s_addc_u32 s17, s1, s9
	s_mov_b32 s15, 0
	s_cmp_lg_u32 s2, s3
	v_lshlrev_b32_e32 v6, 2, v0
	s_cbranch_scc0 .LBB625_2
; %bb.1:
	v_mov_b32_e32 v1, 0
	v_lshl_add_u64 v[2:3], s[16:17], 0, v[0:1]
	v_mad_u64_u32 v[4:5], s[0:1], v2, s12, 0
	v_mov_b32_e32 v2, v5
	v_mad_u64_u32 v[2:3], s[0:1], v3, s12, v[2:3]
	s_mov_b32 s13, s15
	v_mov_b32_e32 v5, v2
	v_lshl_add_u64 v[2:3], v[4:5], 2, s[6:7]
	s_lshl_b64 s[0:1], s[12:13], 10
	v_lshl_add_u64 v[4:5], v[2:3], 0, s[0:1]
	v_lshl_add_u64 v[8:9], v[4:5], 0, s[0:1]
	global_load_dword v10, v[2:3], off
	global_load_dword v11, v[4:5], off
	;; [unrolled: 1-line block ×3, first 2 shown]
	v_lshl_add_u64 v[2:3], v[8:9], 0, s[0:1]
	global_load_dword v2, v[2:3], off
	s_lshl_b64 s[2:3], s[14:15], 2
	s_add_u32 s2, s18, s2
	v_mov_b32_e32 v7, v1
	s_addc_u32 s3, s19, s3
	v_lshl_add_u64 v[8:9], s[2:3], 0, v[6:7]
	s_mov_b64 s[8:9], -1
	s_waitcnt vmcnt(3)
	global_store_dword v6, v10, s[2:3]
	s_waitcnt vmcnt(3)
	global_store_dword v6, v11, s[2:3] offset:1024
	s_waitcnt vmcnt(3)
	global_store_dword v6, v12, s[2:3] offset:2048
	s_cbranch_execz .LBB625_3
	s_branch .LBB625_17
.LBB625_2:
	s_mov_b64 s[8:9], 0
                                        ; implicit-def: $vgpr2
                                        ; implicit-def: $vgpr8_vgpr9
.LBB625_3:
	s_sub_i32 s10, s10, s14
	v_cmp_gt_u32_e32 vcc, s10, v0
                                        ; implicit-def: $vgpr2_vgpr3_vgpr4_vgpr5
	s_and_saveexec_b64 s[0:1], vcc
	s_cbranch_execz .LBB625_5
; %bb.4:
	v_mov_b32_e32 v1, 0
	s_waitcnt vmcnt(3)
	v_lshl_add_u64 v[2:3], s[16:17], 0, v[0:1]
	v_mad_u64_u32 v[4:5], s[2:3], v2, s12, 0
	v_mov_b32_e32 v2, v5
	v_mad_u64_u32 v[2:3], s[2:3], v3, s12, v[2:3]
	v_mov_b32_e32 v5, v2
	v_lshl_add_u64 v[2:3], v[4:5], 2, s[6:7]
	global_load_dword v2, v[2:3], off
.LBB625_5:
	s_or_b64 exec, exec, s[0:1]
	v_or_b32_e32 v8, 0x100, v0
	v_cmp_gt_u32_e64 s[0:1], s10, v8
	s_and_saveexec_b64 s[2:3], s[0:1]
	s_cbranch_execz .LBB625_7
; %bb.6:
	v_mov_b32_e32 v9, 0
	v_lshl_add_u64 v[8:9], s[16:17], 0, v[8:9]
	v_mad_u64_u32 v[10:11], s[4:5], v8, s12, 0
	v_mov_b32_e32 v8, v11
	v_mad_u64_u32 v[8:9], s[4:5], v9, s12, v[8:9]
	v_mov_b32_e32 v11, v8
	v_lshl_add_u64 v[8:9], v[10:11], 2, s[6:7]
	global_load_dword v3, v[8:9], off
.LBB625_7:
	s_or_b64 exec, exec, s[2:3]
	v_or_b32_e32 v8, 0x200, v0
	v_cmp_gt_u32_e64 s[2:3], s10, v8
	s_and_saveexec_b64 s[4:5], s[2:3]
	s_cbranch_execz .LBB625_9
; %bb.8:
	v_mov_b32_e32 v9, 0
	v_lshl_add_u64 v[8:9], s[16:17], 0, v[8:9]
	v_mad_u64_u32 v[10:11], s[20:21], v8, s12, 0
	v_mov_b32_e32 v4, v11
	v_mad_u64_u32 v[8:9], s[20:21], v9, s12, v[4:5]
	v_mov_b32_e32 v11, v8
	v_lshl_add_u64 v[8:9], v[10:11], 2, s[6:7]
	global_load_dword v4, v[8:9], off
.LBB625_9:
	;; [unrolled: 15-line block ×3, first 2 shown]
	s_or_b64 exec, exec, s[10:11]
	s_lshl_b64 s[6:7], s[14:15], 2
	s_add_u32 s6, s18, s6
	s_addc_u32 s7, s19, s7
	v_mov_b32_e32 v7, 0
	v_lshl_add_u64 v[8:9], s[6:7], 0, v[6:7]
	s_and_saveexec_b64 s[6:7], vcc
	s_cbranch_execnz .LBB625_20
; %bb.12:
	s_or_b64 exec, exec, s[6:7]
	s_and_saveexec_b64 s[6:7], s[0:1]
	s_cbranch_execnz .LBB625_21
.LBB625_13:
	s_or_b64 exec, exec, s[6:7]
	s_and_saveexec_b64 s[0:1], s[2:3]
	s_cbranch_execnz .LBB625_22
.LBB625_14:
	s_or_b64 exec, exec, s[0:1]
                                        ; implicit-def: $vgpr2
	s_and_saveexec_b64 s[0:1], s[4:5]
	s_cbranch_execz .LBB625_16
.LBB625_15:
	s_waitcnt vmcnt(0)
	v_cndmask_b32_e64 v2, v5, v5, s[4:5]
	s_or_b64 s[8:9], s[8:9], exec
.LBB625_16:
	s_or_b64 exec, exec, s[0:1]
.LBB625_17:
	s_and_saveexec_b64 s[0:1], s[8:9]
	s_cbranch_execnz .LBB625_19
; %bb.18:
	s_endpgm
.LBB625_19:
	s_waitcnt vmcnt(0)
	global_store_dword v[8:9], v2, off offset:3072
	s_endpgm
.LBB625_20:
	s_waitcnt vmcnt(0)
	global_store_dword v[8:9], v2, off
	s_or_b64 exec, exec, s[6:7]
	s_and_saveexec_b64 s[6:7], s[0:1]
	s_cbranch_execz .LBB625_13
.LBB625_21:
	s_waitcnt vmcnt(0)
	global_store_dword v[8:9], v3, off offset:1024
	s_or_b64 exec, exec, s[6:7]
	s_and_saveexec_b64 s[0:1], s[2:3]
	s_cbranch_execz .LBB625_14
.LBB625_22:
	s_waitcnt vmcnt(0)
	v_cndmask_b32_e64 v0, v4, v4, s[2:3]
	global_store_dword v[8:9], v0, off offset:2048
	s_or_b64 exec, exec, s[0:1]
                                        ; implicit-def: $vgpr2
	s_and_saveexec_b64 s[0:1], s[4:5]
	s_cbranch_execnz .LBB625_15
	s_branch .LBB625_16
	.section	.rodata,"a",@progbits
	.p2align	6, 0x0
	.amdhsa_kernel _ZN7rocprim17ROCPRIM_400000_NS6detail17trampoline_kernelINS0_14default_configENS1_25transform_config_selectorIfLb0EEEZNS1_14transform_implILb0ES3_S5_NS0_18transform_iteratorINS0_17counting_iteratorImlEEZNS1_24adjacent_difference_implIS3_Lb1ELb0EPKfPfN6thrust23THRUST_200600_302600_NS4plusIfEEEE10hipError_tPvRmT2_T3_mT4_P12ihipStream_tbEUlmE_fEESD_NS0_8identityIvEEEESI_SL_SM_mSN_SP_bEUlT_E_NS1_11comp_targetILNS1_3genE5ELNS1_11target_archE942ELNS1_3gpuE9ELNS1_3repE0EEENS1_30default_config_static_selectorELNS0_4arch9wavefront6targetE1EEEvT1_
		.amdhsa_group_segment_fixed_size 0
		.amdhsa_private_segment_fixed_size 0
		.amdhsa_kernarg_size 312
		.amdhsa_user_sgpr_count 2
		.amdhsa_user_sgpr_dispatch_ptr 0
		.amdhsa_user_sgpr_queue_ptr 0
		.amdhsa_user_sgpr_kernarg_segment_ptr 1
		.amdhsa_user_sgpr_dispatch_id 0
		.amdhsa_user_sgpr_kernarg_preload_length 0
		.amdhsa_user_sgpr_kernarg_preload_offset 0
		.amdhsa_user_sgpr_private_segment_size 0
		.amdhsa_uses_dynamic_stack 0
		.amdhsa_enable_private_segment 0
		.amdhsa_system_sgpr_workgroup_id_x 1
		.amdhsa_system_sgpr_workgroup_id_y 0
		.amdhsa_system_sgpr_workgroup_id_z 0
		.amdhsa_system_sgpr_workgroup_info 0
		.amdhsa_system_vgpr_workitem_id 0
		.amdhsa_next_free_vgpr 13
		.amdhsa_next_free_sgpr 22
		.amdhsa_accum_offset 16
		.amdhsa_reserve_vcc 1
		.amdhsa_float_round_mode_32 0
		.amdhsa_float_round_mode_16_64 0
		.amdhsa_float_denorm_mode_32 3
		.amdhsa_float_denorm_mode_16_64 3
		.amdhsa_dx10_clamp 1
		.amdhsa_ieee_mode 1
		.amdhsa_fp16_overflow 0
		.amdhsa_tg_split 0
		.amdhsa_exception_fp_ieee_invalid_op 0
		.amdhsa_exception_fp_denorm_src 0
		.amdhsa_exception_fp_ieee_div_zero 0
		.amdhsa_exception_fp_ieee_overflow 0
		.amdhsa_exception_fp_ieee_underflow 0
		.amdhsa_exception_fp_ieee_inexact 0
		.amdhsa_exception_int_div_zero 0
	.end_amdhsa_kernel
	.section	.text._ZN7rocprim17ROCPRIM_400000_NS6detail17trampoline_kernelINS0_14default_configENS1_25transform_config_selectorIfLb0EEEZNS1_14transform_implILb0ES3_S5_NS0_18transform_iteratorINS0_17counting_iteratorImlEEZNS1_24adjacent_difference_implIS3_Lb1ELb0EPKfPfN6thrust23THRUST_200600_302600_NS4plusIfEEEE10hipError_tPvRmT2_T3_mT4_P12ihipStream_tbEUlmE_fEESD_NS0_8identityIvEEEESI_SL_SM_mSN_SP_bEUlT_E_NS1_11comp_targetILNS1_3genE5ELNS1_11target_archE942ELNS1_3gpuE9ELNS1_3repE0EEENS1_30default_config_static_selectorELNS0_4arch9wavefront6targetE1EEEvT1_,"axG",@progbits,_ZN7rocprim17ROCPRIM_400000_NS6detail17trampoline_kernelINS0_14default_configENS1_25transform_config_selectorIfLb0EEEZNS1_14transform_implILb0ES3_S5_NS0_18transform_iteratorINS0_17counting_iteratorImlEEZNS1_24adjacent_difference_implIS3_Lb1ELb0EPKfPfN6thrust23THRUST_200600_302600_NS4plusIfEEEE10hipError_tPvRmT2_T3_mT4_P12ihipStream_tbEUlmE_fEESD_NS0_8identityIvEEEESI_SL_SM_mSN_SP_bEUlT_E_NS1_11comp_targetILNS1_3genE5ELNS1_11target_archE942ELNS1_3gpuE9ELNS1_3repE0EEENS1_30default_config_static_selectorELNS0_4arch9wavefront6targetE1EEEvT1_,comdat
.Lfunc_end625:
	.size	_ZN7rocprim17ROCPRIM_400000_NS6detail17trampoline_kernelINS0_14default_configENS1_25transform_config_selectorIfLb0EEEZNS1_14transform_implILb0ES3_S5_NS0_18transform_iteratorINS0_17counting_iteratorImlEEZNS1_24adjacent_difference_implIS3_Lb1ELb0EPKfPfN6thrust23THRUST_200600_302600_NS4plusIfEEEE10hipError_tPvRmT2_T3_mT4_P12ihipStream_tbEUlmE_fEESD_NS0_8identityIvEEEESI_SL_SM_mSN_SP_bEUlT_E_NS1_11comp_targetILNS1_3genE5ELNS1_11target_archE942ELNS1_3gpuE9ELNS1_3repE0EEENS1_30default_config_static_selectorELNS0_4arch9wavefront6targetE1EEEvT1_, .Lfunc_end625-_ZN7rocprim17ROCPRIM_400000_NS6detail17trampoline_kernelINS0_14default_configENS1_25transform_config_selectorIfLb0EEEZNS1_14transform_implILb0ES3_S5_NS0_18transform_iteratorINS0_17counting_iteratorImlEEZNS1_24adjacent_difference_implIS3_Lb1ELb0EPKfPfN6thrust23THRUST_200600_302600_NS4plusIfEEEE10hipError_tPvRmT2_T3_mT4_P12ihipStream_tbEUlmE_fEESD_NS0_8identityIvEEEESI_SL_SM_mSN_SP_bEUlT_E_NS1_11comp_targetILNS1_3genE5ELNS1_11target_archE942ELNS1_3gpuE9ELNS1_3repE0EEENS1_30default_config_static_selectorELNS0_4arch9wavefront6targetE1EEEvT1_
                                        ; -- End function
	.section	.AMDGPU.csdata,"",@progbits
; Kernel info:
; codeLenInByte = 796
; NumSgprs: 28
; NumVgprs: 13
; NumAgprs: 0
; TotalNumVgprs: 13
; ScratchSize: 0
; MemoryBound: 0
; FloatMode: 240
; IeeeMode: 1
; LDSByteSize: 0 bytes/workgroup (compile time only)
; SGPRBlocks: 3
; VGPRBlocks: 1
; NumSGPRsForWavesPerEU: 28
; NumVGPRsForWavesPerEU: 13
; AccumOffset: 16
; Occupancy: 8
; WaveLimiterHint : 1
; COMPUTE_PGM_RSRC2:SCRATCH_EN: 0
; COMPUTE_PGM_RSRC2:USER_SGPR: 2
; COMPUTE_PGM_RSRC2:TRAP_HANDLER: 0
; COMPUTE_PGM_RSRC2:TGID_X_EN: 1
; COMPUTE_PGM_RSRC2:TGID_Y_EN: 0
; COMPUTE_PGM_RSRC2:TGID_Z_EN: 0
; COMPUTE_PGM_RSRC2:TIDIG_COMP_CNT: 0
; COMPUTE_PGM_RSRC3_GFX90A:ACCUM_OFFSET: 3
; COMPUTE_PGM_RSRC3_GFX90A:TG_SPLIT: 0
	.section	.text._ZN7rocprim17ROCPRIM_400000_NS6detail17trampoline_kernelINS0_14default_configENS1_25transform_config_selectorIfLb0EEEZNS1_14transform_implILb0ES3_S5_NS0_18transform_iteratorINS0_17counting_iteratorImlEEZNS1_24adjacent_difference_implIS3_Lb1ELb0EPKfPfN6thrust23THRUST_200600_302600_NS4plusIfEEEE10hipError_tPvRmT2_T3_mT4_P12ihipStream_tbEUlmE_fEESD_NS0_8identityIvEEEESI_SL_SM_mSN_SP_bEUlT_E_NS1_11comp_targetILNS1_3genE4ELNS1_11target_archE910ELNS1_3gpuE8ELNS1_3repE0EEENS1_30default_config_static_selectorELNS0_4arch9wavefront6targetE1EEEvT1_,"axG",@progbits,_ZN7rocprim17ROCPRIM_400000_NS6detail17trampoline_kernelINS0_14default_configENS1_25transform_config_selectorIfLb0EEEZNS1_14transform_implILb0ES3_S5_NS0_18transform_iteratorINS0_17counting_iteratorImlEEZNS1_24adjacent_difference_implIS3_Lb1ELb0EPKfPfN6thrust23THRUST_200600_302600_NS4plusIfEEEE10hipError_tPvRmT2_T3_mT4_P12ihipStream_tbEUlmE_fEESD_NS0_8identityIvEEEESI_SL_SM_mSN_SP_bEUlT_E_NS1_11comp_targetILNS1_3genE4ELNS1_11target_archE910ELNS1_3gpuE8ELNS1_3repE0EEENS1_30default_config_static_selectorELNS0_4arch9wavefront6targetE1EEEvT1_,comdat
	.protected	_ZN7rocprim17ROCPRIM_400000_NS6detail17trampoline_kernelINS0_14default_configENS1_25transform_config_selectorIfLb0EEEZNS1_14transform_implILb0ES3_S5_NS0_18transform_iteratorINS0_17counting_iteratorImlEEZNS1_24adjacent_difference_implIS3_Lb1ELb0EPKfPfN6thrust23THRUST_200600_302600_NS4plusIfEEEE10hipError_tPvRmT2_T3_mT4_P12ihipStream_tbEUlmE_fEESD_NS0_8identityIvEEEESI_SL_SM_mSN_SP_bEUlT_E_NS1_11comp_targetILNS1_3genE4ELNS1_11target_archE910ELNS1_3gpuE8ELNS1_3repE0EEENS1_30default_config_static_selectorELNS0_4arch9wavefront6targetE1EEEvT1_ ; -- Begin function _ZN7rocprim17ROCPRIM_400000_NS6detail17trampoline_kernelINS0_14default_configENS1_25transform_config_selectorIfLb0EEEZNS1_14transform_implILb0ES3_S5_NS0_18transform_iteratorINS0_17counting_iteratorImlEEZNS1_24adjacent_difference_implIS3_Lb1ELb0EPKfPfN6thrust23THRUST_200600_302600_NS4plusIfEEEE10hipError_tPvRmT2_T3_mT4_P12ihipStream_tbEUlmE_fEESD_NS0_8identityIvEEEESI_SL_SM_mSN_SP_bEUlT_E_NS1_11comp_targetILNS1_3genE4ELNS1_11target_archE910ELNS1_3gpuE8ELNS1_3repE0EEENS1_30default_config_static_selectorELNS0_4arch9wavefront6targetE1EEEvT1_
	.globl	_ZN7rocprim17ROCPRIM_400000_NS6detail17trampoline_kernelINS0_14default_configENS1_25transform_config_selectorIfLb0EEEZNS1_14transform_implILb0ES3_S5_NS0_18transform_iteratorINS0_17counting_iteratorImlEEZNS1_24adjacent_difference_implIS3_Lb1ELb0EPKfPfN6thrust23THRUST_200600_302600_NS4plusIfEEEE10hipError_tPvRmT2_T3_mT4_P12ihipStream_tbEUlmE_fEESD_NS0_8identityIvEEEESI_SL_SM_mSN_SP_bEUlT_E_NS1_11comp_targetILNS1_3genE4ELNS1_11target_archE910ELNS1_3gpuE8ELNS1_3repE0EEENS1_30default_config_static_selectorELNS0_4arch9wavefront6targetE1EEEvT1_
	.p2align	8
	.type	_ZN7rocprim17ROCPRIM_400000_NS6detail17trampoline_kernelINS0_14default_configENS1_25transform_config_selectorIfLb0EEEZNS1_14transform_implILb0ES3_S5_NS0_18transform_iteratorINS0_17counting_iteratorImlEEZNS1_24adjacent_difference_implIS3_Lb1ELb0EPKfPfN6thrust23THRUST_200600_302600_NS4plusIfEEEE10hipError_tPvRmT2_T3_mT4_P12ihipStream_tbEUlmE_fEESD_NS0_8identityIvEEEESI_SL_SM_mSN_SP_bEUlT_E_NS1_11comp_targetILNS1_3genE4ELNS1_11target_archE910ELNS1_3gpuE8ELNS1_3repE0EEENS1_30default_config_static_selectorELNS0_4arch9wavefront6targetE1EEEvT1_,@function
_ZN7rocprim17ROCPRIM_400000_NS6detail17trampoline_kernelINS0_14default_configENS1_25transform_config_selectorIfLb0EEEZNS1_14transform_implILb0ES3_S5_NS0_18transform_iteratorINS0_17counting_iteratorImlEEZNS1_24adjacent_difference_implIS3_Lb1ELb0EPKfPfN6thrust23THRUST_200600_302600_NS4plusIfEEEE10hipError_tPvRmT2_T3_mT4_P12ihipStream_tbEUlmE_fEESD_NS0_8identityIvEEEESI_SL_SM_mSN_SP_bEUlT_E_NS1_11comp_targetILNS1_3genE4ELNS1_11target_archE910ELNS1_3gpuE8ELNS1_3repE0EEENS1_30default_config_static_selectorELNS0_4arch9wavefront6targetE1EEEvT1_: ; @_ZN7rocprim17ROCPRIM_400000_NS6detail17trampoline_kernelINS0_14default_configENS1_25transform_config_selectorIfLb0EEEZNS1_14transform_implILb0ES3_S5_NS0_18transform_iteratorINS0_17counting_iteratorImlEEZNS1_24adjacent_difference_implIS3_Lb1ELb0EPKfPfN6thrust23THRUST_200600_302600_NS4plusIfEEEE10hipError_tPvRmT2_T3_mT4_P12ihipStream_tbEUlmE_fEESD_NS0_8identityIvEEEESI_SL_SM_mSN_SP_bEUlT_E_NS1_11comp_targetILNS1_3genE4ELNS1_11target_archE910ELNS1_3gpuE8ELNS1_3repE0EEENS1_30default_config_static_selectorELNS0_4arch9wavefront6targetE1EEEvT1_
; %bb.0:
	.section	.rodata,"a",@progbits
	.p2align	6, 0x0
	.amdhsa_kernel _ZN7rocprim17ROCPRIM_400000_NS6detail17trampoline_kernelINS0_14default_configENS1_25transform_config_selectorIfLb0EEEZNS1_14transform_implILb0ES3_S5_NS0_18transform_iteratorINS0_17counting_iteratorImlEEZNS1_24adjacent_difference_implIS3_Lb1ELb0EPKfPfN6thrust23THRUST_200600_302600_NS4plusIfEEEE10hipError_tPvRmT2_T3_mT4_P12ihipStream_tbEUlmE_fEESD_NS0_8identityIvEEEESI_SL_SM_mSN_SP_bEUlT_E_NS1_11comp_targetILNS1_3genE4ELNS1_11target_archE910ELNS1_3gpuE8ELNS1_3repE0EEENS1_30default_config_static_selectorELNS0_4arch9wavefront6targetE1EEEvT1_
		.amdhsa_group_segment_fixed_size 0
		.amdhsa_private_segment_fixed_size 0
		.amdhsa_kernarg_size 56
		.amdhsa_user_sgpr_count 2
		.amdhsa_user_sgpr_dispatch_ptr 0
		.amdhsa_user_sgpr_queue_ptr 0
		.amdhsa_user_sgpr_kernarg_segment_ptr 1
		.amdhsa_user_sgpr_dispatch_id 0
		.amdhsa_user_sgpr_kernarg_preload_length 0
		.amdhsa_user_sgpr_kernarg_preload_offset 0
		.amdhsa_user_sgpr_private_segment_size 0
		.amdhsa_uses_dynamic_stack 0
		.amdhsa_enable_private_segment 0
		.amdhsa_system_sgpr_workgroup_id_x 1
		.amdhsa_system_sgpr_workgroup_id_y 0
		.amdhsa_system_sgpr_workgroup_id_z 0
		.amdhsa_system_sgpr_workgroup_info 0
		.amdhsa_system_vgpr_workitem_id 0
		.amdhsa_next_free_vgpr 1
		.amdhsa_next_free_sgpr 0
		.amdhsa_accum_offset 4
		.amdhsa_reserve_vcc 0
		.amdhsa_float_round_mode_32 0
		.amdhsa_float_round_mode_16_64 0
		.amdhsa_float_denorm_mode_32 3
		.amdhsa_float_denorm_mode_16_64 3
		.amdhsa_dx10_clamp 1
		.amdhsa_ieee_mode 1
		.amdhsa_fp16_overflow 0
		.amdhsa_tg_split 0
		.amdhsa_exception_fp_ieee_invalid_op 0
		.amdhsa_exception_fp_denorm_src 0
		.amdhsa_exception_fp_ieee_div_zero 0
		.amdhsa_exception_fp_ieee_overflow 0
		.amdhsa_exception_fp_ieee_underflow 0
		.amdhsa_exception_fp_ieee_inexact 0
		.amdhsa_exception_int_div_zero 0
	.end_amdhsa_kernel
	.section	.text._ZN7rocprim17ROCPRIM_400000_NS6detail17trampoline_kernelINS0_14default_configENS1_25transform_config_selectorIfLb0EEEZNS1_14transform_implILb0ES3_S5_NS0_18transform_iteratorINS0_17counting_iteratorImlEEZNS1_24adjacent_difference_implIS3_Lb1ELb0EPKfPfN6thrust23THRUST_200600_302600_NS4plusIfEEEE10hipError_tPvRmT2_T3_mT4_P12ihipStream_tbEUlmE_fEESD_NS0_8identityIvEEEESI_SL_SM_mSN_SP_bEUlT_E_NS1_11comp_targetILNS1_3genE4ELNS1_11target_archE910ELNS1_3gpuE8ELNS1_3repE0EEENS1_30default_config_static_selectorELNS0_4arch9wavefront6targetE1EEEvT1_,"axG",@progbits,_ZN7rocprim17ROCPRIM_400000_NS6detail17trampoline_kernelINS0_14default_configENS1_25transform_config_selectorIfLb0EEEZNS1_14transform_implILb0ES3_S5_NS0_18transform_iteratorINS0_17counting_iteratorImlEEZNS1_24adjacent_difference_implIS3_Lb1ELb0EPKfPfN6thrust23THRUST_200600_302600_NS4plusIfEEEE10hipError_tPvRmT2_T3_mT4_P12ihipStream_tbEUlmE_fEESD_NS0_8identityIvEEEESI_SL_SM_mSN_SP_bEUlT_E_NS1_11comp_targetILNS1_3genE4ELNS1_11target_archE910ELNS1_3gpuE8ELNS1_3repE0EEENS1_30default_config_static_selectorELNS0_4arch9wavefront6targetE1EEEvT1_,comdat
.Lfunc_end626:
	.size	_ZN7rocprim17ROCPRIM_400000_NS6detail17trampoline_kernelINS0_14default_configENS1_25transform_config_selectorIfLb0EEEZNS1_14transform_implILb0ES3_S5_NS0_18transform_iteratorINS0_17counting_iteratorImlEEZNS1_24adjacent_difference_implIS3_Lb1ELb0EPKfPfN6thrust23THRUST_200600_302600_NS4plusIfEEEE10hipError_tPvRmT2_T3_mT4_P12ihipStream_tbEUlmE_fEESD_NS0_8identityIvEEEESI_SL_SM_mSN_SP_bEUlT_E_NS1_11comp_targetILNS1_3genE4ELNS1_11target_archE910ELNS1_3gpuE8ELNS1_3repE0EEENS1_30default_config_static_selectorELNS0_4arch9wavefront6targetE1EEEvT1_, .Lfunc_end626-_ZN7rocprim17ROCPRIM_400000_NS6detail17trampoline_kernelINS0_14default_configENS1_25transform_config_selectorIfLb0EEEZNS1_14transform_implILb0ES3_S5_NS0_18transform_iteratorINS0_17counting_iteratorImlEEZNS1_24adjacent_difference_implIS3_Lb1ELb0EPKfPfN6thrust23THRUST_200600_302600_NS4plusIfEEEE10hipError_tPvRmT2_T3_mT4_P12ihipStream_tbEUlmE_fEESD_NS0_8identityIvEEEESI_SL_SM_mSN_SP_bEUlT_E_NS1_11comp_targetILNS1_3genE4ELNS1_11target_archE910ELNS1_3gpuE8ELNS1_3repE0EEENS1_30default_config_static_selectorELNS0_4arch9wavefront6targetE1EEEvT1_
                                        ; -- End function
	.section	.AMDGPU.csdata,"",@progbits
; Kernel info:
; codeLenInByte = 0
; NumSgprs: 6
; NumVgprs: 0
; NumAgprs: 0
; TotalNumVgprs: 0
; ScratchSize: 0
; MemoryBound: 0
; FloatMode: 240
; IeeeMode: 1
; LDSByteSize: 0 bytes/workgroup (compile time only)
; SGPRBlocks: 0
; VGPRBlocks: 0
; NumSGPRsForWavesPerEU: 6
; NumVGPRsForWavesPerEU: 1
; AccumOffset: 4
; Occupancy: 8
; WaveLimiterHint : 0
; COMPUTE_PGM_RSRC2:SCRATCH_EN: 0
; COMPUTE_PGM_RSRC2:USER_SGPR: 2
; COMPUTE_PGM_RSRC2:TRAP_HANDLER: 0
; COMPUTE_PGM_RSRC2:TGID_X_EN: 1
; COMPUTE_PGM_RSRC2:TGID_Y_EN: 0
; COMPUTE_PGM_RSRC2:TGID_Z_EN: 0
; COMPUTE_PGM_RSRC2:TIDIG_COMP_CNT: 0
; COMPUTE_PGM_RSRC3_GFX90A:ACCUM_OFFSET: 0
; COMPUTE_PGM_RSRC3_GFX90A:TG_SPLIT: 0
	.section	.text._ZN7rocprim17ROCPRIM_400000_NS6detail17trampoline_kernelINS0_14default_configENS1_25transform_config_selectorIfLb0EEEZNS1_14transform_implILb0ES3_S5_NS0_18transform_iteratorINS0_17counting_iteratorImlEEZNS1_24adjacent_difference_implIS3_Lb1ELb0EPKfPfN6thrust23THRUST_200600_302600_NS4plusIfEEEE10hipError_tPvRmT2_T3_mT4_P12ihipStream_tbEUlmE_fEESD_NS0_8identityIvEEEESI_SL_SM_mSN_SP_bEUlT_E_NS1_11comp_targetILNS1_3genE3ELNS1_11target_archE908ELNS1_3gpuE7ELNS1_3repE0EEENS1_30default_config_static_selectorELNS0_4arch9wavefront6targetE1EEEvT1_,"axG",@progbits,_ZN7rocprim17ROCPRIM_400000_NS6detail17trampoline_kernelINS0_14default_configENS1_25transform_config_selectorIfLb0EEEZNS1_14transform_implILb0ES3_S5_NS0_18transform_iteratorINS0_17counting_iteratorImlEEZNS1_24adjacent_difference_implIS3_Lb1ELb0EPKfPfN6thrust23THRUST_200600_302600_NS4plusIfEEEE10hipError_tPvRmT2_T3_mT4_P12ihipStream_tbEUlmE_fEESD_NS0_8identityIvEEEESI_SL_SM_mSN_SP_bEUlT_E_NS1_11comp_targetILNS1_3genE3ELNS1_11target_archE908ELNS1_3gpuE7ELNS1_3repE0EEENS1_30default_config_static_selectorELNS0_4arch9wavefront6targetE1EEEvT1_,comdat
	.protected	_ZN7rocprim17ROCPRIM_400000_NS6detail17trampoline_kernelINS0_14default_configENS1_25transform_config_selectorIfLb0EEEZNS1_14transform_implILb0ES3_S5_NS0_18transform_iteratorINS0_17counting_iteratorImlEEZNS1_24adjacent_difference_implIS3_Lb1ELb0EPKfPfN6thrust23THRUST_200600_302600_NS4plusIfEEEE10hipError_tPvRmT2_T3_mT4_P12ihipStream_tbEUlmE_fEESD_NS0_8identityIvEEEESI_SL_SM_mSN_SP_bEUlT_E_NS1_11comp_targetILNS1_3genE3ELNS1_11target_archE908ELNS1_3gpuE7ELNS1_3repE0EEENS1_30default_config_static_selectorELNS0_4arch9wavefront6targetE1EEEvT1_ ; -- Begin function _ZN7rocprim17ROCPRIM_400000_NS6detail17trampoline_kernelINS0_14default_configENS1_25transform_config_selectorIfLb0EEEZNS1_14transform_implILb0ES3_S5_NS0_18transform_iteratorINS0_17counting_iteratorImlEEZNS1_24adjacent_difference_implIS3_Lb1ELb0EPKfPfN6thrust23THRUST_200600_302600_NS4plusIfEEEE10hipError_tPvRmT2_T3_mT4_P12ihipStream_tbEUlmE_fEESD_NS0_8identityIvEEEESI_SL_SM_mSN_SP_bEUlT_E_NS1_11comp_targetILNS1_3genE3ELNS1_11target_archE908ELNS1_3gpuE7ELNS1_3repE0EEENS1_30default_config_static_selectorELNS0_4arch9wavefront6targetE1EEEvT1_
	.globl	_ZN7rocprim17ROCPRIM_400000_NS6detail17trampoline_kernelINS0_14default_configENS1_25transform_config_selectorIfLb0EEEZNS1_14transform_implILb0ES3_S5_NS0_18transform_iteratorINS0_17counting_iteratorImlEEZNS1_24adjacent_difference_implIS3_Lb1ELb0EPKfPfN6thrust23THRUST_200600_302600_NS4plusIfEEEE10hipError_tPvRmT2_T3_mT4_P12ihipStream_tbEUlmE_fEESD_NS0_8identityIvEEEESI_SL_SM_mSN_SP_bEUlT_E_NS1_11comp_targetILNS1_3genE3ELNS1_11target_archE908ELNS1_3gpuE7ELNS1_3repE0EEENS1_30default_config_static_selectorELNS0_4arch9wavefront6targetE1EEEvT1_
	.p2align	8
	.type	_ZN7rocprim17ROCPRIM_400000_NS6detail17trampoline_kernelINS0_14default_configENS1_25transform_config_selectorIfLb0EEEZNS1_14transform_implILb0ES3_S5_NS0_18transform_iteratorINS0_17counting_iteratorImlEEZNS1_24adjacent_difference_implIS3_Lb1ELb0EPKfPfN6thrust23THRUST_200600_302600_NS4plusIfEEEE10hipError_tPvRmT2_T3_mT4_P12ihipStream_tbEUlmE_fEESD_NS0_8identityIvEEEESI_SL_SM_mSN_SP_bEUlT_E_NS1_11comp_targetILNS1_3genE3ELNS1_11target_archE908ELNS1_3gpuE7ELNS1_3repE0EEENS1_30default_config_static_selectorELNS0_4arch9wavefront6targetE1EEEvT1_,@function
_ZN7rocprim17ROCPRIM_400000_NS6detail17trampoline_kernelINS0_14default_configENS1_25transform_config_selectorIfLb0EEEZNS1_14transform_implILb0ES3_S5_NS0_18transform_iteratorINS0_17counting_iteratorImlEEZNS1_24adjacent_difference_implIS3_Lb1ELb0EPKfPfN6thrust23THRUST_200600_302600_NS4plusIfEEEE10hipError_tPvRmT2_T3_mT4_P12ihipStream_tbEUlmE_fEESD_NS0_8identityIvEEEESI_SL_SM_mSN_SP_bEUlT_E_NS1_11comp_targetILNS1_3genE3ELNS1_11target_archE908ELNS1_3gpuE7ELNS1_3repE0EEENS1_30default_config_static_selectorELNS0_4arch9wavefront6targetE1EEEvT1_: ; @_ZN7rocprim17ROCPRIM_400000_NS6detail17trampoline_kernelINS0_14default_configENS1_25transform_config_selectorIfLb0EEEZNS1_14transform_implILb0ES3_S5_NS0_18transform_iteratorINS0_17counting_iteratorImlEEZNS1_24adjacent_difference_implIS3_Lb1ELb0EPKfPfN6thrust23THRUST_200600_302600_NS4plusIfEEEE10hipError_tPvRmT2_T3_mT4_P12ihipStream_tbEUlmE_fEESD_NS0_8identityIvEEEESI_SL_SM_mSN_SP_bEUlT_E_NS1_11comp_targetILNS1_3genE3ELNS1_11target_archE908ELNS1_3gpuE7ELNS1_3repE0EEENS1_30default_config_static_selectorELNS0_4arch9wavefront6targetE1EEEvT1_
; %bb.0:
	.section	.rodata,"a",@progbits
	.p2align	6, 0x0
	.amdhsa_kernel _ZN7rocprim17ROCPRIM_400000_NS6detail17trampoline_kernelINS0_14default_configENS1_25transform_config_selectorIfLb0EEEZNS1_14transform_implILb0ES3_S5_NS0_18transform_iteratorINS0_17counting_iteratorImlEEZNS1_24adjacent_difference_implIS3_Lb1ELb0EPKfPfN6thrust23THRUST_200600_302600_NS4plusIfEEEE10hipError_tPvRmT2_T3_mT4_P12ihipStream_tbEUlmE_fEESD_NS0_8identityIvEEEESI_SL_SM_mSN_SP_bEUlT_E_NS1_11comp_targetILNS1_3genE3ELNS1_11target_archE908ELNS1_3gpuE7ELNS1_3repE0EEENS1_30default_config_static_selectorELNS0_4arch9wavefront6targetE1EEEvT1_
		.amdhsa_group_segment_fixed_size 0
		.amdhsa_private_segment_fixed_size 0
		.amdhsa_kernarg_size 56
		.amdhsa_user_sgpr_count 2
		.amdhsa_user_sgpr_dispatch_ptr 0
		.amdhsa_user_sgpr_queue_ptr 0
		.amdhsa_user_sgpr_kernarg_segment_ptr 1
		.amdhsa_user_sgpr_dispatch_id 0
		.amdhsa_user_sgpr_kernarg_preload_length 0
		.amdhsa_user_sgpr_kernarg_preload_offset 0
		.amdhsa_user_sgpr_private_segment_size 0
		.amdhsa_uses_dynamic_stack 0
		.amdhsa_enable_private_segment 0
		.amdhsa_system_sgpr_workgroup_id_x 1
		.amdhsa_system_sgpr_workgroup_id_y 0
		.amdhsa_system_sgpr_workgroup_id_z 0
		.amdhsa_system_sgpr_workgroup_info 0
		.amdhsa_system_vgpr_workitem_id 0
		.amdhsa_next_free_vgpr 1
		.amdhsa_next_free_sgpr 0
		.amdhsa_accum_offset 4
		.amdhsa_reserve_vcc 0
		.amdhsa_float_round_mode_32 0
		.amdhsa_float_round_mode_16_64 0
		.amdhsa_float_denorm_mode_32 3
		.amdhsa_float_denorm_mode_16_64 3
		.amdhsa_dx10_clamp 1
		.amdhsa_ieee_mode 1
		.amdhsa_fp16_overflow 0
		.amdhsa_tg_split 0
		.amdhsa_exception_fp_ieee_invalid_op 0
		.amdhsa_exception_fp_denorm_src 0
		.amdhsa_exception_fp_ieee_div_zero 0
		.amdhsa_exception_fp_ieee_overflow 0
		.amdhsa_exception_fp_ieee_underflow 0
		.amdhsa_exception_fp_ieee_inexact 0
		.amdhsa_exception_int_div_zero 0
	.end_amdhsa_kernel
	.section	.text._ZN7rocprim17ROCPRIM_400000_NS6detail17trampoline_kernelINS0_14default_configENS1_25transform_config_selectorIfLb0EEEZNS1_14transform_implILb0ES3_S5_NS0_18transform_iteratorINS0_17counting_iteratorImlEEZNS1_24adjacent_difference_implIS3_Lb1ELb0EPKfPfN6thrust23THRUST_200600_302600_NS4plusIfEEEE10hipError_tPvRmT2_T3_mT4_P12ihipStream_tbEUlmE_fEESD_NS0_8identityIvEEEESI_SL_SM_mSN_SP_bEUlT_E_NS1_11comp_targetILNS1_3genE3ELNS1_11target_archE908ELNS1_3gpuE7ELNS1_3repE0EEENS1_30default_config_static_selectorELNS0_4arch9wavefront6targetE1EEEvT1_,"axG",@progbits,_ZN7rocprim17ROCPRIM_400000_NS6detail17trampoline_kernelINS0_14default_configENS1_25transform_config_selectorIfLb0EEEZNS1_14transform_implILb0ES3_S5_NS0_18transform_iteratorINS0_17counting_iteratorImlEEZNS1_24adjacent_difference_implIS3_Lb1ELb0EPKfPfN6thrust23THRUST_200600_302600_NS4plusIfEEEE10hipError_tPvRmT2_T3_mT4_P12ihipStream_tbEUlmE_fEESD_NS0_8identityIvEEEESI_SL_SM_mSN_SP_bEUlT_E_NS1_11comp_targetILNS1_3genE3ELNS1_11target_archE908ELNS1_3gpuE7ELNS1_3repE0EEENS1_30default_config_static_selectorELNS0_4arch9wavefront6targetE1EEEvT1_,comdat
.Lfunc_end627:
	.size	_ZN7rocprim17ROCPRIM_400000_NS6detail17trampoline_kernelINS0_14default_configENS1_25transform_config_selectorIfLb0EEEZNS1_14transform_implILb0ES3_S5_NS0_18transform_iteratorINS0_17counting_iteratorImlEEZNS1_24adjacent_difference_implIS3_Lb1ELb0EPKfPfN6thrust23THRUST_200600_302600_NS4plusIfEEEE10hipError_tPvRmT2_T3_mT4_P12ihipStream_tbEUlmE_fEESD_NS0_8identityIvEEEESI_SL_SM_mSN_SP_bEUlT_E_NS1_11comp_targetILNS1_3genE3ELNS1_11target_archE908ELNS1_3gpuE7ELNS1_3repE0EEENS1_30default_config_static_selectorELNS0_4arch9wavefront6targetE1EEEvT1_, .Lfunc_end627-_ZN7rocprim17ROCPRIM_400000_NS6detail17trampoline_kernelINS0_14default_configENS1_25transform_config_selectorIfLb0EEEZNS1_14transform_implILb0ES3_S5_NS0_18transform_iteratorINS0_17counting_iteratorImlEEZNS1_24adjacent_difference_implIS3_Lb1ELb0EPKfPfN6thrust23THRUST_200600_302600_NS4plusIfEEEE10hipError_tPvRmT2_T3_mT4_P12ihipStream_tbEUlmE_fEESD_NS0_8identityIvEEEESI_SL_SM_mSN_SP_bEUlT_E_NS1_11comp_targetILNS1_3genE3ELNS1_11target_archE908ELNS1_3gpuE7ELNS1_3repE0EEENS1_30default_config_static_selectorELNS0_4arch9wavefront6targetE1EEEvT1_
                                        ; -- End function
	.section	.AMDGPU.csdata,"",@progbits
; Kernel info:
; codeLenInByte = 0
; NumSgprs: 6
; NumVgprs: 0
; NumAgprs: 0
; TotalNumVgprs: 0
; ScratchSize: 0
; MemoryBound: 0
; FloatMode: 240
; IeeeMode: 1
; LDSByteSize: 0 bytes/workgroup (compile time only)
; SGPRBlocks: 0
; VGPRBlocks: 0
; NumSGPRsForWavesPerEU: 6
; NumVGPRsForWavesPerEU: 1
; AccumOffset: 4
; Occupancy: 8
; WaveLimiterHint : 0
; COMPUTE_PGM_RSRC2:SCRATCH_EN: 0
; COMPUTE_PGM_RSRC2:USER_SGPR: 2
; COMPUTE_PGM_RSRC2:TRAP_HANDLER: 0
; COMPUTE_PGM_RSRC2:TGID_X_EN: 1
; COMPUTE_PGM_RSRC2:TGID_Y_EN: 0
; COMPUTE_PGM_RSRC2:TGID_Z_EN: 0
; COMPUTE_PGM_RSRC2:TIDIG_COMP_CNT: 0
; COMPUTE_PGM_RSRC3_GFX90A:ACCUM_OFFSET: 0
; COMPUTE_PGM_RSRC3_GFX90A:TG_SPLIT: 0
	.section	.text._ZN7rocprim17ROCPRIM_400000_NS6detail17trampoline_kernelINS0_14default_configENS1_25transform_config_selectorIfLb0EEEZNS1_14transform_implILb0ES3_S5_NS0_18transform_iteratorINS0_17counting_iteratorImlEEZNS1_24adjacent_difference_implIS3_Lb1ELb0EPKfPfN6thrust23THRUST_200600_302600_NS4plusIfEEEE10hipError_tPvRmT2_T3_mT4_P12ihipStream_tbEUlmE_fEESD_NS0_8identityIvEEEESI_SL_SM_mSN_SP_bEUlT_E_NS1_11comp_targetILNS1_3genE2ELNS1_11target_archE906ELNS1_3gpuE6ELNS1_3repE0EEENS1_30default_config_static_selectorELNS0_4arch9wavefront6targetE1EEEvT1_,"axG",@progbits,_ZN7rocprim17ROCPRIM_400000_NS6detail17trampoline_kernelINS0_14default_configENS1_25transform_config_selectorIfLb0EEEZNS1_14transform_implILb0ES3_S5_NS0_18transform_iteratorINS0_17counting_iteratorImlEEZNS1_24adjacent_difference_implIS3_Lb1ELb0EPKfPfN6thrust23THRUST_200600_302600_NS4plusIfEEEE10hipError_tPvRmT2_T3_mT4_P12ihipStream_tbEUlmE_fEESD_NS0_8identityIvEEEESI_SL_SM_mSN_SP_bEUlT_E_NS1_11comp_targetILNS1_3genE2ELNS1_11target_archE906ELNS1_3gpuE6ELNS1_3repE0EEENS1_30default_config_static_selectorELNS0_4arch9wavefront6targetE1EEEvT1_,comdat
	.protected	_ZN7rocprim17ROCPRIM_400000_NS6detail17trampoline_kernelINS0_14default_configENS1_25transform_config_selectorIfLb0EEEZNS1_14transform_implILb0ES3_S5_NS0_18transform_iteratorINS0_17counting_iteratorImlEEZNS1_24adjacent_difference_implIS3_Lb1ELb0EPKfPfN6thrust23THRUST_200600_302600_NS4plusIfEEEE10hipError_tPvRmT2_T3_mT4_P12ihipStream_tbEUlmE_fEESD_NS0_8identityIvEEEESI_SL_SM_mSN_SP_bEUlT_E_NS1_11comp_targetILNS1_3genE2ELNS1_11target_archE906ELNS1_3gpuE6ELNS1_3repE0EEENS1_30default_config_static_selectorELNS0_4arch9wavefront6targetE1EEEvT1_ ; -- Begin function _ZN7rocprim17ROCPRIM_400000_NS6detail17trampoline_kernelINS0_14default_configENS1_25transform_config_selectorIfLb0EEEZNS1_14transform_implILb0ES3_S5_NS0_18transform_iteratorINS0_17counting_iteratorImlEEZNS1_24adjacent_difference_implIS3_Lb1ELb0EPKfPfN6thrust23THRUST_200600_302600_NS4plusIfEEEE10hipError_tPvRmT2_T3_mT4_P12ihipStream_tbEUlmE_fEESD_NS0_8identityIvEEEESI_SL_SM_mSN_SP_bEUlT_E_NS1_11comp_targetILNS1_3genE2ELNS1_11target_archE906ELNS1_3gpuE6ELNS1_3repE0EEENS1_30default_config_static_selectorELNS0_4arch9wavefront6targetE1EEEvT1_
	.globl	_ZN7rocprim17ROCPRIM_400000_NS6detail17trampoline_kernelINS0_14default_configENS1_25transform_config_selectorIfLb0EEEZNS1_14transform_implILb0ES3_S5_NS0_18transform_iteratorINS0_17counting_iteratorImlEEZNS1_24adjacent_difference_implIS3_Lb1ELb0EPKfPfN6thrust23THRUST_200600_302600_NS4plusIfEEEE10hipError_tPvRmT2_T3_mT4_P12ihipStream_tbEUlmE_fEESD_NS0_8identityIvEEEESI_SL_SM_mSN_SP_bEUlT_E_NS1_11comp_targetILNS1_3genE2ELNS1_11target_archE906ELNS1_3gpuE6ELNS1_3repE0EEENS1_30default_config_static_selectorELNS0_4arch9wavefront6targetE1EEEvT1_
	.p2align	8
	.type	_ZN7rocprim17ROCPRIM_400000_NS6detail17trampoline_kernelINS0_14default_configENS1_25transform_config_selectorIfLb0EEEZNS1_14transform_implILb0ES3_S5_NS0_18transform_iteratorINS0_17counting_iteratorImlEEZNS1_24adjacent_difference_implIS3_Lb1ELb0EPKfPfN6thrust23THRUST_200600_302600_NS4plusIfEEEE10hipError_tPvRmT2_T3_mT4_P12ihipStream_tbEUlmE_fEESD_NS0_8identityIvEEEESI_SL_SM_mSN_SP_bEUlT_E_NS1_11comp_targetILNS1_3genE2ELNS1_11target_archE906ELNS1_3gpuE6ELNS1_3repE0EEENS1_30default_config_static_selectorELNS0_4arch9wavefront6targetE1EEEvT1_,@function
_ZN7rocprim17ROCPRIM_400000_NS6detail17trampoline_kernelINS0_14default_configENS1_25transform_config_selectorIfLb0EEEZNS1_14transform_implILb0ES3_S5_NS0_18transform_iteratorINS0_17counting_iteratorImlEEZNS1_24adjacent_difference_implIS3_Lb1ELb0EPKfPfN6thrust23THRUST_200600_302600_NS4plusIfEEEE10hipError_tPvRmT2_T3_mT4_P12ihipStream_tbEUlmE_fEESD_NS0_8identityIvEEEESI_SL_SM_mSN_SP_bEUlT_E_NS1_11comp_targetILNS1_3genE2ELNS1_11target_archE906ELNS1_3gpuE6ELNS1_3repE0EEENS1_30default_config_static_selectorELNS0_4arch9wavefront6targetE1EEEvT1_: ; @_ZN7rocprim17ROCPRIM_400000_NS6detail17trampoline_kernelINS0_14default_configENS1_25transform_config_selectorIfLb0EEEZNS1_14transform_implILb0ES3_S5_NS0_18transform_iteratorINS0_17counting_iteratorImlEEZNS1_24adjacent_difference_implIS3_Lb1ELb0EPKfPfN6thrust23THRUST_200600_302600_NS4plusIfEEEE10hipError_tPvRmT2_T3_mT4_P12ihipStream_tbEUlmE_fEESD_NS0_8identityIvEEEESI_SL_SM_mSN_SP_bEUlT_E_NS1_11comp_targetILNS1_3genE2ELNS1_11target_archE906ELNS1_3gpuE6ELNS1_3repE0EEENS1_30default_config_static_selectorELNS0_4arch9wavefront6targetE1EEEvT1_
; %bb.0:
	.section	.rodata,"a",@progbits
	.p2align	6, 0x0
	.amdhsa_kernel _ZN7rocprim17ROCPRIM_400000_NS6detail17trampoline_kernelINS0_14default_configENS1_25transform_config_selectorIfLb0EEEZNS1_14transform_implILb0ES3_S5_NS0_18transform_iteratorINS0_17counting_iteratorImlEEZNS1_24adjacent_difference_implIS3_Lb1ELb0EPKfPfN6thrust23THRUST_200600_302600_NS4plusIfEEEE10hipError_tPvRmT2_T3_mT4_P12ihipStream_tbEUlmE_fEESD_NS0_8identityIvEEEESI_SL_SM_mSN_SP_bEUlT_E_NS1_11comp_targetILNS1_3genE2ELNS1_11target_archE906ELNS1_3gpuE6ELNS1_3repE0EEENS1_30default_config_static_selectorELNS0_4arch9wavefront6targetE1EEEvT1_
		.amdhsa_group_segment_fixed_size 0
		.amdhsa_private_segment_fixed_size 0
		.amdhsa_kernarg_size 56
		.amdhsa_user_sgpr_count 2
		.amdhsa_user_sgpr_dispatch_ptr 0
		.amdhsa_user_sgpr_queue_ptr 0
		.amdhsa_user_sgpr_kernarg_segment_ptr 1
		.amdhsa_user_sgpr_dispatch_id 0
		.amdhsa_user_sgpr_kernarg_preload_length 0
		.amdhsa_user_sgpr_kernarg_preload_offset 0
		.amdhsa_user_sgpr_private_segment_size 0
		.amdhsa_uses_dynamic_stack 0
		.amdhsa_enable_private_segment 0
		.amdhsa_system_sgpr_workgroup_id_x 1
		.amdhsa_system_sgpr_workgroup_id_y 0
		.amdhsa_system_sgpr_workgroup_id_z 0
		.amdhsa_system_sgpr_workgroup_info 0
		.amdhsa_system_vgpr_workitem_id 0
		.amdhsa_next_free_vgpr 1
		.amdhsa_next_free_sgpr 0
		.amdhsa_accum_offset 4
		.amdhsa_reserve_vcc 0
		.amdhsa_float_round_mode_32 0
		.amdhsa_float_round_mode_16_64 0
		.amdhsa_float_denorm_mode_32 3
		.amdhsa_float_denorm_mode_16_64 3
		.amdhsa_dx10_clamp 1
		.amdhsa_ieee_mode 1
		.amdhsa_fp16_overflow 0
		.amdhsa_tg_split 0
		.amdhsa_exception_fp_ieee_invalid_op 0
		.amdhsa_exception_fp_denorm_src 0
		.amdhsa_exception_fp_ieee_div_zero 0
		.amdhsa_exception_fp_ieee_overflow 0
		.amdhsa_exception_fp_ieee_underflow 0
		.amdhsa_exception_fp_ieee_inexact 0
		.amdhsa_exception_int_div_zero 0
	.end_amdhsa_kernel
	.section	.text._ZN7rocprim17ROCPRIM_400000_NS6detail17trampoline_kernelINS0_14default_configENS1_25transform_config_selectorIfLb0EEEZNS1_14transform_implILb0ES3_S5_NS0_18transform_iteratorINS0_17counting_iteratorImlEEZNS1_24adjacent_difference_implIS3_Lb1ELb0EPKfPfN6thrust23THRUST_200600_302600_NS4plusIfEEEE10hipError_tPvRmT2_T3_mT4_P12ihipStream_tbEUlmE_fEESD_NS0_8identityIvEEEESI_SL_SM_mSN_SP_bEUlT_E_NS1_11comp_targetILNS1_3genE2ELNS1_11target_archE906ELNS1_3gpuE6ELNS1_3repE0EEENS1_30default_config_static_selectorELNS0_4arch9wavefront6targetE1EEEvT1_,"axG",@progbits,_ZN7rocprim17ROCPRIM_400000_NS6detail17trampoline_kernelINS0_14default_configENS1_25transform_config_selectorIfLb0EEEZNS1_14transform_implILb0ES3_S5_NS0_18transform_iteratorINS0_17counting_iteratorImlEEZNS1_24adjacent_difference_implIS3_Lb1ELb0EPKfPfN6thrust23THRUST_200600_302600_NS4plusIfEEEE10hipError_tPvRmT2_T3_mT4_P12ihipStream_tbEUlmE_fEESD_NS0_8identityIvEEEESI_SL_SM_mSN_SP_bEUlT_E_NS1_11comp_targetILNS1_3genE2ELNS1_11target_archE906ELNS1_3gpuE6ELNS1_3repE0EEENS1_30default_config_static_selectorELNS0_4arch9wavefront6targetE1EEEvT1_,comdat
.Lfunc_end628:
	.size	_ZN7rocprim17ROCPRIM_400000_NS6detail17trampoline_kernelINS0_14default_configENS1_25transform_config_selectorIfLb0EEEZNS1_14transform_implILb0ES3_S5_NS0_18transform_iteratorINS0_17counting_iteratorImlEEZNS1_24adjacent_difference_implIS3_Lb1ELb0EPKfPfN6thrust23THRUST_200600_302600_NS4plusIfEEEE10hipError_tPvRmT2_T3_mT4_P12ihipStream_tbEUlmE_fEESD_NS0_8identityIvEEEESI_SL_SM_mSN_SP_bEUlT_E_NS1_11comp_targetILNS1_3genE2ELNS1_11target_archE906ELNS1_3gpuE6ELNS1_3repE0EEENS1_30default_config_static_selectorELNS0_4arch9wavefront6targetE1EEEvT1_, .Lfunc_end628-_ZN7rocprim17ROCPRIM_400000_NS6detail17trampoline_kernelINS0_14default_configENS1_25transform_config_selectorIfLb0EEEZNS1_14transform_implILb0ES3_S5_NS0_18transform_iteratorINS0_17counting_iteratorImlEEZNS1_24adjacent_difference_implIS3_Lb1ELb0EPKfPfN6thrust23THRUST_200600_302600_NS4plusIfEEEE10hipError_tPvRmT2_T3_mT4_P12ihipStream_tbEUlmE_fEESD_NS0_8identityIvEEEESI_SL_SM_mSN_SP_bEUlT_E_NS1_11comp_targetILNS1_3genE2ELNS1_11target_archE906ELNS1_3gpuE6ELNS1_3repE0EEENS1_30default_config_static_selectorELNS0_4arch9wavefront6targetE1EEEvT1_
                                        ; -- End function
	.section	.AMDGPU.csdata,"",@progbits
; Kernel info:
; codeLenInByte = 0
; NumSgprs: 6
; NumVgprs: 0
; NumAgprs: 0
; TotalNumVgprs: 0
; ScratchSize: 0
; MemoryBound: 0
; FloatMode: 240
; IeeeMode: 1
; LDSByteSize: 0 bytes/workgroup (compile time only)
; SGPRBlocks: 0
; VGPRBlocks: 0
; NumSGPRsForWavesPerEU: 6
; NumVGPRsForWavesPerEU: 1
; AccumOffset: 4
; Occupancy: 8
; WaveLimiterHint : 0
; COMPUTE_PGM_RSRC2:SCRATCH_EN: 0
; COMPUTE_PGM_RSRC2:USER_SGPR: 2
; COMPUTE_PGM_RSRC2:TRAP_HANDLER: 0
; COMPUTE_PGM_RSRC2:TGID_X_EN: 1
; COMPUTE_PGM_RSRC2:TGID_Y_EN: 0
; COMPUTE_PGM_RSRC2:TGID_Z_EN: 0
; COMPUTE_PGM_RSRC2:TIDIG_COMP_CNT: 0
; COMPUTE_PGM_RSRC3_GFX90A:ACCUM_OFFSET: 0
; COMPUTE_PGM_RSRC3_GFX90A:TG_SPLIT: 0
	.section	.text._ZN7rocprim17ROCPRIM_400000_NS6detail17trampoline_kernelINS0_14default_configENS1_25transform_config_selectorIfLb0EEEZNS1_14transform_implILb0ES3_S5_NS0_18transform_iteratorINS0_17counting_iteratorImlEEZNS1_24adjacent_difference_implIS3_Lb1ELb0EPKfPfN6thrust23THRUST_200600_302600_NS4plusIfEEEE10hipError_tPvRmT2_T3_mT4_P12ihipStream_tbEUlmE_fEESD_NS0_8identityIvEEEESI_SL_SM_mSN_SP_bEUlT_E_NS1_11comp_targetILNS1_3genE10ELNS1_11target_archE1201ELNS1_3gpuE5ELNS1_3repE0EEENS1_30default_config_static_selectorELNS0_4arch9wavefront6targetE1EEEvT1_,"axG",@progbits,_ZN7rocprim17ROCPRIM_400000_NS6detail17trampoline_kernelINS0_14default_configENS1_25transform_config_selectorIfLb0EEEZNS1_14transform_implILb0ES3_S5_NS0_18transform_iteratorINS0_17counting_iteratorImlEEZNS1_24adjacent_difference_implIS3_Lb1ELb0EPKfPfN6thrust23THRUST_200600_302600_NS4plusIfEEEE10hipError_tPvRmT2_T3_mT4_P12ihipStream_tbEUlmE_fEESD_NS0_8identityIvEEEESI_SL_SM_mSN_SP_bEUlT_E_NS1_11comp_targetILNS1_3genE10ELNS1_11target_archE1201ELNS1_3gpuE5ELNS1_3repE0EEENS1_30default_config_static_selectorELNS0_4arch9wavefront6targetE1EEEvT1_,comdat
	.protected	_ZN7rocprim17ROCPRIM_400000_NS6detail17trampoline_kernelINS0_14default_configENS1_25transform_config_selectorIfLb0EEEZNS1_14transform_implILb0ES3_S5_NS0_18transform_iteratorINS0_17counting_iteratorImlEEZNS1_24adjacent_difference_implIS3_Lb1ELb0EPKfPfN6thrust23THRUST_200600_302600_NS4plusIfEEEE10hipError_tPvRmT2_T3_mT4_P12ihipStream_tbEUlmE_fEESD_NS0_8identityIvEEEESI_SL_SM_mSN_SP_bEUlT_E_NS1_11comp_targetILNS1_3genE10ELNS1_11target_archE1201ELNS1_3gpuE5ELNS1_3repE0EEENS1_30default_config_static_selectorELNS0_4arch9wavefront6targetE1EEEvT1_ ; -- Begin function _ZN7rocprim17ROCPRIM_400000_NS6detail17trampoline_kernelINS0_14default_configENS1_25transform_config_selectorIfLb0EEEZNS1_14transform_implILb0ES3_S5_NS0_18transform_iteratorINS0_17counting_iteratorImlEEZNS1_24adjacent_difference_implIS3_Lb1ELb0EPKfPfN6thrust23THRUST_200600_302600_NS4plusIfEEEE10hipError_tPvRmT2_T3_mT4_P12ihipStream_tbEUlmE_fEESD_NS0_8identityIvEEEESI_SL_SM_mSN_SP_bEUlT_E_NS1_11comp_targetILNS1_3genE10ELNS1_11target_archE1201ELNS1_3gpuE5ELNS1_3repE0EEENS1_30default_config_static_selectorELNS0_4arch9wavefront6targetE1EEEvT1_
	.globl	_ZN7rocprim17ROCPRIM_400000_NS6detail17trampoline_kernelINS0_14default_configENS1_25transform_config_selectorIfLb0EEEZNS1_14transform_implILb0ES3_S5_NS0_18transform_iteratorINS0_17counting_iteratorImlEEZNS1_24adjacent_difference_implIS3_Lb1ELb0EPKfPfN6thrust23THRUST_200600_302600_NS4plusIfEEEE10hipError_tPvRmT2_T3_mT4_P12ihipStream_tbEUlmE_fEESD_NS0_8identityIvEEEESI_SL_SM_mSN_SP_bEUlT_E_NS1_11comp_targetILNS1_3genE10ELNS1_11target_archE1201ELNS1_3gpuE5ELNS1_3repE0EEENS1_30default_config_static_selectorELNS0_4arch9wavefront6targetE1EEEvT1_
	.p2align	8
	.type	_ZN7rocprim17ROCPRIM_400000_NS6detail17trampoline_kernelINS0_14default_configENS1_25transform_config_selectorIfLb0EEEZNS1_14transform_implILb0ES3_S5_NS0_18transform_iteratorINS0_17counting_iteratorImlEEZNS1_24adjacent_difference_implIS3_Lb1ELb0EPKfPfN6thrust23THRUST_200600_302600_NS4plusIfEEEE10hipError_tPvRmT2_T3_mT4_P12ihipStream_tbEUlmE_fEESD_NS0_8identityIvEEEESI_SL_SM_mSN_SP_bEUlT_E_NS1_11comp_targetILNS1_3genE10ELNS1_11target_archE1201ELNS1_3gpuE5ELNS1_3repE0EEENS1_30default_config_static_selectorELNS0_4arch9wavefront6targetE1EEEvT1_,@function
_ZN7rocprim17ROCPRIM_400000_NS6detail17trampoline_kernelINS0_14default_configENS1_25transform_config_selectorIfLb0EEEZNS1_14transform_implILb0ES3_S5_NS0_18transform_iteratorINS0_17counting_iteratorImlEEZNS1_24adjacent_difference_implIS3_Lb1ELb0EPKfPfN6thrust23THRUST_200600_302600_NS4plusIfEEEE10hipError_tPvRmT2_T3_mT4_P12ihipStream_tbEUlmE_fEESD_NS0_8identityIvEEEESI_SL_SM_mSN_SP_bEUlT_E_NS1_11comp_targetILNS1_3genE10ELNS1_11target_archE1201ELNS1_3gpuE5ELNS1_3repE0EEENS1_30default_config_static_selectorELNS0_4arch9wavefront6targetE1EEEvT1_: ; @_ZN7rocprim17ROCPRIM_400000_NS6detail17trampoline_kernelINS0_14default_configENS1_25transform_config_selectorIfLb0EEEZNS1_14transform_implILb0ES3_S5_NS0_18transform_iteratorINS0_17counting_iteratorImlEEZNS1_24adjacent_difference_implIS3_Lb1ELb0EPKfPfN6thrust23THRUST_200600_302600_NS4plusIfEEEE10hipError_tPvRmT2_T3_mT4_P12ihipStream_tbEUlmE_fEESD_NS0_8identityIvEEEESI_SL_SM_mSN_SP_bEUlT_E_NS1_11comp_targetILNS1_3genE10ELNS1_11target_archE1201ELNS1_3gpuE5ELNS1_3repE0EEENS1_30default_config_static_selectorELNS0_4arch9wavefront6targetE1EEEvT1_
; %bb.0:
	.section	.rodata,"a",@progbits
	.p2align	6, 0x0
	.amdhsa_kernel _ZN7rocprim17ROCPRIM_400000_NS6detail17trampoline_kernelINS0_14default_configENS1_25transform_config_selectorIfLb0EEEZNS1_14transform_implILb0ES3_S5_NS0_18transform_iteratorINS0_17counting_iteratorImlEEZNS1_24adjacent_difference_implIS3_Lb1ELb0EPKfPfN6thrust23THRUST_200600_302600_NS4plusIfEEEE10hipError_tPvRmT2_T3_mT4_P12ihipStream_tbEUlmE_fEESD_NS0_8identityIvEEEESI_SL_SM_mSN_SP_bEUlT_E_NS1_11comp_targetILNS1_3genE10ELNS1_11target_archE1201ELNS1_3gpuE5ELNS1_3repE0EEENS1_30default_config_static_selectorELNS0_4arch9wavefront6targetE1EEEvT1_
		.amdhsa_group_segment_fixed_size 0
		.amdhsa_private_segment_fixed_size 0
		.amdhsa_kernarg_size 56
		.amdhsa_user_sgpr_count 2
		.amdhsa_user_sgpr_dispatch_ptr 0
		.amdhsa_user_sgpr_queue_ptr 0
		.amdhsa_user_sgpr_kernarg_segment_ptr 1
		.amdhsa_user_sgpr_dispatch_id 0
		.amdhsa_user_sgpr_kernarg_preload_length 0
		.amdhsa_user_sgpr_kernarg_preload_offset 0
		.amdhsa_user_sgpr_private_segment_size 0
		.amdhsa_uses_dynamic_stack 0
		.amdhsa_enable_private_segment 0
		.amdhsa_system_sgpr_workgroup_id_x 1
		.amdhsa_system_sgpr_workgroup_id_y 0
		.amdhsa_system_sgpr_workgroup_id_z 0
		.amdhsa_system_sgpr_workgroup_info 0
		.amdhsa_system_vgpr_workitem_id 0
		.amdhsa_next_free_vgpr 1
		.amdhsa_next_free_sgpr 0
		.amdhsa_accum_offset 4
		.amdhsa_reserve_vcc 0
		.amdhsa_float_round_mode_32 0
		.amdhsa_float_round_mode_16_64 0
		.amdhsa_float_denorm_mode_32 3
		.amdhsa_float_denorm_mode_16_64 3
		.amdhsa_dx10_clamp 1
		.amdhsa_ieee_mode 1
		.amdhsa_fp16_overflow 0
		.amdhsa_tg_split 0
		.amdhsa_exception_fp_ieee_invalid_op 0
		.amdhsa_exception_fp_denorm_src 0
		.amdhsa_exception_fp_ieee_div_zero 0
		.amdhsa_exception_fp_ieee_overflow 0
		.amdhsa_exception_fp_ieee_underflow 0
		.amdhsa_exception_fp_ieee_inexact 0
		.amdhsa_exception_int_div_zero 0
	.end_amdhsa_kernel
	.section	.text._ZN7rocprim17ROCPRIM_400000_NS6detail17trampoline_kernelINS0_14default_configENS1_25transform_config_selectorIfLb0EEEZNS1_14transform_implILb0ES3_S5_NS0_18transform_iteratorINS0_17counting_iteratorImlEEZNS1_24adjacent_difference_implIS3_Lb1ELb0EPKfPfN6thrust23THRUST_200600_302600_NS4plusIfEEEE10hipError_tPvRmT2_T3_mT4_P12ihipStream_tbEUlmE_fEESD_NS0_8identityIvEEEESI_SL_SM_mSN_SP_bEUlT_E_NS1_11comp_targetILNS1_3genE10ELNS1_11target_archE1201ELNS1_3gpuE5ELNS1_3repE0EEENS1_30default_config_static_selectorELNS0_4arch9wavefront6targetE1EEEvT1_,"axG",@progbits,_ZN7rocprim17ROCPRIM_400000_NS6detail17trampoline_kernelINS0_14default_configENS1_25transform_config_selectorIfLb0EEEZNS1_14transform_implILb0ES3_S5_NS0_18transform_iteratorINS0_17counting_iteratorImlEEZNS1_24adjacent_difference_implIS3_Lb1ELb0EPKfPfN6thrust23THRUST_200600_302600_NS4plusIfEEEE10hipError_tPvRmT2_T3_mT4_P12ihipStream_tbEUlmE_fEESD_NS0_8identityIvEEEESI_SL_SM_mSN_SP_bEUlT_E_NS1_11comp_targetILNS1_3genE10ELNS1_11target_archE1201ELNS1_3gpuE5ELNS1_3repE0EEENS1_30default_config_static_selectorELNS0_4arch9wavefront6targetE1EEEvT1_,comdat
.Lfunc_end629:
	.size	_ZN7rocprim17ROCPRIM_400000_NS6detail17trampoline_kernelINS0_14default_configENS1_25transform_config_selectorIfLb0EEEZNS1_14transform_implILb0ES3_S5_NS0_18transform_iteratorINS0_17counting_iteratorImlEEZNS1_24adjacent_difference_implIS3_Lb1ELb0EPKfPfN6thrust23THRUST_200600_302600_NS4plusIfEEEE10hipError_tPvRmT2_T3_mT4_P12ihipStream_tbEUlmE_fEESD_NS0_8identityIvEEEESI_SL_SM_mSN_SP_bEUlT_E_NS1_11comp_targetILNS1_3genE10ELNS1_11target_archE1201ELNS1_3gpuE5ELNS1_3repE0EEENS1_30default_config_static_selectorELNS0_4arch9wavefront6targetE1EEEvT1_, .Lfunc_end629-_ZN7rocprim17ROCPRIM_400000_NS6detail17trampoline_kernelINS0_14default_configENS1_25transform_config_selectorIfLb0EEEZNS1_14transform_implILb0ES3_S5_NS0_18transform_iteratorINS0_17counting_iteratorImlEEZNS1_24adjacent_difference_implIS3_Lb1ELb0EPKfPfN6thrust23THRUST_200600_302600_NS4plusIfEEEE10hipError_tPvRmT2_T3_mT4_P12ihipStream_tbEUlmE_fEESD_NS0_8identityIvEEEESI_SL_SM_mSN_SP_bEUlT_E_NS1_11comp_targetILNS1_3genE10ELNS1_11target_archE1201ELNS1_3gpuE5ELNS1_3repE0EEENS1_30default_config_static_selectorELNS0_4arch9wavefront6targetE1EEEvT1_
                                        ; -- End function
	.section	.AMDGPU.csdata,"",@progbits
; Kernel info:
; codeLenInByte = 0
; NumSgprs: 6
; NumVgprs: 0
; NumAgprs: 0
; TotalNumVgprs: 0
; ScratchSize: 0
; MemoryBound: 0
; FloatMode: 240
; IeeeMode: 1
; LDSByteSize: 0 bytes/workgroup (compile time only)
; SGPRBlocks: 0
; VGPRBlocks: 0
; NumSGPRsForWavesPerEU: 6
; NumVGPRsForWavesPerEU: 1
; AccumOffset: 4
; Occupancy: 8
; WaveLimiterHint : 0
; COMPUTE_PGM_RSRC2:SCRATCH_EN: 0
; COMPUTE_PGM_RSRC2:USER_SGPR: 2
; COMPUTE_PGM_RSRC2:TRAP_HANDLER: 0
; COMPUTE_PGM_RSRC2:TGID_X_EN: 1
; COMPUTE_PGM_RSRC2:TGID_Y_EN: 0
; COMPUTE_PGM_RSRC2:TGID_Z_EN: 0
; COMPUTE_PGM_RSRC2:TIDIG_COMP_CNT: 0
; COMPUTE_PGM_RSRC3_GFX90A:ACCUM_OFFSET: 0
; COMPUTE_PGM_RSRC3_GFX90A:TG_SPLIT: 0
	.section	.text._ZN7rocprim17ROCPRIM_400000_NS6detail17trampoline_kernelINS0_14default_configENS1_25transform_config_selectorIfLb0EEEZNS1_14transform_implILb0ES3_S5_NS0_18transform_iteratorINS0_17counting_iteratorImlEEZNS1_24adjacent_difference_implIS3_Lb1ELb0EPKfPfN6thrust23THRUST_200600_302600_NS4plusIfEEEE10hipError_tPvRmT2_T3_mT4_P12ihipStream_tbEUlmE_fEESD_NS0_8identityIvEEEESI_SL_SM_mSN_SP_bEUlT_E_NS1_11comp_targetILNS1_3genE10ELNS1_11target_archE1200ELNS1_3gpuE4ELNS1_3repE0EEENS1_30default_config_static_selectorELNS0_4arch9wavefront6targetE1EEEvT1_,"axG",@progbits,_ZN7rocprim17ROCPRIM_400000_NS6detail17trampoline_kernelINS0_14default_configENS1_25transform_config_selectorIfLb0EEEZNS1_14transform_implILb0ES3_S5_NS0_18transform_iteratorINS0_17counting_iteratorImlEEZNS1_24adjacent_difference_implIS3_Lb1ELb0EPKfPfN6thrust23THRUST_200600_302600_NS4plusIfEEEE10hipError_tPvRmT2_T3_mT4_P12ihipStream_tbEUlmE_fEESD_NS0_8identityIvEEEESI_SL_SM_mSN_SP_bEUlT_E_NS1_11comp_targetILNS1_3genE10ELNS1_11target_archE1200ELNS1_3gpuE4ELNS1_3repE0EEENS1_30default_config_static_selectorELNS0_4arch9wavefront6targetE1EEEvT1_,comdat
	.protected	_ZN7rocprim17ROCPRIM_400000_NS6detail17trampoline_kernelINS0_14default_configENS1_25transform_config_selectorIfLb0EEEZNS1_14transform_implILb0ES3_S5_NS0_18transform_iteratorINS0_17counting_iteratorImlEEZNS1_24adjacent_difference_implIS3_Lb1ELb0EPKfPfN6thrust23THRUST_200600_302600_NS4plusIfEEEE10hipError_tPvRmT2_T3_mT4_P12ihipStream_tbEUlmE_fEESD_NS0_8identityIvEEEESI_SL_SM_mSN_SP_bEUlT_E_NS1_11comp_targetILNS1_3genE10ELNS1_11target_archE1200ELNS1_3gpuE4ELNS1_3repE0EEENS1_30default_config_static_selectorELNS0_4arch9wavefront6targetE1EEEvT1_ ; -- Begin function _ZN7rocprim17ROCPRIM_400000_NS6detail17trampoline_kernelINS0_14default_configENS1_25transform_config_selectorIfLb0EEEZNS1_14transform_implILb0ES3_S5_NS0_18transform_iteratorINS0_17counting_iteratorImlEEZNS1_24adjacent_difference_implIS3_Lb1ELb0EPKfPfN6thrust23THRUST_200600_302600_NS4plusIfEEEE10hipError_tPvRmT2_T3_mT4_P12ihipStream_tbEUlmE_fEESD_NS0_8identityIvEEEESI_SL_SM_mSN_SP_bEUlT_E_NS1_11comp_targetILNS1_3genE10ELNS1_11target_archE1200ELNS1_3gpuE4ELNS1_3repE0EEENS1_30default_config_static_selectorELNS0_4arch9wavefront6targetE1EEEvT1_
	.globl	_ZN7rocprim17ROCPRIM_400000_NS6detail17trampoline_kernelINS0_14default_configENS1_25transform_config_selectorIfLb0EEEZNS1_14transform_implILb0ES3_S5_NS0_18transform_iteratorINS0_17counting_iteratorImlEEZNS1_24adjacent_difference_implIS3_Lb1ELb0EPKfPfN6thrust23THRUST_200600_302600_NS4plusIfEEEE10hipError_tPvRmT2_T3_mT4_P12ihipStream_tbEUlmE_fEESD_NS0_8identityIvEEEESI_SL_SM_mSN_SP_bEUlT_E_NS1_11comp_targetILNS1_3genE10ELNS1_11target_archE1200ELNS1_3gpuE4ELNS1_3repE0EEENS1_30default_config_static_selectorELNS0_4arch9wavefront6targetE1EEEvT1_
	.p2align	8
	.type	_ZN7rocprim17ROCPRIM_400000_NS6detail17trampoline_kernelINS0_14default_configENS1_25transform_config_selectorIfLb0EEEZNS1_14transform_implILb0ES3_S5_NS0_18transform_iteratorINS0_17counting_iteratorImlEEZNS1_24adjacent_difference_implIS3_Lb1ELb0EPKfPfN6thrust23THRUST_200600_302600_NS4plusIfEEEE10hipError_tPvRmT2_T3_mT4_P12ihipStream_tbEUlmE_fEESD_NS0_8identityIvEEEESI_SL_SM_mSN_SP_bEUlT_E_NS1_11comp_targetILNS1_3genE10ELNS1_11target_archE1200ELNS1_3gpuE4ELNS1_3repE0EEENS1_30default_config_static_selectorELNS0_4arch9wavefront6targetE1EEEvT1_,@function
_ZN7rocprim17ROCPRIM_400000_NS6detail17trampoline_kernelINS0_14default_configENS1_25transform_config_selectorIfLb0EEEZNS1_14transform_implILb0ES3_S5_NS0_18transform_iteratorINS0_17counting_iteratorImlEEZNS1_24adjacent_difference_implIS3_Lb1ELb0EPKfPfN6thrust23THRUST_200600_302600_NS4plusIfEEEE10hipError_tPvRmT2_T3_mT4_P12ihipStream_tbEUlmE_fEESD_NS0_8identityIvEEEESI_SL_SM_mSN_SP_bEUlT_E_NS1_11comp_targetILNS1_3genE10ELNS1_11target_archE1200ELNS1_3gpuE4ELNS1_3repE0EEENS1_30default_config_static_selectorELNS0_4arch9wavefront6targetE1EEEvT1_: ; @_ZN7rocprim17ROCPRIM_400000_NS6detail17trampoline_kernelINS0_14default_configENS1_25transform_config_selectorIfLb0EEEZNS1_14transform_implILb0ES3_S5_NS0_18transform_iteratorINS0_17counting_iteratorImlEEZNS1_24adjacent_difference_implIS3_Lb1ELb0EPKfPfN6thrust23THRUST_200600_302600_NS4plusIfEEEE10hipError_tPvRmT2_T3_mT4_P12ihipStream_tbEUlmE_fEESD_NS0_8identityIvEEEESI_SL_SM_mSN_SP_bEUlT_E_NS1_11comp_targetILNS1_3genE10ELNS1_11target_archE1200ELNS1_3gpuE4ELNS1_3repE0EEENS1_30default_config_static_selectorELNS0_4arch9wavefront6targetE1EEEvT1_
; %bb.0:
	.section	.rodata,"a",@progbits
	.p2align	6, 0x0
	.amdhsa_kernel _ZN7rocprim17ROCPRIM_400000_NS6detail17trampoline_kernelINS0_14default_configENS1_25transform_config_selectorIfLb0EEEZNS1_14transform_implILb0ES3_S5_NS0_18transform_iteratorINS0_17counting_iteratorImlEEZNS1_24adjacent_difference_implIS3_Lb1ELb0EPKfPfN6thrust23THRUST_200600_302600_NS4plusIfEEEE10hipError_tPvRmT2_T3_mT4_P12ihipStream_tbEUlmE_fEESD_NS0_8identityIvEEEESI_SL_SM_mSN_SP_bEUlT_E_NS1_11comp_targetILNS1_3genE10ELNS1_11target_archE1200ELNS1_3gpuE4ELNS1_3repE0EEENS1_30default_config_static_selectorELNS0_4arch9wavefront6targetE1EEEvT1_
		.amdhsa_group_segment_fixed_size 0
		.amdhsa_private_segment_fixed_size 0
		.amdhsa_kernarg_size 56
		.amdhsa_user_sgpr_count 2
		.amdhsa_user_sgpr_dispatch_ptr 0
		.amdhsa_user_sgpr_queue_ptr 0
		.amdhsa_user_sgpr_kernarg_segment_ptr 1
		.amdhsa_user_sgpr_dispatch_id 0
		.amdhsa_user_sgpr_kernarg_preload_length 0
		.amdhsa_user_sgpr_kernarg_preload_offset 0
		.amdhsa_user_sgpr_private_segment_size 0
		.amdhsa_uses_dynamic_stack 0
		.amdhsa_enable_private_segment 0
		.amdhsa_system_sgpr_workgroup_id_x 1
		.amdhsa_system_sgpr_workgroup_id_y 0
		.amdhsa_system_sgpr_workgroup_id_z 0
		.amdhsa_system_sgpr_workgroup_info 0
		.amdhsa_system_vgpr_workitem_id 0
		.amdhsa_next_free_vgpr 1
		.amdhsa_next_free_sgpr 0
		.amdhsa_accum_offset 4
		.amdhsa_reserve_vcc 0
		.amdhsa_float_round_mode_32 0
		.amdhsa_float_round_mode_16_64 0
		.amdhsa_float_denorm_mode_32 3
		.amdhsa_float_denorm_mode_16_64 3
		.amdhsa_dx10_clamp 1
		.amdhsa_ieee_mode 1
		.amdhsa_fp16_overflow 0
		.amdhsa_tg_split 0
		.amdhsa_exception_fp_ieee_invalid_op 0
		.amdhsa_exception_fp_denorm_src 0
		.amdhsa_exception_fp_ieee_div_zero 0
		.amdhsa_exception_fp_ieee_overflow 0
		.amdhsa_exception_fp_ieee_underflow 0
		.amdhsa_exception_fp_ieee_inexact 0
		.amdhsa_exception_int_div_zero 0
	.end_amdhsa_kernel
	.section	.text._ZN7rocprim17ROCPRIM_400000_NS6detail17trampoline_kernelINS0_14default_configENS1_25transform_config_selectorIfLb0EEEZNS1_14transform_implILb0ES3_S5_NS0_18transform_iteratorINS0_17counting_iteratorImlEEZNS1_24adjacent_difference_implIS3_Lb1ELb0EPKfPfN6thrust23THRUST_200600_302600_NS4plusIfEEEE10hipError_tPvRmT2_T3_mT4_P12ihipStream_tbEUlmE_fEESD_NS0_8identityIvEEEESI_SL_SM_mSN_SP_bEUlT_E_NS1_11comp_targetILNS1_3genE10ELNS1_11target_archE1200ELNS1_3gpuE4ELNS1_3repE0EEENS1_30default_config_static_selectorELNS0_4arch9wavefront6targetE1EEEvT1_,"axG",@progbits,_ZN7rocprim17ROCPRIM_400000_NS6detail17trampoline_kernelINS0_14default_configENS1_25transform_config_selectorIfLb0EEEZNS1_14transform_implILb0ES3_S5_NS0_18transform_iteratorINS0_17counting_iteratorImlEEZNS1_24adjacent_difference_implIS3_Lb1ELb0EPKfPfN6thrust23THRUST_200600_302600_NS4plusIfEEEE10hipError_tPvRmT2_T3_mT4_P12ihipStream_tbEUlmE_fEESD_NS0_8identityIvEEEESI_SL_SM_mSN_SP_bEUlT_E_NS1_11comp_targetILNS1_3genE10ELNS1_11target_archE1200ELNS1_3gpuE4ELNS1_3repE0EEENS1_30default_config_static_selectorELNS0_4arch9wavefront6targetE1EEEvT1_,comdat
.Lfunc_end630:
	.size	_ZN7rocprim17ROCPRIM_400000_NS6detail17trampoline_kernelINS0_14default_configENS1_25transform_config_selectorIfLb0EEEZNS1_14transform_implILb0ES3_S5_NS0_18transform_iteratorINS0_17counting_iteratorImlEEZNS1_24adjacent_difference_implIS3_Lb1ELb0EPKfPfN6thrust23THRUST_200600_302600_NS4plusIfEEEE10hipError_tPvRmT2_T3_mT4_P12ihipStream_tbEUlmE_fEESD_NS0_8identityIvEEEESI_SL_SM_mSN_SP_bEUlT_E_NS1_11comp_targetILNS1_3genE10ELNS1_11target_archE1200ELNS1_3gpuE4ELNS1_3repE0EEENS1_30default_config_static_selectorELNS0_4arch9wavefront6targetE1EEEvT1_, .Lfunc_end630-_ZN7rocprim17ROCPRIM_400000_NS6detail17trampoline_kernelINS0_14default_configENS1_25transform_config_selectorIfLb0EEEZNS1_14transform_implILb0ES3_S5_NS0_18transform_iteratorINS0_17counting_iteratorImlEEZNS1_24adjacent_difference_implIS3_Lb1ELb0EPKfPfN6thrust23THRUST_200600_302600_NS4plusIfEEEE10hipError_tPvRmT2_T3_mT4_P12ihipStream_tbEUlmE_fEESD_NS0_8identityIvEEEESI_SL_SM_mSN_SP_bEUlT_E_NS1_11comp_targetILNS1_3genE10ELNS1_11target_archE1200ELNS1_3gpuE4ELNS1_3repE0EEENS1_30default_config_static_selectorELNS0_4arch9wavefront6targetE1EEEvT1_
                                        ; -- End function
	.section	.AMDGPU.csdata,"",@progbits
; Kernel info:
; codeLenInByte = 0
; NumSgprs: 6
; NumVgprs: 0
; NumAgprs: 0
; TotalNumVgprs: 0
; ScratchSize: 0
; MemoryBound: 0
; FloatMode: 240
; IeeeMode: 1
; LDSByteSize: 0 bytes/workgroup (compile time only)
; SGPRBlocks: 0
; VGPRBlocks: 0
; NumSGPRsForWavesPerEU: 6
; NumVGPRsForWavesPerEU: 1
; AccumOffset: 4
; Occupancy: 8
; WaveLimiterHint : 0
; COMPUTE_PGM_RSRC2:SCRATCH_EN: 0
; COMPUTE_PGM_RSRC2:USER_SGPR: 2
; COMPUTE_PGM_RSRC2:TRAP_HANDLER: 0
; COMPUTE_PGM_RSRC2:TGID_X_EN: 1
; COMPUTE_PGM_RSRC2:TGID_Y_EN: 0
; COMPUTE_PGM_RSRC2:TGID_Z_EN: 0
; COMPUTE_PGM_RSRC2:TIDIG_COMP_CNT: 0
; COMPUTE_PGM_RSRC3_GFX90A:ACCUM_OFFSET: 0
; COMPUTE_PGM_RSRC3_GFX90A:TG_SPLIT: 0
	.section	.text._ZN7rocprim17ROCPRIM_400000_NS6detail17trampoline_kernelINS0_14default_configENS1_25transform_config_selectorIfLb0EEEZNS1_14transform_implILb0ES3_S5_NS0_18transform_iteratorINS0_17counting_iteratorImlEEZNS1_24adjacent_difference_implIS3_Lb1ELb0EPKfPfN6thrust23THRUST_200600_302600_NS4plusIfEEEE10hipError_tPvRmT2_T3_mT4_P12ihipStream_tbEUlmE_fEESD_NS0_8identityIvEEEESI_SL_SM_mSN_SP_bEUlT_E_NS1_11comp_targetILNS1_3genE9ELNS1_11target_archE1100ELNS1_3gpuE3ELNS1_3repE0EEENS1_30default_config_static_selectorELNS0_4arch9wavefront6targetE1EEEvT1_,"axG",@progbits,_ZN7rocprim17ROCPRIM_400000_NS6detail17trampoline_kernelINS0_14default_configENS1_25transform_config_selectorIfLb0EEEZNS1_14transform_implILb0ES3_S5_NS0_18transform_iteratorINS0_17counting_iteratorImlEEZNS1_24adjacent_difference_implIS3_Lb1ELb0EPKfPfN6thrust23THRUST_200600_302600_NS4plusIfEEEE10hipError_tPvRmT2_T3_mT4_P12ihipStream_tbEUlmE_fEESD_NS0_8identityIvEEEESI_SL_SM_mSN_SP_bEUlT_E_NS1_11comp_targetILNS1_3genE9ELNS1_11target_archE1100ELNS1_3gpuE3ELNS1_3repE0EEENS1_30default_config_static_selectorELNS0_4arch9wavefront6targetE1EEEvT1_,comdat
	.protected	_ZN7rocprim17ROCPRIM_400000_NS6detail17trampoline_kernelINS0_14default_configENS1_25transform_config_selectorIfLb0EEEZNS1_14transform_implILb0ES3_S5_NS0_18transform_iteratorINS0_17counting_iteratorImlEEZNS1_24adjacent_difference_implIS3_Lb1ELb0EPKfPfN6thrust23THRUST_200600_302600_NS4plusIfEEEE10hipError_tPvRmT2_T3_mT4_P12ihipStream_tbEUlmE_fEESD_NS0_8identityIvEEEESI_SL_SM_mSN_SP_bEUlT_E_NS1_11comp_targetILNS1_3genE9ELNS1_11target_archE1100ELNS1_3gpuE3ELNS1_3repE0EEENS1_30default_config_static_selectorELNS0_4arch9wavefront6targetE1EEEvT1_ ; -- Begin function _ZN7rocprim17ROCPRIM_400000_NS6detail17trampoline_kernelINS0_14default_configENS1_25transform_config_selectorIfLb0EEEZNS1_14transform_implILb0ES3_S5_NS0_18transform_iteratorINS0_17counting_iteratorImlEEZNS1_24adjacent_difference_implIS3_Lb1ELb0EPKfPfN6thrust23THRUST_200600_302600_NS4plusIfEEEE10hipError_tPvRmT2_T3_mT4_P12ihipStream_tbEUlmE_fEESD_NS0_8identityIvEEEESI_SL_SM_mSN_SP_bEUlT_E_NS1_11comp_targetILNS1_3genE9ELNS1_11target_archE1100ELNS1_3gpuE3ELNS1_3repE0EEENS1_30default_config_static_selectorELNS0_4arch9wavefront6targetE1EEEvT1_
	.globl	_ZN7rocprim17ROCPRIM_400000_NS6detail17trampoline_kernelINS0_14default_configENS1_25transform_config_selectorIfLb0EEEZNS1_14transform_implILb0ES3_S5_NS0_18transform_iteratorINS0_17counting_iteratorImlEEZNS1_24adjacent_difference_implIS3_Lb1ELb0EPKfPfN6thrust23THRUST_200600_302600_NS4plusIfEEEE10hipError_tPvRmT2_T3_mT4_P12ihipStream_tbEUlmE_fEESD_NS0_8identityIvEEEESI_SL_SM_mSN_SP_bEUlT_E_NS1_11comp_targetILNS1_3genE9ELNS1_11target_archE1100ELNS1_3gpuE3ELNS1_3repE0EEENS1_30default_config_static_selectorELNS0_4arch9wavefront6targetE1EEEvT1_
	.p2align	8
	.type	_ZN7rocprim17ROCPRIM_400000_NS6detail17trampoline_kernelINS0_14default_configENS1_25transform_config_selectorIfLb0EEEZNS1_14transform_implILb0ES3_S5_NS0_18transform_iteratorINS0_17counting_iteratorImlEEZNS1_24adjacent_difference_implIS3_Lb1ELb0EPKfPfN6thrust23THRUST_200600_302600_NS4plusIfEEEE10hipError_tPvRmT2_T3_mT4_P12ihipStream_tbEUlmE_fEESD_NS0_8identityIvEEEESI_SL_SM_mSN_SP_bEUlT_E_NS1_11comp_targetILNS1_3genE9ELNS1_11target_archE1100ELNS1_3gpuE3ELNS1_3repE0EEENS1_30default_config_static_selectorELNS0_4arch9wavefront6targetE1EEEvT1_,@function
_ZN7rocprim17ROCPRIM_400000_NS6detail17trampoline_kernelINS0_14default_configENS1_25transform_config_selectorIfLb0EEEZNS1_14transform_implILb0ES3_S5_NS0_18transform_iteratorINS0_17counting_iteratorImlEEZNS1_24adjacent_difference_implIS3_Lb1ELb0EPKfPfN6thrust23THRUST_200600_302600_NS4plusIfEEEE10hipError_tPvRmT2_T3_mT4_P12ihipStream_tbEUlmE_fEESD_NS0_8identityIvEEEESI_SL_SM_mSN_SP_bEUlT_E_NS1_11comp_targetILNS1_3genE9ELNS1_11target_archE1100ELNS1_3gpuE3ELNS1_3repE0EEENS1_30default_config_static_selectorELNS0_4arch9wavefront6targetE1EEEvT1_: ; @_ZN7rocprim17ROCPRIM_400000_NS6detail17trampoline_kernelINS0_14default_configENS1_25transform_config_selectorIfLb0EEEZNS1_14transform_implILb0ES3_S5_NS0_18transform_iteratorINS0_17counting_iteratorImlEEZNS1_24adjacent_difference_implIS3_Lb1ELb0EPKfPfN6thrust23THRUST_200600_302600_NS4plusIfEEEE10hipError_tPvRmT2_T3_mT4_P12ihipStream_tbEUlmE_fEESD_NS0_8identityIvEEEESI_SL_SM_mSN_SP_bEUlT_E_NS1_11comp_targetILNS1_3genE9ELNS1_11target_archE1100ELNS1_3gpuE3ELNS1_3repE0EEENS1_30default_config_static_selectorELNS0_4arch9wavefront6targetE1EEEvT1_
; %bb.0:
	.section	.rodata,"a",@progbits
	.p2align	6, 0x0
	.amdhsa_kernel _ZN7rocprim17ROCPRIM_400000_NS6detail17trampoline_kernelINS0_14default_configENS1_25transform_config_selectorIfLb0EEEZNS1_14transform_implILb0ES3_S5_NS0_18transform_iteratorINS0_17counting_iteratorImlEEZNS1_24adjacent_difference_implIS3_Lb1ELb0EPKfPfN6thrust23THRUST_200600_302600_NS4plusIfEEEE10hipError_tPvRmT2_T3_mT4_P12ihipStream_tbEUlmE_fEESD_NS0_8identityIvEEEESI_SL_SM_mSN_SP_bEUlT_E_NS1_11comp_targetILNS1_3genE9ELNS1_11target_archE1100ELNS1_3gpuE3ELNS1_3repE0EEENS1_30default_config_static_selectorELNS0_4arch9wavefront6targetE1EEEvT1_
		.amdhsa_group_segment_fixed_size 0
		.amdhsa_private_segment_fixed_size 0
		.amdhsa_kernarg_size 56
		.amdhsa_user_sgpr_count 2
		.amdhsa_user_sgpr_dispatch_ptr 0
		.amdhsa_user_sgpr_queue_ptr 0
		.amdhsa_user_sgpr_kernarg_segment_ptr 1
		.amdhsa_user_sgpr_dispatch_id 0
		.amdhsa_user_sgpr_kernarg_preload_length 0
		.amdhsa_user_sgpr_kernarg_preload_offset 0
		.amdhsa_user_sgpr_private_segment_size 0
		.amdhsa_uses_dynamic_stack 0
		.amdhsa_enable_private_segment 0
		.amdhsa_system_sgpr_workgroup_id_x 1
		.amdhsa_system_sgpr_workgroup_id_y 0
		.amdhsa_system_sgpr_workgroup_id_z 0
		.amdhsa_system_sgpr_workgroup_info 0
		.amdhsa_system_vgpr_workitem_id 0
		.amdhsa_next_free_vgpr 1
		.amdhsa_next_free_sgpr 0
		.amdhsa_accum_offset 4
		.amdhsa_reserve_vcc 0
		.amdhsa_float_round_mode_32 0
		.amdhsa_float_round_mode_16_64 0
		.amdhsa_float_denorm_mode_32 3
		.amdhsa_float_denorm_mode_16_64 3
		.amdhsa_dx10_clamp 1
		.amdhsa_ieee_mode 1
		.amdhsa_fp16_overflow 0
		.amdhsa_tg_split 0
		.amdhsa_exception_fp_ieee_invalid_op 0
		.amdhsa_exception_fp_denorm_src 0
		.amdhsa_exception_fp_ieee_div_zero 0
		.amdhsa_exception_fp_ieee_overflow 0
		.amdhsa_exception_fp_ieee_underflow 0
		.amdhsa_exception_fp_ieee_inexact 0
		.amdhsa_exception_int_div_zero 0
	.end_amdhsa_kernel
	.section	.text._ZN7rocprim17ROCPRIM_400000_NS6detail17trampoline_kernelINS0_14default_configENS1_25transform_config_selectorIfLb0EEEZNS1_14transform_implILb0ES3_S5_NS0_18transform_iteratorINS0_17counting_iteratorImlEEZNS1_24adjacent_difference_implIS3_Lb1ELb0EPKfPfN6thrust23THRUST_200600_302600_NS4plusIfEEEE10hipError_tPvRmT2_T3_mT4_P12ihipStream_tbEUlmE_fEESD_NS0_8identityIvEEEESI_SL_SM_mSN_SP_bEUlT_E_NS1_11comp_targetILNS1_3genE9ELNS1_11target_archE1100ELNS1_3gpuE3ELNS1_3repE0EEENS1_30default_config_static_selectorELNS0_4arch9wavefront6targetE1EEEvT1_,"axG",@progbits,_ZN7rocprim17ROCPRIM_400000_NS6detail17trampoline_kernelINS0_14default_configENS1_25transform_config_selectorIfLb0EEEZNS1_14transform_implILb0ES3_S5_NS0_18transform_iteratorINS0_17counting_iteratorImlEEZNS1_24adjacent_difference_implIS3_Lb1ELb0EPKfPfN6thrust23THRUST_200600_302600_NS4plusIfEEEE10hipError_tPvRmT2_T3_mT4_P12ihipStream_tbEUlmE_fEESD_NS0_8identityIvEEEESI_SL_SM_mSN_SP_bEUlT_E_NS1_11comp_targetILNS1_3genE9ELNS1_11target_archE1100ELNS1_3gpuE3ELNS1_3repE0EEENS1_30default_config_static_selectorELNS0_4arch9wavefront6targetE1EEEvT1_,comdat
.Lfunc_end631:
	.size	_ZN7rocprim17ROCPRIM_400000_NS6detail17trampoline_kernelINS0_14default_configENS1_25transform_config_selectorIfLb0EEEZNS1_14transform_implILb0ES3_S5_NS0_18transform_iteratorINS0_17counting_iteratorImlEEZNS1_24adjacent_difference_implIS3_Lb1ELb0EPKfPfN6thrust23THRUST_200600_302600_NS4plusIfEEEE10hipError_tPvRmT2_T3_mT4_P12ihipStream_tbEUlmE_fEESD_NS0_8identityIvEEEESI_SL_SM_mSN_SP_bEUlT_E_NS1_11comp_targetILNS1_3genE9ELNS1_11target_archE1100ELNS1_3gpuE3ELNS1_3repE0EEENS1_30default_config_static_selectorELNS0_4arch9wavefront6targetE1EEEvT1_, .Lfunc_end631-_ZN7rocprim17ROCPRIM_400000_NS6detail17trampoline_kernelINS0_14default_configENS1_25transform_config_selectorIfLb0EEEZNS1_14transform_implILb0ES3_S5_NS0_18transform_iteratorINS0_17counting_iteratorImlEEZNS1_24adjacent_difference_implIS3_Lb1ELb0EPKfPfN6thrust23THRUST_200600_302600_NS4plusIfEEEE10hipError_tPvRmT2_T3_mT4_P12ihipStream_tbEUlmE_fEESD_NS0_8identityIvEEEESI_SL_SM_mSN_SP_bEUlT_E_NS1_11comp_targetILNS1_3genE9ELNS1_11target_archE1100ELNS1_3gpuE3ELNS1_3repE0EEENS1_30default_config_static_selectorELNS0_4arch9wavefront6targetE1EEEvT1_
                                        ; -- End function
	.section	.AMDGPU.csdata,"",@progbits
; Kernel info:
; codeLenInByte = 0
; NumSgprs: 6
; NumVgprs: 0
; NumAgprs: 0
; TotalNumVgprs: 0
; ScratchSize: 0
; MemoryBound: 0
; FloatMode: 240
; IeeeMode: 1
; LDSByteSize: 0 bytes/workgroup (compile time only)
; SGPRBlocks: 0
; VGPRBlocks: 0
; NumSGPRsForWavesPerEU: 6
; NumVGPRsForWavesPerEU: 1
; AccumOffset: 4
; Occupancy: 8
; WaveLimiterHint : 0
; COMPUTE_PGM_RSRC2:SCRATCH_EN: 0
; COMPUTE_PGM_RSRC2:USER_SGPR: 2
; COMPUTE_PGM_RSRC2:TRAP_HANDLER: 0
; COMPUTE_PGM_RSRC2:TGID_X_EN: 1
; COMPUTE_PGM_RSRC2:TGID_Y_EN: 0
; COMPUTE_PGM_RSRC2:TGID_Z_EN: 0
; COMPUTE_PGM_RSRC2:TIDIG_COMP_CNT: 0
; COMPUTE_PGM_RSRC3_GFX90A:ACCUM_OFFSET: 0
; COMPUTE_PGM_RSRC3_GFX90A:TG_SPLIT: 0
	.section	.text._ZN7rocprim17ROCPRIM_400000_NS6detail17trampoline_kernelINS0_14default_configENS1_25transform_config_selectorIfLb0EEEZNS1_14transform_implILb0ES3_S5_NS0_18transform_iteratorINS0_17counting_iteratorImlEEZNS1_24adjacent_difference_implIS3_Lb1ELb0EPKfPfN6thrust23THRUST_200600_302600_NS4plusIfEEEE10hipError_tPvRmT2_T3_mT4_P12ihipStream_tbEUlmE_fEESD_NS0_8identityIvEEEESI_SL_SM_mSN_SP_bEUlT_E_NS1_11comp_targetILNS1_3genE8ELNS1_11target_archE1030ELNS1_3gpuE2ELNS1_3repE0EEENS1_30default_config_static_selectorELNS0_4arch9wavefront6targetE1EEEvT1_,"axG",@progbits,_ZN7rocprim17ROCPRIM_400000_NS6detail17trampoline_kernelINS0_14default_configENS1_25transform_config_selectorIfLb0EEEZNS1_14transform_implILb0ES3_S5_NS0_18transform_iteratorINS0_17counting_iteratorImlEEZNS1_24adjacent_difference_implIS3_Lb1ELb0EPKfPfN6thrust23THRUST_200600_302600_NS4plusIfEEEE10hipError_tPvRmT2_T3_mT4_P12ihipStream_tbEUlmE_fEESD_NS0_8identityIvEEEESI_SL_SM_mSN_SP_bEUlT_E_NS1_11comp_targetILNS1_3genE8ELNS1_11target_archE1030ELNS1_3gpuE2ELNS1_3repE0EEENS1_30default_config_static_selectorELNS0_4arch9wavefront6targetE1EEEvT1_,comdat
	.protected	_ZN7rocprim17ROCPRIM_400000_NS6detail17trampoline_kernelINS0_14default_configENS1_25transform_config_selectorIfLb0EEEZNS1_14transform_implILb0ES3_S5_NS0_18transform_iteratorINS0_17counting_iteratorImlEEZNS1_24adjacent_difference_implIS3_Lb1ELb0EPKfPfN6thrust23THRUST_200600_302600_NS4plusIfEEEE10hipError_tPvRmT2_T3_mT4_P12ihipStream_tbEUlmE_fEESD_NS0_8identityIvEEEESI_SL_SM_mSN_SP_bEUlT_E_NS1_11comp_targetILNS1_3genE8ELNS1_11target_archE1030ELNS1_3gpuE2ELNS1_3repE0EEENS1_30default_config_static_selectorELNS0_4arch9wavefront6targetE1EEEvT1_ ; -- Begin function _ZN7rocprim17ROCPRIM_400000_NS6detail17trampoline_kernelINS0_14default_configENS1_25transform_config_selectorIfLb0EEEZNS1_14transform_implILb0ES3_S5_NS0_18transform_iteratorINS0_17counting_iteratorImlEEZNS1_24adjacent_difference_implIS3_Lb1ELb0EPKfPfN6thrust23THRUST_200600_302600_NS4plusIfEEEE10hipError_tPvRmT2_T3_mT4_P12ihipStream_tbEUlmE_fEESD_NS0_8identityIvEEEESI_SL_SM_mSN_SP_bEUlT_E_NS1_11comp_targetILNS1_3genE8ELNS1_11target_archE1030ELNS1_3gpuE2ELNS1_3repE0EEENS1_30default_config_static_selectorELNS0_4arch9wavefront6targetE1EEEvT1_
	.globl	_ZN7rocprim17ROCPRIM_400000_NS6detail17trampoline_kernelINS0_14default_configENS1_25transform_config_selectorIfLb0EEEZNS1_14transform_implILb0ES3_S5_NS0_18transform_iteratorINS0_17counting_iteratorImlEEZNS1_24adjacent_difference_implIS3_Lb1ELb0EPKfPfN6thrust23THRUST_200600_302600_NS4plusIfEEEE10hipError_tPvRmT2_T3_mT4_P12ihipStream_tbEUlmE_fEESD_NS0_8identityIvEEEESI_SL_SM_mSN_SP_bEUlT_E_NS1_11comp_targetILNS1_3genE8ELNS1_11target_archE1030ELNS1_3gpuE2ELNS1_3repE0EEENS1_30default_config_static_selectorELNS0_4arch9wavefront6targetE1EEEvT1_
	.p2align	8
	.type	_ZN7rocprim17ROCPRIM_400000_NS6detail17trampoline_kernelINS0_14default_configENS1_25transform_config_selectorIfLb0EEEZNS1_14transform_implILb0ES3_S5_NS0_18transform_iteratorINS0_17counting_iteratorImlEEZNS1_24adjacent_difference_implIS3_Lb1ELb0EPKfPfN6thrust23THRUST_200600_302600_NS4plusIfEEEE10hipError_tPvRmT2_T3_mT4_P12ihipStream_tbEUlmE_fEESD_NS0_8identityIvEEEESI_SL_SM_mSN_SP_bEUlT_E_NS1_11comp_targetILNS1_3genE8ELNS1_11target_archE1030ELNS1_3gpuE2ELNS1_3repE0EEENS1_30default_config_static_selectorELNS0_4arch9wavefront6targetE1EEEvT1_,@function
_ZN7rocprim17ROCPRIM_400000_NS6detail17trampoline_kernelINS0_14default_configENS1_25transform_config_selectorIfLb0EEEZNS1_14transform_implILb0ES3_S5_NS0_18transform_iteratorINS0_17counting_iteratorImlEEZNS1_24adjacent_difference_implIS3_Lb1ELb0EPKfPfN6thrust23THRUST_200600_302600_NS4plusIfEEEE10hipError_tPvRmT2_T3_mT4_P12ihipStream_tbEUlmE_fEESD_NS0_8identityIvEEEESI_SL_SM_mSN_SP_bEUlT_E_NS1_11comp_targetILNS1_3genE8ELNS1_11target_archE1030ELNS1_3gpuE2ELNS1_3repE0EEENS1_30default_config_static_selectorELNS0_4arch9wavefront6targetE1EEEvT1_: ; @_ZN7rocprim17ROCPRIM_400000_NS6detail17trampoline_kernelINS0_14default_configENS1_25transform_config_selectorIfLb0EEEZNS1_14transform_implILb0ES3_S5_NS0_18transform_iteratorINS0_17counting_iteratorImlEEZNS1_24adjacent_difference_implIS3_Lb1ELb0EPKfPfN6thrust23THRUST_200600_302600_NS4plusIfEEEE10hipError_tPvRmT2_T3_mT4_P12ihipStream_tbEUlmE_fEESD_NS0_8identityIvEEEESI_SL_SM_mSN_SP_bEUlT_E_NS1_11comp_targetILNS1_3genE8ELNS1_11target_archE1030ELNS1_3gpuE2ELNS1_3repE0EEENS1_30default_config_static_selectorELNS0_4arch9wavefront6targetE1EEEvT1_
; %bb.0:
	.section	.rodata,"a",@progbits
	.p2align	6, 0x0
	.amdhsa_kernel _ZN7rocprim17ROCPRIM_400000_NS6detail17trampoline_kernelINS0_14default_configENS1_25transform_config_selectorIfLb0EEEZNS1_14transform_implILb0ES3_S5_NS0_18transform_iteratorINS0_17counting_iteratorImlEEZNS1_24adjacent_difference_implIS3_Lb1ELb0EPKfPfN6thrust23THRUST_200600_302600_NS4plusIfEEEE10hipError_tPvRmT2_T3_mT4_P12ihipStream_tbEUlmE_fEESD_NS0_8identityIvEEEESI_SL_SM_mSN_SP_bEUlT_E_NS1_11comp_targetILNS1_3genE8ELNS1_11target_archE1030ELNS1_3gpuE2ELNS1_3repE0EEENS1_30default_config_static_selectorELNS0_4arch9wavefront6targetE1EEEvT1_
		.amdhsa_group_segment_fixed_size 0
		.amdhsa_private_segment_fixed_size 0
		.amdhsa_kernarg_size 56
		.amdhsa_user_sgpr_count 2
		.amdhsa_user_sgpr_dispatch_ptr 0
		.amdhsa_user_sgpr_queue_ptr 0
		.amdhsa_user_sgpr_kernarg_segment_ptr 1
		.amdhsa_user_sgpr_dispatch_id 0
		.amdhsa_user_sgpr_kernarg_preload_length 0
		.amdhsa_user_sgpr_kernarg_preload_offset 0
		.amdhsa_user_sgpr_private_segment_size 0
		.amdhsa_uses_dynamic_stack 0
		.amdhsa_enable_private_segment 0
		.amdhsa_system_sgpr_workgroup_id_x 1
		.amdhsa_system_sgpr_workgroup_id_y 0
		.amdhsa_system_sgpr_workgroup_id_z 0
		.amdhsa_system_sgpr_workgroup_info 0
		.amdhsa_system_vgpr_workitem_id 0
		.amdhsa_next_free_vgpr 1
		.amdhsa_next_free_sgpr 0
		.amdhsa_accum_offset 4
		.amdhsa_reserve_vcc 0
		.amdhsa_float_round_mode_32 0
		.amdhsa_float_round_mode_16_64 0
		.amdhsa_float_denorm_mode_32 3
		.amdhsa_float_denorm_mode_16_64 3
		.amdhsa_dx10_clamp 1
		.amdhsa_ieee_mode 1
		.amdhsa_fp16_overflow 0
		.amdhsa_tg_split 0
		.amdhsa_exception_fp_ieee_invalid_op 0
		.amdhsa_exception_fp_denorm_src 0
		.amdhsa_exception_fp_ieee_div_zero 0
		.amdhsa_exception_fp_ieee_overflow 0
		.amdhsa_exception_fp_ieee_underflow 0
		.amdhsa_exception_fp_ieee_inexact 0
		.amdhsa_exception_int_div_zero 0
	.end_amdhsa_kernel
	.section	.text._ZN7rocprim17ROCPRIM_400000_NS6detail17trampoline_kernelINS0_14default_configENS1_25transform_config_selectorIfLb0EEEZNS1_14transform_implILb0ES3_S5_NS0_18transform_iteratorINS0_17counting_iteratorImlEEZNS1_24adjacent_difference_implIS3_Lb1ELb0EPKfPfN6thrust23THRUST_200600_302600_NS4plusIfEEEE10hipError_tPvRmT2_T3_mT4_P12ihipStream_tbEUlmE_fEESD_NS0_8identityIvEEEESI_SL_SM_mSN_SP_bEUlT_E_NS1_11comp_targetILNS1_3genE8ELNS1_11target_archE1030ELNS1_3gpuE2ELNS1_3repE0EEENS1_30default_config_static_selectorELNS0_4arch9wavefront6targetE1EEEvT1_,"axG",@progbits,_ZN7rocprim17ROCPRIM_400000_NS6detail17trampoline_kernelINS0_14default_configENS1_25transform_config_selectorIfLb0EEEZNS1_14transform_implILb0ES3_S5_NS0_18transform_iteratorINS0_17counting_iteratorImlEEZNS1_24adjacent_difference_implIS3_Lb1ELb0EPKfPfN6thrust23THRUST_200600_302600_NS4plusIfEEEE10hipError_tPvRmT2_T3_mT4_P12ihipStream_tbEUlmE_fEESD_NS0_8identityIvEEEESI_SL_SM_mSN_SP_bEUlT_E_NS1_11comp_targetILNS1_3genE8ELNS1_11target_archE1030ELNS1_3gpuE2ELNS1_3repE0EEENS1_30default_config_static_selectorELNS0_4arch9wavefront6targetE1EEEvT1_,comdat
.Lfunc_end632:
	.size	_ZN7rocprim17ROCPRIM_400000_NS6detail17trampoline_kernelINS0_14default_configENS1_25transform_config_selectorIfLb0EEEZNS1_14transform_implILb0ES3_S5_NS0_18transform_iteratorINS0_17counting_iteratorImlEEZNS1_24adjacent_difference_implIS3_Lb1ELb0EPKfPfN6thrust23THRUST_200600_302600_NS4plusIfEEEE10hipError_tPvRmT2_T3_mT4_P12ihipStream_tbEUlmE_fEESD_NS0_8identityIvEEEESI_SL_SM_mSN_SP_bEUlT_E_NS1_11comp_targetILNS1_3genE8ELNS1_11target_archE1030ELNS1_3gpuE2ELNS1_3repE0EEENS1_30default_config_static_selectorELNS0_4arch9wavefront6targetE1EEEvT1_, .Lfunc_end632-_ZN7rocprim17ROCPRIM_400000_NS6detail17trampoline_kernelINS0_14default_configENS1_25transform_config_selectorIfLb0EEEZNS1_14transform_implILb0ES3_S5_NS0_18transform_iteratorINS0_17counting_iteratorImlEEZNS1_24adjacent_difference_implIS3_Lb1ELb0EPKfPfN6thrust23THRUST_200600_302600_NS4plusIfEEEE10hipError_tPvRmT2_T3_mT4_P12ihipStream_tbEUlmE_fEESD_NS0_8identityIvEEEESI_SL_SM_mSN_SP_bEUlT_E_NS1_11comp_targetILNS1_3genE8ELNS1_11target_archE1030ELNS1_3gpuE2ELNS1_3repE0EEENS1_30default_config_static_selectorELNS0_4arch9wavefront6targetE1EEEvT1_
                                        ; -- End function
	.section	.AMDGPU.csdata,"",@progbits
; Kernel info:
; codeLenInByte = 0
; NumSgprs: 6
; NumVgprs: 0
; NumAgprs: 0
; TotalNumVgprs: 0
; ScratchSize: 0
; MemoryBound: 0
; FloatMode: 240
; IeeeMode: 1
; LDSByteSize: 0 bytes/workgroup (compile time only)
; SGPRBlocks: 0
; VGPRBlocks: 0
; NumSGPRsForWavesPerEU: 6
; NumVGPRsForWavesPerEU: 1
; AccumOffset: 4
; Occupancy: 8
; WaveLimiterHint : 0
; COMPUTE_PGM_RSRC2:SCRATCH_EN: 0
; COMPUTE_PGM_RSRC2:USER_SGPR: 2
; COMPUTE_PGM_RSRC2:TRAP_HANDLER: 0
; COMPUTE_PGM_RSRC2:TGID_X_EN: 1
; COMPUTE_PGM_RSRC2:TGID_Y_EN: 0
; COMPUTE_PGM_RSRC2:TGID_Z_EN: 0
; COMPUTE_PGM_RSRC2:TIDIG_COMP_CNT: 0
; COMPUTE_PGM_RSRC3_GFX90A:ACCUM_OFFSET: 0
; COMPUTE_PGM_RSRC3_GFX90A:TG_SPLIT: 0
	.section	.text._ZN7rocprim17ROCPRIM_400000_NS6detail17trampoline_kernelINS0_14default_configENS1_35adjacent_difference_config_selectorILb1EfEEZNS1_24adjacent_difference_implIS3_Lb1ELb0EPKfPfN6thrust23THRUST_200600_302600_NS4plusIfEEEE10hipError_tPvRmT2_T3_mT4_P12ihipStream_tbEUlT_E_NS1_11comp_targetILNS1_3genE0ELNS1_11target_archE4294967295ELNS1_3gpuE0ELNS1_3repE0EEENS1_30default_config_static_selectorELNS0_4arch9wavefront6targetE1EEEvT1_,"axG",@progbits,_ZN7rocprim17ROCPRIM_400000_NS6detail17trampoline_kernelINS0_14default_configENS1_35adjacent_difference_config_selectorILb1EfEEZNS1_24adjacent_difference_implIS3_Lb1ELb0EPKfPfN6thrust23THRUST_200600_302600_NS4plusIfEEEE10hipError_tPvRmT2_T3_mT4_P12ihipStream_tbEUlT_E_NS1_11comp_targetILNS1_3genE0ELNS1_11target_archE4294967295ELNS1_3gpuE0ELNS1_3repE0EEENS1_30default_config_static_selectorELNS0_4arch9wavefront6targetE1EEEvT1_,comdat
	.protected	_ZN7rocprim17ROCPRIM_400000_NS6detail17trampoline_kernelINS0_14default_configENS1_35adjacent_difference_config_selectorILb1EfEEZNS1_24adjacent_difference_implIS3_Lb1ELb0EPKfPfN6thrust23THRUST_200600_302600_NS4plusIfEEEE10hipError_tPvRmT2_T3_mT4_P12ihipStream_tbEUlT_E_NS1_11comp_targetILNS1_3genE0ELNS1_11target_archE4294967295ELNS1_3gpuE0ELNS1_3repE0EEENS1_30default_config_static_selectorELNS0_4arch9wavefront6targetE1EEEvT1_ ; -- Begin function _ZN7rocprim17ROCPRIM_400000_NS6detail17trampoline_kernelINS0_14default_configENS1_35adjacent_difference_config_selectorILb1EfEEZNS1_24adjacent_difference_implIS3_Lb1ELb0EPKfPfN6thrust23THRUST_200600_302600_NS4plusIfEEEE10hipError_tPvRmT2_T3_mT4_P12ihipStream_tbEUlT_E_NS1_11comp_targetILNS1_3genE0ELNS1_11target_archE4294967295ELNS1_3gpuE0ELNS1_3repE0EEENS1_30default_config_static_selectorELNS0_4arch9wavefront6targetE1EEEvT1_
	.globl	_ZN7rocprim17ROCPRIM_400000_NS6detail17trampoline_kernelINS0_14default_configENS1_35adjacent_difference_config_selectorILb1EfEEZNS1_24adjacent_difference_implIS3_Lb1ELb0EPKfPfN6thrust23THRUST_200600_302600_NS4plusIfEEEE10hipError_tPvRmT2_T3_mT4_P12ihipStream_tbEUlT_E_NS1_11comp_targetILNS1_3genE0ELNS1_11target_archE4294967295ELNS1_3gpuE0ELNS1_3repE0EEENS1_30default_config_static_selectorELNS0_4arch9wavefront6targetE1EEEvT1_
	.p2align	8
	.type	_ZN7rocprim17ROCPRIM_400000_NS6detail17trampoline_kernelINS0_14default_configENS1_35adjacent_difference_config_selectorILb1EfEEZNS1_24adjacent_difference_implIS3_Lb1ELb0EPKfPfN6thrust23THRUST_200600_302600_NS4plusIfEEEE10hipError_tPvRmT2_T3_mT4_P12ihipStream_tbEUlT_E_NS1_11comp_targetILNS1_3genE0ELNS1_11target_archE4294967295ELNS1_3gpuE0ELNS1_3repE0EEENS1_30default_config_static_selectorELNS0_4arch9wavefront6targetE1EEEvT1_,@function
_ZN7rocprim17ROCPRIM_400000_NS6detail17trampoline_kernelINS0_14default_configENS1_35adjacent_difference_config_selectorILb1EfEEZNS1_24adjacent_difference_implIS3_Lb1ELb0EPKfPfN6thrust23THRUST_200600_302600_NS4plusIfEEEE10hipError_tPvRmT2_T3_mT4_P12ihipStream_tbEUlT_E_NS1_11comp_targetILNS1_3genE0ELNS1_11target_archE4294967295ELNS1_3gpuE0ELNS1_3repE0EEENS1_30default_config_static_selectorELNS0_4arch9wavefront6targetE1EEEvT1_: ; @_ZN7rocprim17ROCPRIM_400000_NS6detail17trampoline_kernelINS0_14default_configENS1_35adjacent_difference_config_selectorILb1EfEEZNS1_24adjacent_difference_implIS3_Lb1ELb0EPKfPfN6thrust23THRUST_200600_302600_NS4plusIfEEEE10hipError_tPvRmT2_T3_mT4_P12ihipStream_tbEUlT_E_NS1_11comp_targetILNS1_3genE0ELNS1_11target_archE4294967295ELNS1_3gpuE0ELNS1_3repE0EEENS1_30default_config_static_selectorELNS0_4arch9wavefront6targetE1EEEvT1_
; %bb.0:
	.section	.rodata,"a",@progbits
	.p2align	6, 0x0
	.amdhsa_kernel _ZN7rocprim17ROCPRIM_400000_NS6detail17trampoline_kernelINS0_14default_configENS1_35adjacent_difference_config_selectorILb1EfEEZNS1_24adjacent_difference_implIS3_Lb1ELb0EPKfPfN6thrust23THRUST_200600_302600_NS4plusIfEEEE10hipError_tPvRmT2_T3_mT4_P12ihipStream_tbEUlT_E_NS1_11comp_targetILNS1_3genE0ELNS1_11target_archE4294967295ELNS1_3gpuE0ELNS1_3repE0EEENS1_30default_config_static_selectorELNS0_4arch9wavefront6targetE1EEEvT1_
		.amdhsa_group_segment_fixed_size 0
		.amdhsa_private_segment_fixed_size 0
		.amdhsa_kernarg_size 56
		.amdhsa_user_sgpr_count 2
		.amdhsa_user_sgpr_dispatch_ptr 0
		.amdhsa_user_sgpr_queue_ptr 0
		.amdhsa_user_sgpr_kernarg_segment_ptr 1
		.amdhsa_user_sgpr_dispatch_id 0
		.amdhsa_user_sgpr_kernarg_preload_length 0
		.amdhsa_user_sgpr_kernarg_preload_offset 0
		.amdhsa_user_sgpr_private_segment_size 0
		.amdhsa_uses_dynamic_stack 0
		.amdhsa_enable_private_segment 0
		.amdhsa_system_sgpr_workgroup_id_x 1
		.amdhsa_system_sgpr_workgroup_id_y 0
		.amdhsa_system_sgpr_workgroup_id_z 0
		.amdhsa_system_sgpr_workgroup_info 0
		.amdhsa_system_vgpr_workitem_id 0
		.amdhsa_next_free_vgpr 1
		.amdhsa_next_free_sgpr 0
		.amdhsa_accum_offset 4
		.amdhsa_reserve_vcc 0
		.amdhsa_float_round_mode_32 0
		.amdhsa_float_round_mode_16_64 0
		.amdhsa_float_denorm_mode_32 3
		.amdhsa_float_denorm_mode_16_64 3
		.amdhsa_dx10_clamp 1
		.amdhsa_ieee_mode 1
		.amdhsa_fp16_overflow 0
		.amdhsa_tg_split 0
		.amdhsa_exception_fp_ieee_invalid_op 0
		.amdhsa_exception_fp_denorm_src 0
		.amdhsa_exception_fp_ieee_div_zero 0
		.amdhsa_exception_fp_ieee_overflow 0
		.amdhsa_exception_fp_ieee_underflow 0
		.amdhsa_exception_fp_ieee_inexact 0
		.amdhsa_exception_int_div_zero 0
	.end_amdhsa_kernel
	.section	.text._ZN7rocprim17ROCPRIM_400000_NS6detail17trampoline_kernelINS0_14default_configENS1_35adjacent_difference_config_selectorILb1EfEEZNS1_24adjacent_difference_implIS3_Lb1ELb0EPKfPfN6thrust23THRUST_200600_302600_NS4plusIfEEEE10hipError_tPvRmT2_T3_mT4_P12ihipStream_tbEUlT_E_NS1_11comp_targetILNS1_3genE0ELNS1_11target_archE4294967295ELNS1_3gpuE0ELNS1_3repE0EEENS1_30default_config_static_selectorELNS0_4arch9wavefront6targetE1EEEvT1_,"axG",@progbits,_ZN7rocprim17ROCPRIM_400000_NS6detail17trampoline_kernelINS0_14default_configENS1_35adjacent_difference_config_selectorILb1EfEEZNS1_24adjacent_difference_implIS3_Lb1ELb0EPKfPfN6thrust23THRUST_200600_302600_NS4plusIfEEEE10hipError_tPvRmT2_T3_mT4_P12ihipStream_tbEUlT_E_NS1_11comp_targetILNS1_3genE0ELNS1_11target_archE4294967295ELNS1_3gpuE0ELNS1_3repE0EEENS1_30default_config_static_selectorELNS0_4arch9wavefront6targetE1EEEvT1_,comdat
.Lfunc_end633:
	.size	_ZN7rocprim17ROCPRIM_400000_NS6detail17trampoline_kernelINS0_14default_configENS1_35adjacent_difference_config_selectorILb1EfEEZNS1_24adjacent_difference_implIS3_Lb1ELb0EPKfPfN6thrust23THRUST_200600_302600_NS4plusIfEEEE10hipError_tPvRmT2_T3_mT4_P12ihipStream_tbEUlT_E_NS1_11comp_targetILNS1_3genE0ELNS1_11target_archE4294967295ELNS1_3gpuE0ELNS1_3repE0EEENS1_30default_config_static_selectorELNS0_4arch9wavefront6targetE1EEEvT1_, .Lfunc_end633-_ZN7rocprim17ROCPRIM_400000_NS6detail17trampoline_kernelINS0_14default_configENS1_35adjacent_difference_config_selectorILb1EfEEZNS1_24adjacent_difference_implIS3_Lb1ELb0EPKfPfN6thrust23THRUST_200600_302600_NS4plusIfEEEE10hipError_tPvRmT2_T3_mT4_P12ihipStream_tbEUlT_E_NS1_11comp_targetILNS1_3genE0ELNS1_11target_archE4294967295ELNS1_3gpuE0ELNS1_3repE0EEENS1_30default_config_static_selectorELNS0_4arch9wavefront6targetE1EEEvT1_
                                        ; -- End function
	.section	.AMDGPU.csdata,"",@progbits
; Kernel info:
; codeLenInByte = 0
; NumSgprs: 6
; NumVgprs: 0
; NumAgprs: 0
; TotalNumVgprs: 0
; ScratchSize: 0
; MemoryBound: 0
; FloatMode: 240
; IeeeMode: 1
; LDSByteSize: 0 bytes/workgroup (compile time only)
; SGPRBlocks: 0
; VGPRBlocks: 0
; NumSGPRsForWavesPerEU: 6
; NumVGPRsForWavesPerEU: 1
; AccumOffset: 4
; Occupancy: 8
; WaveLimiterHint : 0
; COMPUTE_PGM_RSRC2:SCRATCH_EN: 0
; COMPUTE_PGM_RSRC2:USER_SGPR: 2
; COMPUTE_PGM_RSRC2:TRAP_HANDLER: 0
; COMPUTE_PGM_RSRC2:TGID_X_EN: 1
; COMPUTE_PGM_RSRC2:TGID_Y_EN: 0
; COMPUTE_PGM_RSRC2:TGID_Z_EN: 0
; COMPUTE_PGM_RSRC2:TIDIG_COMP_CNT: 0
; COMPUTE_PGM_RSRC3_GFX90A:ACCUM_OFFSET: 0
; COMPUTE_PGM_RSRC3_GFX90A:TG_SPLIT: 0
	.section	.text._ZN7rocprim17ROCPRIM_400000_NS6detail17trampoline_kernelINS0_14default_configENS1_35adjacent_difference_config_selectorILb1EfEEZNS1_24adjacent_difference_implIS3_Lb1ELb0EPKfPfN6thrust23THRUST_200600_302600_NS4plusIfEEEE10hipError_tPvRmT2_T3_mT4_P12ihipStream_tbEUlT_E_NS1_11comp_targetILNS1_3genE10ELNS1_11target_archE1201ELNS1_3gpuE5ELNS1_3repE0EEENS1_30default_config_static_selectorELNS0_4arch9wavefront6targetE1EEEvT1_,"axG",@progbits,_ZN7rocprim17ROCPRIM_400000_NS6detail17trampoline_kernelINS0_14default_configENS1_35adjacent_difference_config_selectorILb1EfEEZNS1_24adjacent_difference_implIS3_Lb1ELb0EPKfPfN6thrust23THRUST_200600_302600_NS4plusIfEEEE10hipError_tPvRmT2_T3_mT4_P12ihipStream_tbEUlT_E_NS1_11comp_targetILNS1_3genE10ELNS1_11target_archE1201ELNS1_3gpuE5ELNS1_3repE0EEENS1_30default_config_static_selectorELNS0_4arch9wavefront6targetE1EEEvT1_,comdat
	.protected	_ZN7rocprim17ROCPRIM_400000_NS6detail17trampoline_kernelINS0_14default_configENS1_35adjacent_difference_config_selectorILb1EfEEZNS1_24adjacent_difference_implIS3_Lb1ELb0EPKfPfN6thrust23THRUST_200600_302600_NS4plusIfEEEE10hipError_tPvRmT2_T3_mT4_P12ihipStream_tbEUlT_E_NS1_11comp_targetILNS1_3genE10ELNS1_11target_archE1201ELNS1_3gpuE5ELNS1_3repE0EEENS1_30default_config_static_selectorELNS0_4arch9wavefront6targetE1EEEvT1_ ; -- Begin function _ZN7rocprim17ROCPRIM_400000_NS6detail17trampoline_kernelINS0_14default_configENS1_35adjacent_difference_config_selectorILb1EfEEZNS1_24adjacent_difference_implIS3_Lb1ELb0EPKfPfN6thrust23THRUST_200600_302600_NS4plusIfEEEE10hipError_tPvRmT2_T3_mT4_P12ihipStream_tbEUlT_E_NS1_11comp_targetILNS1_3genE10ELNS1_11target_archE1201ELNS1_3gpuE5ELNS1_3repE0EEENS1_30default_config_static_selectorELNS0_4arch9wavefront6targetE1EEEvT1_
	.globl	_ZN7rocprim17ROCPRIM_400000_NS6detail17trampoline_kernelINS0_14default_configENS1_35adjacent_difference_config_selectorILb1EfEEZNS1_24adjacent_difference_implIS3_Lb1ELb0EPKfPfN6thrust23THRUST_200600_302600_NS4plusIfEEEE10hipError_tPvRmT2_T3_mT4_P12ihipStream_tbEUlT_E_NS1_11comp_targetILNS1_3genE10ELNS1_11target_archE1201ELNS1_3gpuE5ELNS1_3repE0EEENS1_30default_config_static_selectorELNS0_4arch9wavefront6targetE1EEEvT1_
	.p2align	8
	.type	_ZN7rocprim17ROCPRIM_400000_NS6detail17trampoline_kernelINS0_14default_configENS1_35adjacent_difference_config_selectorILb1EfEEZNS1_24adjacent_difference_implIS3_Lb1ELb0EPKfPfN6thrust23THRUST_200600_302600_NS4plusIfEEEE10hipError_tPvRmT2_T3_mT4_P12ihipStream_tbEUlT_E_NS1_11comp_targetILNS1_3genE10ELNS1_11target_archE1201ELNS1_3gpuE5ELNS1_3repE0EEENS1_30default_config_static_selectorELNS0_4arch9wavefront6targetE1EEEvT1_,@function
_ZN7rocprim17ROCPRIM_400000_NS6detail17trampoline_kernelINS0_14default_configENS1_35adjacent_difference_config_selectorILb1EfEEZNS1_24adjacent_difference_implIS3_Lb1ELb0EPKfPfN6thrust23THRUST_200600_302600_NS4plusIfEEEE10hipError_tPvRmT2_T3_mT4_P12ihipStream_tbEUlT_E_NS1_11comp_targetILNS1_3genE10ELNS1_11target_archE1201ELNS1_3gpuE5ELNS1_3repE0EEENS1_30default_config_static_selectorELNS0_4arch9wavefront6targetE1EEEvT1_: ; @_ZN7rocprim17ROCPRIM_400000_NS6detail17trampoline_kernelINS0_14default_configENS1_35adjacent_difference_config_selectorILb1EfEEZNS1_24adjacent_difference_implIS3_Lb1ELb0EPKfPfN6thrust23THRUST_200600_302600_NS4plusIfEEEE10hipError_tPvRmT2_T3_mT4_P12ihipStream_tbEUlT_E_NS1_11comp_targetILNS1_3genE10ELNS1_11target_archE1201ELNS1_3gpuE5ELNS1_3repE0EEENS1_30default_config_static_selectorELNS0_4arch9wavefront6targetE1EEEvT1_
; %bb.0:
	.section	.rodata,"a",@progbits
	.p2align	6, 0x0
	.amdhsa_kernel _ZN7rocprim17ROCPRIM_400000_NS6detail17trampoline_kernelINS0_14default_configENS1_35adjacent_difference_config_selectorILb1EfEEZNS1_24adjacent_difference_implIS3_Lb1ELb0EPKfPfN6thrust23THRUST_200600_302600_NS4plusIfEEEE10hipError_tPvRmT2_T3_mT4_P12ihipStream_tbEUlT_E_NS1_11comp_targetILNS1_3genE10ELNS1_11target_archE1201ELNS1_3gpuE5ELNS1_3repE0EEENS1_30default_config_static_selectorELNS0_4arch9wavefront6targetE1EEEvT1_
		.amdhsa_group_segment_fixed_size 0
		.amdhsa_private_segment_fixed_size 0
		.amdhsa_kernarg_size 56
		.amdhsa_user_sgpr_count 2
		.amdhsa_user_sgpr_dispatch_ptr 0
		.amdhsa_user_sgpr_queue_ptr 0
		.amdhsa_user_sgpr_kernarg_segment_ptr 1
		.amdhsa_user_sgpr_dispatch_id 0
		.amdhsa_user_sgpr_kernarg_preload_length 0
		.amdhsa_user_sgpr_kernarg_preload_offset 0
		.amdhsa_user_sgpr_private_segment_size 0
		.amdhsa_uses_dynamic_stack 0
		.amdhsa_enable_private_segment 0
		.amdhsa_system_sgpr_workgroup_id_x 1
		.amdhsa_system_sgpr_workgroup_id_y 0
		.amdhsa_system_sgpr_workgroup_id_z 0
		.amdhsa_system_sgpr_workgroup_info 0
		.amdhsa_system_vgpr_workitem_id 0
		.amdhsa_next_free_vgpr 1
		.amdhsa_next_free_sgpr 0
		.amdhsa_accum_offset 4
		.amdhsa_reserve_vcc 0
		.amdhsa_float_round_mode_32 0
		.amdhsa_float_round_mode_16_64 0
		.amdhsa_float_denorm_mode_32 3
		.amdhsa_float_denorm_mode_16_64 3
		.amdhsa_dx10_clamp 1
		.amdhsa_ieee_mode 1
		.amdhsa_fp16_overflow 0
		.amdhsa_tg_split 0
		.amdhsa_exception_fp_ieee_invalid_op 0
		.amdhsa_exception_fp_denorm_src 0
		.amdhsa_exception_fp_ieee_div_zero 0
		.amdhsa_exception_fp_ieee_overflow 0
		.amdhsa_exception_fp_ieee_underflow 0
		.amdhsa_exception_fp_ieee_inexact 0
		.amdhsa_exception_int_div_zero 0
	.end_amdhsa_kernel
	.section	.text._ZN7rocprim17ROCPRIM_400000_NS6detail17trampoline_kernelINS0_14default_configENS1_35adjacent_difference_config_selectorILb1EfEEZNS1_24adjacent_difference_implIS3_Lb1ELb0EPKfPfN6thrust23THRUST_200600_302600_NS4plusIfEEEE10hipError_tPvRmT2_T3_mT4_P12ihipStream_tbEUlT_E_NS1_11comp_targetILNS1_3genE10ELNS1_11target_archE1201ELNS1_3gpuE5ELNS1_3repE0EEENS1_30default_config_static_selectorELNS0_4arch9wavefront6targetE1EEEvT1_,"axG",@progbits,_ZN7rocprim17ROCPRIM_400000_NS6detail17trampoline_kernelINS0_14default_configENS1_35adjacent_difference_config_selectorILb1EfEEZNS1_24adjacent_difference_implIS3_Lb1ELb0EPKfPfN6thrust23THRUST_200600_302600_NS4plusIfEEEE10hipError_tPvRmT2_T3_mT4_P12ihipStream_tbEUlT_E_NS1_11comp_targetILNS1_3genE10ELNS1_11target_archE1201ELNS1_3gpuE5ELNS1_3repE0EEENS1_30default_config_static_selectorELNS0_4arch9wavefront6targetE1EEEvT1_,comdat
.Lfunc_end634:
	.size	_ZN7rocprim17ROCPRIM_400000_NS6detail17trampoline_kernelINS0_14default_configENS1_35adjacent_difference_config_selectorILb1EfEEZNS1_24adjacent_difference_implIS3_Lb1ELb0EPKfPfN6thrust23THRUST_200600_302600_NS4plusIfEEEE10hipError_tPvRmT2_T3_mT4_P12ihipStream_tbEUlT_E_NS1_11comp_targetILNS1_3genE10ELNS1_11target_archE1201ELNS1_3gpuE5ELNS1_3repE0EEENS1_30default_config_static_selectorELNS0_4arch9wavefront6targetE1EEEvT1_, .Lfunc_end634-_ZN7rocprim17ROCPRIM_400000_NS6detail17trampoline_kernelINS0_14default_configENS1_35adjacent_difference_config_selectorILb1EfEEZNS1_24adjacent_difference_implIS3_Lb1ELb0EPKfPfN6thrust23THRUST_200600_302600_NS4plusIfEEEE10hipError_tPvRmT2_T3_mT4_P12ihipStream_tbEUlT_E_NS1_11comp_targetILNS1_3genE10ELNS1_11target_archE1201ELNS1_3gpuE5ELNS1_3repE0EEENS1_30default_config_static_selectorELNS0_4arch9wavefront6targetE1EEEvT1_
                                        ; -- End function
	.section	.AMDGPU.csdata,"",@progbits
; Kernel info:
; codeLenInByte = 0
; NumSgprs: 6
; NumVgprs: 0
; NumAgprs: 0
; TotalNumVgprs: 0
; ScratchSize: 0
; MemoryBound: 0
; FloatMode: 240
; IeeeMode: 1
; LDSByteSize: 0 bytes/workgroup (compile time only)
; SGPRBlocks: 0
; VGPRBlocks: 0
; NumSGPRsForWavesPerEU: 6
; NumVGPRsForWavesPerEU: 1
; AccumOffset: 4
; Occupancy: 8
; WaveLimiterHint : 0
; COMPUTE_PGM_RSRC2:SCRATCH_EN: 0
; COMPUTE_PGM_RSRC2:USER_SGPR: 2
; COMPUTE_PGM_RSRC2:TRAP_HANDLER: 0
; COMPUTE_PGM_RSRC2:TGID_X_EN: 1
; COMPUTE_PGM_RSRC2:TGID_Y_EN: 0
; COMPUTE_PGM_RSRC2:TGID_Z_EN: 0
; COMPUTE_PGM_RSRC2:TIDIG_COMP_CNT: 0
; COMPUTE_PGM_RSRC3_GFX90A:ACCUM_OFFSET: 0
; COMPUTE_PGM_RSRC3_GFX90A:TG_SPLIT: 0
	.section	.text._ZN7rocprim17ROCPRIM_400000_NS6detail17trampoline_kernelINS0_14default_configENS1_35adjacent_difference_config_selectorILb1EfEEZNS1_24adjacent_difference_implIS3_Lb1ELb0EPKfPfN6thrust23THRUST_200600_302600_NS4plusIfEEEE10hipError_tPvRmT2_T3_mT4_P12ihipStream_tbEUlT_E_NS1_11comp_targetILNS1_3genE5ELNS1_11target_archE942ELNS1_3gpuE9ELNS1_3repE0EEENS1_30default_config_static_selectorELNS0_4arch9wavefront6targetE1EEEvT1_,"axG",@progbits,_ZN7rocprim17ROCPRIM_400000_NS6detail17trampoline_kernelINS0_14default_configENS1_35adjacent_difference_config_selectorILb1EfEEZNS1_24adjacent_difference_implIS3_Lb1ELb0EPKfPfN6thrust23THRUST_200600_302600_NS4plusIfEEEE10hipError_tPvRmT2_T3_mT4_P12ihipStream_tbEUlT_E_NS1_11comp_targetILNS1_3genE5ELNS1_11target_archE942ELNS1_3gpuE9ELNS1_3repE0EEENS1_30default_config_static_selectorELNS0_4arch9wavefront6targetE1EEEvT1_,comdat
	.protected	_ZN7rocprim17ROCPRIM_400000_NS6detail17trampoline_kernelINS0_14default_configENS1_35adjacent_difference_config_selectorILb1EfEEZNS1_24adjacent_difference_implIS3_Lb1ELb0EPKfPfN6thrust23THRUST_200600_302600_NS4plusIfEEEE10hipError_tPvRmT2_T3_mT4_P12ihipStream_tbEUlT_E_NS1_11comp_targetILNS1_3genE5ELNS1_11target_archE942ELNS1_3gpuE9ELNS1_3repE0EEENS1_30default_config_static_selectorELNS0_4arch9wavefront6targetE1EEEvT1_ ; -- Begin function _ZN7rocprim17ROCPRIM_400000_NS6detail17trampoline_kernelINS0_14default_configENS1_35adjacent_difference_config_selectorILb1EfEEZNS1_24adjacent_difference_implIS3_Lb1ELb0EPKfPfN6thrust23THRUST_200600_302600_NS4plusIfEEEE10hipError_tPvRmT2_T3_mT4_P12ihipStream_tbEUlT_E_NS1_11comp_targetILNS1_3genE5ELNS1_11target_archE942ELNS1_3gpuE9ELNS1_3repE0EEENS1_30default_config_static_selectorELNS0_4arch9wavefront6targetE1EEEvT1_
	.globl	_ZN7rocprim17ROCPRIM_400000_NS6detail17trampoline_kernelINS0_14default_configENS1_35adjacent_difference_config_selectorILb1EfEEZNS1_24adjacent_difference_implIS3_Lb1ELb0EPKfPfN6thrust23THRUST_200600_302600_NS4plusIfEEEE10hipError_tPvRmT2_T3_mT4_P12ihipStream_tbEUlT_E_NS1_11comp_targetILNS1_3genE5ELNS1_11target_archE942ELNS1_3gpuE9ELNS1_3repE0EEENS1_30default_config_static_selectorELNS0_4arch9wavefront6targetE1EEEvT1_
	.p2align	8
	.type	_ZN7rocprim17ROCPRIM_400000_NS6detail17trampoline_kernelINS0_14default_configENS1_35adjacent_difference_config_selectorILb1EfEEZNS1_24adjacent_difference_implIS3_Lb1ELb0EPKfPfN6thrust23THRUST_200600_302600_NS4plusIfEEEE10hipError_tPvRmT2_T3_mT4_P12ihipStream_tbEUlT_E_NS1_11comp_targetILNS1_3genE5ELNS1_11target_archE942ELNS1_3gpuE9ELNS1_3repE0EEENS1_30default_config_static_selectorELNS0_4arch9wavefront6targetE1EEEvT1_,@function
_ZN7rocprim17ROCPRIM_400000_NS6detail17trampoline_kernelINS0_14default_configENS1_35adjacent_difference_config_selectorILb1EfEEZNS1_24adjacent_difference_implIS3_Lb1ELb0EPKfPfN6thrust23THRUST_200600_302600_NS4plusIfEEEE10hipError_tPvRmT2_T3_mT4_P12ihipStream_tbEUlT_E_NS1_11comp_targetILNS1_3genE5ELNS1_11target_archE942ELNS1_3gpuE9ELNS1_3repE0EEENS1_30default_config_static_selectorELNS0_4arch9wavefront6targetE1EEEvT1_: ; @_ZN7rocprim17ROCPRIM_400000_NS6detail17trampoline_kernelINS0_14default_configENS1_35adjacent_difference_config_selectorILb1EfEEZNS1_24adjacent_difference_implIS3_Lb1ELb0EPKfPfN6thrust23THRUST_200600_302600_NS4plusIfEEEE10hipError_tPvRmT2_T3_mT4_P12ihipStream_tbEUlT_E_NS1_11comp_targetILNS1_3genE5ELNS1_11target_archE942ELNS1_3gpuE9ELNS1_3repE0EEENS1_30default_config_static_selectorELNS0_4arch9wavefront6targetE1EEEvT1_
; %bb.0:
	s_load_dwordx8 s[4:11], s[0:1], 0x0
	s_load_dwordx4 s[12:15], s[0:1], 0x28
	s_mov_b32 s0, 0x55500000
	v_mov_b32_e32 v1, 0x55555000
	s_movk_i32 s17, 0x300
	s_waitcnt lgkmcnt(0)
	s_lshl_b64 s[18:19], s[6:7], 2
	s_add_u32 s26, s4, s18
	s_addc_u32 s27, s5, s19
	s_add_u32 s0, 0x55555, s0
	s_addc_u32 s0, 0, 0x555
	;; [unrolled: 2-line block ×3, first 2 shown]
	v_add_co_u32_e32 v1, vcc, s0, v1
	s_cmp_lg_u64 vcc, 0
	s_addc_u32 s0, s1, 0x555555
	v_readfirstlane_b32 s5, v1
	s_mul_i32 s4, s10, s0
	s_mul_hi_u32 s6, s10, s5
	s_mul_hi_u32 s1, s10, s0
	s_add_u32 s4, s6, s4
	s_addc_u32 s1, 0, s1
	s_mul_hi_u32 s7, s11, s5
	s_mul_i32 s5, s11, s5
	s_add_u32 s4, s4, s5
	s_mul_hi_u32 s6, s11, s0
	s_addc_u32 s1, s1, s7
	s_addc_u32 s4, s6, 0
	s_mul_i32 s0, s11, s0
	s_add_u32 s0, s1, s0
	s_addc_u32 s1, 0, s4
	s_add_u32 s4, s0, 1
	s_addc_u32 s5, s1, 0
	s_add_u32 s6, s0, 2
	s_mul_i32 s20, s1, 0x300
	s_mul_hi_u32 s21, s0, 0x300
	s_addc_u32 s7, s1, 0
	s_add_i32 s21, s21, s20
	s_mul_i32 s20, s0, 0x300
	v_mov_b32_e32 v1, s20
	v_sub_co_u32_e32 v1, vcc, s10, v1
	s_cmp_lg_u64 vcc, 0
	s_subb_u32 s20, s11, s21
	v_subrev_co_u32_e32 v2, vcc, s17, v1
	s_cmp_lg_u64 vcc, 0
	s_subb_u32 s17, s20, 0
	v_readfirstlane_b32 s21, v2
	s_cmpk_gt_u32 s21, 0x2ff
	s_cselect_b32 s21, -1, 0
	s_cmp_eq_u32 s17, 0
	s_cselect_b32 s17, s21, -1
	s_cmp_lg_u32 s17, 0
	s_cselect_b32 s4, s6, s4
	v_readfirstlane_b32 s6, v1
	s_cselect_b32 s5, s7, s5
	s_cmpk_gt_u32 s6, 0x2ff
	s_cselect_b32 s6, -1, 0
	s_cmp_eq_u32 s20, 0
	s_cselect_b32 s6, s6, -1
	s_cmp_lg_u32 s6, 0
	s_cselect_b32 s5, s5, s1
	s_cselect_b32 s4, s4, s0
	s_mul_i32 s0, s5, 0x300
	s_mul_hi_u32 s1, s4, 0x300
	s_add_i32 s1, s1, s0
	s_mul_i32 s0, s4, 0x300
	s_sub_u32 s0, s10, s0
	s_subb_u32 s1, s11, s1
	s_cmp_lg_u64 s[0:1], 0
	s_cselect_b64 s[0:1], -1, 0
	v_cndmask_b32_e64 v1, 0, 1, s[0:1]
	s_mul_i32 s16, s2, 0x300
	v_readfirstlane_b32 s0, v1
	s_add_u32 s4, s4, s0
	s_addc_u32 s5, s5, 0
	s_add_u32 s6, s14, s2
	s_addc_u32 s7, s15, 0
	s_add_u32 s20, s4, -1
	s_addc_u32 s21, s5, -1
	v_mov_b64_e32 v[2:3], s[20:21]
	v_cmp_ge_u64_e64 s[0:1], s[6:7], v[2:3]
	s_mov_b32 s3, 0
	s_mov_b64 s[22:23], -1
	s_and_b64 vcc, exec, s[0:1]
	s_mul_i32 s11, s20, 0xfffffd00
	s_cbranch_vccz .LBB635_8
; %bb.1:
	s_mov_b32 s17, s3
	s_add_i32 s28, s11, s10
	s_lshl_b64 s[22:23], s[16:17], 2
	s_add_u32 s22, s26, s22
	s_addc_u32 s23, s27, s23
	v_cmp_gt_u32_e32 vcc, s28, v0
                                        ; implicit-def: $vgpr2_vgpr3_vgpr4
	s_and_saveexec_b64 s[24:25], vcc
	s_cbranch_execz .LBB635_3
; %bb.2:
	v_lshlrev_b32_e32 v1, 2, v0
	global_load_dword v2, v1, s[22:23]
.LBB635_3:
	s_or_b64 exec, exec, s[24:25]
	v_or_b32_e32 v1, 0x100, v0
	v_cmp_gt_u32_e32 vcc, s28, v1
	s_and_saveexec_b64 s[24:25], vcc
	s_cbranch_execz .LBB635_5
; %bb.4:
	v_lshlrev_b32_e32 v1, 2, v0
	global_load_dword v3, v1, s[22:23] offset:1024
.LBB635_5:
	s_or_b64 exec, exec, s[24:25]
	v_or_b32_e32 v1, 0x200, v0
	v_cmp_gt_u32_e32 vcc, s28, v1
	s_and_saveexec_b64 s[24:25], vcc
	s_cbranch_execz .LBB635_7
; %bb.6:
	v_lshlrev_b32_e32 v1, 2, v0
	global_load_dword v4, v1, s[22:23] offset:2048
.LBB635_7:
	s_or_b64 exec, exec, s[24:25]
	v_lshlrev_b32_e32 v1, 2, v0
	s_mov_b64 s[22:23], 0
	s_waitcnt vmcnt(0)
	ds_write2st64_b32 v1, v2, v3 offset1:4
	ds_write_b32 v1, v4 offset:2048
	s_waitcnt lgkmcnt(0)
	s_barrier
.LBB635_8:
	s_and_b64 vcc, exec, s[22:23]
	v_lshlrev_b32_e32 v2, 2, v0
	s_cbranch_vccz .LBB635_10
; %bb.9:
	s_mov_b32 s17, 0
	s_lshl_b64 s[22:23], s[16:17], 2
	s_add_u32 s22, s26, s22
	s_addc_u32 s23, s27, s23
	global_load_dword v1, v2, s[22:23]
	global_load_dword v3, v2, s[22:23] offset:1024
	global_load_dword v4, v2, s[22:23] offset:2048
	s_waitcnt vmcnt(1)
	ds_write2st64_b32 v2, v1, v3 offset1:4
	s_waitcnt vmcnt(0)
	ds_write_b32 v2, v4 offset:2048
	s_waitcnt lgkmcnt(0)
	s_barrier
.LBB635_10:
	v_mul_u32_u24_e32 v1, 3, v0
	v_lshlrev_b32_e32 v1, 2, v1
	ds_read2_b32 v[4:5], v1 offset1:1
	ds_read_b32 v7, v1 offset:8
	s_cmp_eq_u64 s[6:7], 0
	s_waitcnt lgkmcnt(0)
	s_barrier
	s_cbranch_scc1 .LBB635_15
; %bb.11:
	s_lshl_b64 s[14:15], s[14:15], 2
	s_add_u32 s12, s12, s14
	s_addc_u32 s13, s13, s15
	s_lshl_b64 s[2:3], s[2:3], 2
	s_add_u32 s2, s12, s2
	s_addc_u32 s3, s13, s3
	s_add_u32 s2, s2, -4
	s_addc_u32 s3, s3, -1
	s_load_dword s12, s[2:3], 0x0
	s_cmp_eq_u64 s[6:7], s[20:21]
	s_cbranch_scc1 .LBB635_16
; %bb.12:
	v_cmp_ne_u32_e32 vcc, 0, v0
	s_waitcnt lgkmcnt(0)
	v_mov_b32_e32 v1, s12
	ds_write_b32 v2, v7
	s_waitcnt lgkmcnt(0)
	s_barrier
	s_and_saveexec_b64 s[2:3], vcc
	s_cbranch_execz .LBB635_14
; %bb.13:
	v_add_u32_e32 v1, -4, v2
	ds_read_b32 v1, v1
.LBB635_14:
	s_or_b64 exec, exec, s[2:3]
	v_mov_b32_e32 v6, v4
	v_pk_add_f32 v[8:9], v[4:5], v[6:7] op_sel:[1,0]
	s_waitcnt lgkmcnt(0)
	v_add_f32_e32 v1, v4, v1
	s_branch .LBB635_20
.LBB635_15:
                                        ; implicit-def: $vgpr9
                                        ; implicit-def: $vgpr1
	s_branch .LBB635_21
.LBB635_16:
                                        ; implicit-def: $vgpr9
                                        ; implicit-def: $vgpr1
	s_cbranch_execz .LBB635_20
; %bb.17:
	v_mul_u32_u24_e32 v1, 3, v0
	v_cmp_ne_u32_e32 vcc, 0, v0
	s_waitcnt lgkmcnt(0)
	v_mov_b32_e32 v3, s12
	ds_write_b32 v2, v7
	s_waitcnt lgkmcnt(0)
	s_barrier
	s_and_saveexec_b64 s[2:3], vcc
	s_cbranch_execz .LBB635_19
; %bb.18:
	v_add_u32_e32 v3, -4, v2
	ds_read_b32 v3, v3
.LBB635_19:
	s_or_b64 exec, exec, s[2:3]
	s_mul_i32 s2, s6, 0xfffffd00
	s_add_i32 s2, s2, s10
	v_add_u32_e32 v6, 2, v1
	v_add_f32_e32 v8, v5, v7
	v_cmp_gt_u32_e32 vcc, s2, v6
	v_add_u32_e32 v6, 1, v1
	v_mov_b32_e32 v11, v4
	v_cndmask_b32_e32 v9, v7, v8, vcc
	v_pk_add_f32 v[10:11], v[10:11], v[4:5]
	v_cmp_gt_u32_e32 vcc, s2, v6
	s_waitcnt lgkmcnt(0)
	v_add_f32_e32 v3, v4, v3
	v_cndmask_b32_e32 v8, v5, v11, vcc
	v_cmp_gt_u32_e32 vcc, s2, v1
	s_nop 1
	v_cndmask_b32_e32 v1, v4, v3, vcc
.LBB635_20:
	s_cbranch_execnz .LBB635_29
.LBB635_21:
	s_cmp_eq_u64 s[4:5], 1
	v_cmp_ne_u32_e32 vcc, 0, v0
	s_cbranch_scc1 .LBB635_25
; %bb.22:
	v_mov_b32_e32 v6, v5
	v_pk_add_f32 v[8:9], v[4:5], v[6:7]
	v_mov_b32_e32 v1, v4
	ds_write_b32 v2, v7
	s_waitcnt lgkmcnt(0)
	s_barrier
	s_and_saveexec_b64 s[2:3], vcc
	s_cbranch_execz .LBB635_24
; %bb.23:
	v_add_u32_e32 v1, -4, v2
	ds_read_b32 v1, v1
	s_waitcnt lgkmcnt(0)
	v_add_f32_e32 v1, v4, v1
.LBB635_24:
	s_or_b64 exec, exec, s[2:3]
	s_cbranch_execz .LBB635_26
	s_branch .LBB635_29
.LBB635_25:
                                        ; implicit-def: $vgpr9
                                        ; implicit-def: $vgpr1
.LBB635_26:
	v_mul_u32_u24_e32 v6, 3, v0
	v_mad_u32_u24 v3, v0, 3, 1
	v_mad_u32_u24 v1, v0, 3, 2
	v_cmp_gt_u32_e64 s[2:3], s10, v3
	v_mov_b32_e32 v3, v4
	v_cmp_ne_u32_e64 s[4:5], 0, v0
	v_cmp_gt_u32_e64 s[6:7], s10, v6
	v_cmp_gt_u32_e32 vcc, s10, v1
	v_add_f32_e32 v1, v5, v7
	v_pk_add_f32 v[10:11], v[2:3], v[4:5]
	s_and_b64 s[6:7], s[4:5], s[6:7]
	ds_write_b32 v2, v7
	s_waitcnt lgkmcnt(0)
	s_barrier
	s_and_saveexec_b64 s[4:5], s[6:7]
	s_cbranch_execz .LBB635_28
; %bb.27:
	v_add_u32_e32 v3, -4, v2
	ds_read_b32 v3, v3
	s_waitcnt lgkmcnt(0)
	v_add_f32_e32 v4, v4, v3
.LBB635_28:
	s_or_b64 exec, exec, s[4:5]
	v_cndmask_b32_e32 v9, v7, v1, vcc
	v_cndmask_b32_e64 v8, v5, v11, s[2:3]
	v_mov_b32_e32 v1, v4
.LBB635_29:
	s_add_u32 s5, s8, s18
	s_addc_u32 s4, s9, s19
	s_and_b64 vcc, exec, s[0:1]
	v_mul_u32_u24_e32 v10, 12, v0
	v_lshlrev_b32_e32 v11, 3, v0
	s_waitcnt lgkmcnt(0)
	s_barrier
	s_cbranch_vccz .LBB635_35
; %bb.30:
	v_sub_u32_e32 v3, v10, v11
	s_mov_b32 s17, 0
	ds_write2_b32 v10, v1, v8 offset1:1
	ds_write_b32 v10, v9 offset:8
	s_waitcnt lgkmcnt(0)
	s_barrier
	ds_read2st64_b32 v[4:5], v3 offset0:4 offset1:8
	s_add_i32 s11, s11, s10
	s_lshl_b64 s[0:1], s[16:17], 2
	s_add_u32 s0, s5, s0
	s_addc_u32 s1, s4, s1
	v_mov_b32_e32 v3, 0
	v_lshl_add_u64 v[6:7], s[0:1], 0, v[2:3]
	v_cmp_gt_u32_e32 vcc, s11, v0
	s_and_saveexec_b64 s[0:1], vcc
	s_cbranch_execz .LBB635_32
; %bb.31:
	v_sub_u32_e32 v3, 0, v11
	v_add_u32_e32 v3, v10, v3
	ds_read_b32 v3, v3
	s_waitcnt lgkmcnt(0)
	global_store_dword v[6:7], v3, off
.LBB635_32:
	s_or_b64 exec, exec, s[0:1]
	v_or_b32_e32 v3, 0x100, v0
	v_cmp_gt_u32_e32 vcc, s11, v3
	s_and_saveexec_b64 s[0:1], vcc
	s_cbranch_execz .LBB635_34
; %bb.33:
	s_waitcnt lgkmcnt(0)
	global_store_dword v[6:7], v4, off offset:1024
.LBB635_34:
	s_or_b64 exec, exec, s[0:1]
	v_or_b32_e32 v0, 0x200, v0
	v_cmp_gt_u32_e64 s[0:1], s11, v0
	s_branch .LBB635_37
.LBB635_35:
	s_mov_b64 s[0:1], 0
                                        ; implicit-def: $vgpr5
                                        ; implicit-def: $vgpr6_vgpr7
	s_cbranch_execz .LBB635_37
; %bb.36:
	v_sub_u32_e32 v3, v10, v11
	s_mov_b32 s17, 0
	ds_write2_b32 v10, v1, v8 offset1:1
	ds_write_b32 v10, v9 offset:8
	s_waitcnt lgkmcnt(0)
	s_barrier
	ds_read2st64_b32 v[0:1], v3 offset1:4
	ds_read_b32 v5, v3 offset:2048
	s_lshl_b64 s[2:3], s[16:17], 2
	s_add_u32 s2, s5, s2
	s_addc_u32 s3, s4, s3
	v_mov_b32_e32 v3, 0
	v_lshl_add_u64 v[6:7], s[2:3], 0, v[2:3]
	s_or_b64 s[0:1], s[0:1], exec
	s_waitcnt lgkmcnt(1)
	global_store_dword v2, v0, s[2:3]
	global_store_dword v2, v1, s[2:3] offset:1024
.LBB635_37:
	s_and_saveexec_b64 s[2:3], s[0:1]
	s_cbranch_execnz .LBB635_39
; %bb.38:
	s_endpgm
.LBB635_39:
	s_waitcnt lgkmcnt(0)
	global_store_dword v[6:7], v5, off offset:2048
	s_endpgm
	.section	.rodata,"a",@progbits
	.p2align	6, 0x0
	.amdhsa_kernel _ZN7rocprim17ROCPRIM_400000_NS6detail17trampoline_kernelINS0_14default_configENS1_35adjacent_difference_config_selectorILb1EfEEZNS1_24adjacent_difference_implIS3_Lb1ELb0EPKfPfN6thrust23THRUST_200600_302600_NS4plusIfEEEE10hipError_tPvRmT2_T3_mT4_P12ihipStream_tbEUlT_E_NS1_11comp_targetILNS1_3genE5ELNS1_11target_archE942ELNS1_3gpuE9ELNS1_3repE0EEENS1_30default_config_static_selectorELNS0_4arch9wavefront6targetE1EEEvT1_
		.amdhsa_group_segment_fixed_size 3072
		.amdhsa_private_segment_fixed_size 0
		.amdhsa_kernarg_size 56
		.amdhsa_user_sgpr_count 2
		.amdhsa_user_sgpr_dispatch_ptr 0
		.amdhsa_user_sgpr_queue_ptr 0
		.amdhsa_user_sgpr_kernarg_segment_ptr 1
		.amdhsa_user_sgpr_dispatch_id 0
		.amdhsa_user_sgpr_kernarg_preload_length 0
		.amdhsa_user_sgpr_kernarg_preload_offset 0
		.amdhsa_user_sgpr_private_segment_size 0
		.amdhsa_uses_dynamic_stack 0
		.amdhsa_enable_private_segment 0
		.amdhsa_system_sgpr_workgroup_id_x 1
		.amdhsa_system_sgpr_workgroup_id_y 0
		.amdhsa_system_sgpr_workgroup_id_z 0
		.amdhsa_system_sgpr_workgroup_info 0
		.amdhsa_system_vgpr_workitem_id 0
		.amdhsa_next_free_vgpr 12
		.amdhsa_next_free_sgpr 29
		.amdhsa_accum_offset 12
		.amdhsa_reserve_vcc 1
		.amdhsa_float_round_mode_32 0
		.amdhsa_float_round_mode_16_64 0
		.amdhsa_float_denorm_mode_32 3
		.amdhsa_float_denorm_mode_16_64 3
		.amdhsa_dx10_clamp 1
		.amdhsa_ieee_mode 1
		.amdhsa_fp16_overflow 0
		.amdhsa_tg_split 0
		.amdhsa_exception_fp_ieee_invalid_op 0
		.amdhsa_exception_fp_denorm_src 0
		.amdhsa_exception_fp_ieee_div_zero 0
		.amdhsa_exception_fp_ieee_overflow 0
		.amdhsa_exception_fp_ieee_underflow 0
		.amdhsa_exception_fp_ieee_inexact 0
		.amdhsa_exception_int_div_zero 0
	.end_amdhsa_kernel
	.section	.text._ZN7rocprim17ROCPRIM_400000_NS6detail17trampoline_kernelINS0_14default_configENS1_35adjacent_difference_config_selectorILb1EfEEZNS1_24adjacent_difference_implIS3_Lb1ELb0EPKfPfN6thrust23THRUST_200600_302600_NS4plusIfEEEE10hipError_tPvRmT2_T3_mT4_P12ihipStream_tbEUlT_E_NS1_11comp_targetILNS1_3genE5ELNS1_11target_archE942ELNS1_3gpuE9ELNS1_3repE0EEENS1_30default_config_static_selectorELNS0_4arch9wavefront6targetE1EEEvT1_,"axG",@progbits,_ZN7rocprim17ROCPRIM_400000_NS6detail17trampoline_kernelINS0_14default_configENS1_35adjacent_difference_config_selectorILb1EfEEZNS1_24adjacent_difference_implIS3_Lb1ELb0EPKfPfN6thrust23THRUST_200600_302600_NS4plusIfEEEE10hipError_tPvRmT2_T3_mT4_P12ihipStream_tbEUlT_E_NS1_11comp_targetILNS1_3genE5ELNS1_11target_archE942ELNS1_3gpuE9ELNS1_3repE0EEENS1_30default_config_static_selectorELNS0_4arch9wavefront6targetE1EEEvT1_,comdat
.Lfunc_end635:
	.size	_ZN7rocprim17ROCPRIM_400000_NS6detail17trampoline_kernelINS0_14default_configENS1_35adjacent_difference_config_selectorILb1EfEEZNS1_24adjacent_difference_implIS3_Lb1ELb0EPKfPfN6thrust23THRUST_200600_302600_NS4plusIfEEEE10hipError_tPvRmT2_T3_mT4_P12ihipStream_tbEUlT_E_NS1_11comp_targetILNS1_3genE5ELNS1_11target_archE942ELNS1_3gpuE9ELNS1_3repE0EEENS1_30default_config_static_selectorELNS0_4arch9wavefront6targetE1EEEvT1_, .Lfunc_end635-_ZN7rocprim17ROCPRIM_400000_NS6detail17trampoline_kernelINS0_14default_configENS1_35adjacent_difference_config_selectorILb1EfEEZNS1_24adjacent_difference_implIS3_Lb1ELb0EPKfPfN6thrust23THRUST_200600_302600_NS4plusIfEEEE10hipError_tPvRmT2_T3_mT4_P12ihipStream_tbEUlT_E_NS1_11comp_targetILNS1_3genE5ELNS1_11target_archE942ELNS1_3gpuE9ELNS1_3repE0EEENS1_30default_config_static_selectorELNS0_4arch9wavefront6targetE1EEEvT1_
                                        ; -- End function
	.section	.AMDGPU.csdata,"",@progbits
; Kernel info:
; codeLenInByte = 1504
; NumSgprs: 35
; NumVgprs: 12
; NumAgprs: 0
; TotalNumVgprs: 12
; ScratchSize: 0
; MemoryBound: 0
; FloatMode: 240
; IeeeMode: 1
; LDSByteSize: 3072 bytes/workgroup (compile time only)
; SGPRBlocks: 4
; VGPRBlocks: 1
; NumSGPRsForWavesPerEU: 35
; NumVGPRsForWavesPerEU: 12
; AccumOffset: 12
; Occupancy: 8
; WaveLimiterHint : 1
; COMPUTE_PGM_RSRC2:SCRATCH_EN: 0
; COMPUTE_PGM_RSRC2:USER_SGPR: 2
; COMPUTE_PGM_RSRC2:TRAP_HANDLER: 0
; COMPUTE_PGM_RSRC2:TGID_X_EN: 1
; COMPUTE_PGM_RSRC2:TGID_Y_EN: 0
; COMPUTE_PGM_RSRC2:TGID_Z_EN: 0
; COMPUTE_PGM_RSRC2:TIDIG_COMP_CNT: 0
; COMPUTE_PGM_RSRC3_GFX90A:ACCUM_OFFSET: 2
; COMPUTE_PGM_RSRC3_GFX90A:TG_SPLIT: 0
	.section	.text._ZN7rocprim17ROCPRIM_400000_NS6detail17trampoline_kernelINS0_14default_configENS1_35adjacent_difference_config_selectorILb1EfEEZNS1_24adjacent_difference_implIS3_Lb1ELb0EPKfPfN6thrust23THRUST_200600_302600_NS4plusIfEEEE10hipError_tPvRmT2_T3_mT4_P12ihipStream_tbEUlT_E_NS1_11comp_targetILNS1_3genE4ELNS1_11target_archE910ELNS1_3gpuE8ELNS1_3repE0EEENS1_30default_config_static_selectorELNS0_4arch9wavefront6targetE1EEEvT1_,"axG",@progbits,_ZN7rocprim17ROCPRIM_400000_NS6detail17trampoline_kernelINS0_14default_configENS1_35adjacent_difference_config_selectorILb1EfEEZNS1_24adjacent_difference_implIS3_Lb1ELb0EPKfPfN6thrust23THRUST_200600_302600_NS4plusIfEEEE10hipError_tPvRmT2_T3_mT4_P12ihipStream_tbEUlT_E_NS1_11comp_targetILNS1_3genE4ELNS1_11target_archE910ELNS1_3gpuE8ELNS1_3repE0EEENS1_30default_config_static_selectorELNS0_4arch9wavefront6targetE1EEEvT1_,comdat
	.protected	_ZN7rocprim17ROCPRIM_400000_NS6detail17trampoline_kernelINS0_14default_configENS1_35adjacent_difference_config_selectorILb1EfEEZNS1_24adjacent_difference_implIS3_Lb1ELb0EPKfPfN6thrust23THRUST_200600_302600_NS4plusIfEEEE10hipError_tPvRmT2_T3_mT4_P12ihipStream_tbEUlT_E_NS1_11comp_targetILNS1_3genE4ELNS1_11target_archE910ELNS1_3gpuE8ELNS1_3repE0EEENS1_30default_config_static_selectorELNS0_4arch9wavefront6targetE1EEEvT1_ ; -- Begin function _ZN7rocprim17ROCPRIM_400000_NS6detail17trampoline_kernelINS0_14default_configENS1_35adjacent_difference_config_selectorILb1EfEEZNS1_24adjacent_difference_implIS3_Lb1ELb0EPKfPfN6thrust23THRUST_200600_302600_NS4plusIfEEEE10hipError_tPvRmT2_T3_mT4_P12ihipStream_tbEUlT_E_NS1_11comp_targetILNS1_3genE4ELNS1_11target_archE910ELNS1_3gpuE8ELNS1_3repE0EEENS1_30default_config_static_selectorELNS0_4arch9wavefront6targetE1EEEvT1_
	.globl	_ZN7rocprim17ROCPRIM_400000_NS6detail17trampoline_kernelINS0_14default_configENS1_35adjacent_difference_config_selectorILb1EfEEZNS1_24adjacent_difference_implIS3_Lb1ELb0EPKfPfN6thrust23THRUST_200600_302600_NS4plusIfEEEE10hipError_tPvRmT2_T3_mT4_P12ihipStream_tbEUlT_E_NS1_11comp_targetILNS1_3genE4ELNS1_11target_archE910ELNS1_3gpuE8ELNS1_3repE0EEENS1_30default_config_static_selectorELNS0_4arch9wavefront6targetE1EEEvT1_
	.p2align	8
	.type	_ZN7rocprim17ROCPRIM_400000_NS6detail17trampoline_kernelINS0_14default_configENS1_35adjacent_difference_config_selectorILb1EfEEZNS1_24adjacent_difference_implIS3_Lb1ELb0EPKfPfN6thrust23THRUST_200600_302600_NS4plusIfEEEE10hipError_tPvRmT2_T3_mT4_P12ihipStream_tbEUlT_E_NS1_11comp_targetILNS1_3genE4ELNS1_11target_archE910ELNS1_3gpuE8ELNS1_3repE0EEENS1_30default_config_static_selectorELNS0_4arch9wavefront6targetE1EEEvT1_,@function
_ZN7rocprim17ROCPRIM_400000_NS6detail17trampoline_kernelINS0_14default_configENS1_35adjacent_difference_config_selectorILb1EfEEZNS1_24adjacent_difference_implIS3_Lb1ELb0EPKfPfN6thrust23THRUST_200600_302600_NS4plusIfEEEE10hipError_tPvRmT2_T3_mT4_P12ihipStream_tbEUlT_E_NS1_11comp_targetILNS1_3genE4ELNS1_11target_archE910ELNS1_3gpuE8ELNS1_3repE0EEENS1_30default_config_static_selectorELNS0_4arch9wavefront6targetE1EEEvT1_: ; @_ZN7rocprim17ROCPRIM_400000_NS6detail17trampoline_kernelINS0_14default_configENS1_35adjacent_difference_config_selectorILb1EfEEZNS1_24adjacent_difference_implIS3_Lb1ELb0EPKfPfN6thrust23THRUST_200600_302600_NS4plusIfEEEE10hipError_tPvRmT2_T3_mT4_P12ihipStream_tbEUlT_E_NS1_11comp_targetILNS1_3genE4ELNS1_11target_archE910ELNS1_3gpuE8ELNS1_3repE0EEENS1_30default_config_static_selectorELNS0_4arch9wavefront6targetE1EEEvT1_
; %bb.0:
	.section	.rodata,"a",@progbits
	.p2align	6, 0x0
	.amdhsa_kernel _ZN7rocprim17ROCPRIM_400000_NS6detail17trampoline_kernelINS0_14default_configENS1_35adjacent_difference_config_selectorILb1EfEEZNS1_24adjacent_difference_implIS3_Lb1ELb0EPKfPfN6thrust23THRUST_200600_302600_NS4plusIfEEEE10hipError_tPvRmT2_T3_mT4_P12ihipStream_tbEUlT_E_NS1_11comp_targetILNS1_3genE4ELNS1_11target_archE910ELNS1_3gpuE8ELNS1_3repE0EEENS1_30default_config_static_selectorELNS0_4arch9wavefront6targetE1EEEvT1_
		.amdhsa_group_segment_fixed_size 0
		.amdhsa_private_segment_fixed_size 0
		.amdhsa_kernarg_size 56
		.amdhsa_user_sgpr_count 2
		.amdhsa_user_sgpr_dispatch_ptr 0
		.amdhsa_user_sgpr_queue_ptr 0
		.amdhsa_user_sgpr_kernarg_segment_ptr 1
		.amdhsa_user_sgpr_dispatch_id 0
		.amdhsa_user_sgpr_kernarg_preload_length 0
		.amdhsa_user_sgpr_kernarg_preload_offset 0
		.amdhsa_user_sgpr_private_segment_size 0
		.amdhsa_uses_dynamic_stack 0
		.amdhsa_enable_private_segment 0
		.amdhsa_system_sgpr_workgroup_id_x 1
		.amdhsa_system_sgpr_workgroup_id_y 0
		.amdhsa_system_sgpr_workgroup_id_z 0
		.amdhsa_system_sgpr_workgroup_info 0
		.amdhsa_system_vgpr_workitem_id 0
		.amdhsa_next_free_vgpr 1
		.amdhsa_next_free_sgpr 0
		.amdhsa_accum_offset 4
		.amdhsa_reserve_vcc 0
		.amdhsa_float_round_mode_32 0
		.amdhsa_float_round_mode_16_64 0
		.amdhsa_float_denorm_mode_32 3
		.amdhsa_float_denorm_mode_16_64 3
		.amdhsa_dx10_clamp 1
		.amdhsa_ieee_mode 1
		.amdhsa_fp16_overflow 0
		.amdhsa_tg_split 0
		.amdhsa_exception_fp_ieee_invalid_op 0
		.amdhsa_exception_fp_denorm_src 0
		.amdhsa_exception_fp_ieee_div_zero 0
		.amdhsa_exception_fp_ieee_overflow 0
		.amdhsa_exception_fp_ieee_underflow 0
		.amdhsa_exception_fp_ieee_inexact 0
		.amdhsa_exception_int_div_zero 0
	.end_amdhsa_kernel
	.section	.text._ZN7rocprim17ROCPRIM_400000_NS6detail17trampoline_kernelINS0_14default_configENS1_35adjacent_difference_config_selectorILb1EfEEZNS1_24adjacent_difference_implIS3_Lb1ELb0EPKfPfN6thrust23THRUST_200600_302600_NS4plusIfEEEE10hipError_tPvRmT2_T3_mT4_P12ihipStream_tbEUlT_E_NS1_11comp_targetILNS1_3genE4ELNS1_11target_archE910ELNS1_3gpuE8ELNS1_3repE0EEENS1_30default_config_static_selectorELNS0_4arch9wavefront6targetE1EEEvT1_,"axG",@progbits,_ZN7rocprim17ROCPRIM_400000_NS6detail17trampoline_kernelINS0_14default_configENS1_35adjacent_difference_config_selectorILb1EfEEZNS1_24adjacent_difference_implIS3_Lb1ELb0EPKfPfN6thrust23THRUST_200600_302600_NS4plusIfEEEE10hipError_tPvRmT2_T3_mT4_P12ihipStream_tbEUlT_E_NS1_11comp_targetILNS1_3genE4ELNS1_11target_archE910ELNS1_3gpuE8ELNS1_3repE0EEENS1_30default_config_static_selectorELNS0_4arch9wavefront6targetE1EEEvT1_,comdat
.Lfunc_end636:
	.size	_ZN7rocprim17ROCPRIM_400000_NS6detail17trampoline_kernelINS0_14default_configENS1_35adjacent_difference_config_selectorILb1EfEEZNS1_24adjacent_difference_implIS3_Lb1ELb0EPKfPfN6thrust23THRUST_200600_302600_NS4plusIfEEEE10hipError_tPvRmT2_T3_mT4_P12ihipStream_tbEUlT_E_NS1_11comp_targetILNS1_3genE4ELNS1_11target_archE910ELNS1_3gpuE8ELNS1_3repE0EEENS1_30default_config_static_selectorELNS0_4arch9wavefront6targetE1EEEvT1_, .Lfunc_end636-_ZN7rocprim17ROCPRIM_400000_NS6detail17trampoline_kernelINS0_14default_configENS1_35adjacent_difference_config_selectorILb1EfEEZNS1_24adjacent_difference_implIS3_Lb1ELb0EPKfPfN6thrust23THRUST_200600_302600_NS4plusIfEEEE10hipError_tPvRmT2_T3_mT4_P12ihipStream_tbEUlT_E_NS1_11comp_targetILNS1_3genE4ELNS1_11target_archE910ELNS1_3gpuE8ELNS1_3repE0EEENS1_30default_config_static_selectorELNS0_4arch9wavefront6targetE1EEEvT1_
                                        ; -- End function
	.section	.AMDGPU.csdata,"",@progbits
; Kernel info:
; codeLenInByte = 0
; NumSgprs: 6
; NumVgprs: 0
; NumAgprs: 0
; TotalNumVgprs: 0
; ScratchSize: 0
; MemoryBound: 0
; FloatMode: 240
; IeeeMode: 1
; LDSByteSize: 0 bytes/workgroup (compile time only)
; SGPRBlocks: 0
; VGPRBlocks: 0
; NumSGPRsForWavesPerEU: 6
; NumVGPRsForWavesPerEU: 1
; AccumOffset: 4
; Occupancy: 8
; WaveLimiterHint : 0
; COMPUTE_PGM_RSRC2:SCRATCH_EN: 0
; COMPUTE_PGM_RSRC2:USER_SGPR: 2
; COMPUTE_PGM_RSRC2:TRAP_HANDLER: 0
; COMPUTE_PGM_RSRC2:TGID_X_EN: 1
; COMPUTE_PGM_RSRC2:TGID_Y_EN: 0
; COMPUTE_PGM_RSRC2:TGID_Z_EN: 0
; COMPUTE_PGM_RSRC2:TIDIG_COMP_CNT: 0
; COMPUTE_PGM_RSRC3_GFX90A:ACCUM_OFFSET: 0
; COMPUTE_PGM_RSRC3_GFX90A:TG_SPLIT: 0
	.section	.text._ZN7rocprim17ROCPRIM_400000_NS6detail17trampoline_kernelINS0_14default_configENS1_35adjacent_difference_config_selectorILb1EfEEZNS1_24adjacent_difference_implIS3_Lb1ELb0EPKfPfN6thrust23THRUST_200600_302600_NS4plusIfEEEE10hipError_tPvRmT2_T3_mT4_P12ihipStream_tbEUlT_E_NS1_11comp_targetILNS1_3genE3ELNS1_11target_archE908ELNS1_3gpuE7ELNS1_3repE0EEENS1_30default_config_static_selectorELNS0_4arch9wavefront6targetE1EEEvT1_,"axG",@progbits,_ZN7rocprim17ROCPRIM_400000_NS6detail17trampoline_kernelINS0_14default_configENS1_35adjacent_difference_config_selectorILb1EfEEZNS1_24adjacent_difference_implIS3_Lb1ELb0EPKfPfN6thrust23THRUST_200600_302600_NS4plusIfEEEE10hipError_tPvRmT2_T3_mT4_P12ihipStream_tbEUlT_E_NS1_11comp_targetILNS1_3genE3ELNS1_11target_archE908ELNS1_3gpuE7ELNS1_3repE0EEENS1_30default_config_static_selectorELNS0_4arch9wavefront6targetE1EEEvT1_,comdat
	.protected	_ZN7rocprim17ROCPRIM_400000_NS6detail17trampoline_kernelINS0_14default_configENS1_35adjacent_difference_config_selectorILb1EfEEZNS1_24adjacent_difference_implIS3_Lb1ELb0EPKfPfN6thrust23THRUST_200600_302600_NS4plusIfEEEE10hipError_tPvRmT2_T3_mT4_P12ihipStream_tbEUlT_E_NS1_11comp_targetILNS1_3genE3ELNS1_11target_archE908ELNS1_3gpuE7ELNS1_3repE0EEENS1_30default_config_static_selectorELNS0_4arch9wavefront6targetE1EEEvT1_ ; -- Begin function _ZN7rocprim17ROCPRIM_400000_NS6detail17trampoline_kernelINS0_14default_configENS1_35adjacent_difference_config_selectorILb1EfEEZNS1_24adjacent_difference_implIS3_Lb1ELb0EPKfPfN6thrust23THRUST_200600_302600_NS4plusIfEEEE10hipError_tPvRmT2_T3_mT4_P12ihipStream_tbEUlT_E_NS1_11comp_targetILNS1_3genE3ELNS1_11target_archE908ELNS1_3gpuE7ELNS1_3repE0EEENS1_30default_config_static_selectorELNS0_4arch9wavefront6targetE1EEEvT1_
	.globl	_ZN7rocprim17ROCPRIM_400000_NS6detail17trampoline_kernelINS0_14default_configENS1_35adjacent_difference_config_selectorILb1EfEEZNS1_24adjacent_difference_implIS3_Lb1ELb0EPKfPfN6thrust23THRUST_200600_302600_NS4plusIfEEEE10hipError_tPvRmT2_T3_mT4_P12ihipStream_tbEUlT_E_NS1_11comp_targetILNS1_3genE3ELNS1_11target_archE908ELNS1_3gpuE7ELNS1_3repE0EEENS1_30default_config_static_selectorELNS0_4arch9wavefront6targetE1EEEvT1_
	.p2align	8
	.type	_ZN7rocprim17ROCPRIM_400000_NS6detail17trampoline_kernelINS0_14default_configENS1_35adjacent_difference_config_selectorILb1EfEEZNS1_24adjacent_difference_implIS3_Lb1ELb0EPKfPfN6thrust23THRUST_200600_302600_NS4plusIfEEEE10hipError_tPvRmT2_T3_mT4_P12ihipStream_tbEUlT_E_NS1_11comp_targetILNS1_3genE3ELNS1_11target_archE908ELNS1_3gpuE7ELNS1_3repE0EEENS1_30default_config_static_selectorELNS0_4arch9wavefront6targetE1EEEvT1_,@function
_ZN7rocprim17ROCPRIM_400000_NS6detail17trampoline_kernelINS0_14default_configENS1_35adjacent_difference_config_selectorILb1EfEEZNS1_24adjacent_difference_implIS3_Lb1ELb0EPKfPfN6thrust23THRUST_200600_302600_NS4plusIfEEEE10hipError_tPvRmT2_T3_mT4_P12ihipStream_tbEUlT_E_NS1_11comp_targetILNS1_3genE3ELNS1_11target_archE908ELNS1_3gpuE7ELNS1_3repE0EEENS1_30default_config_static_selectorELNS0_4arch9wavefront6targetE1EEEvT1_: ; @_ZN7rocprim17ROCPRIM_400000_NS6detail17trampoline_kernelINS0_14default_configENS1_35adjacent_difference_config_selectorILb1EfEEZNS1_24adjacent_difference_implIS3_Lb1ELb0EPKfPfN6thrust23THRUST_200600_302600_NS4plusIfEEEE10hipError_tPvRmT2_T3_mT4_P12ihipStream_tbEUlT_E_NS1_11comp_targetILNS1_3genE3ELNS1_11target_archE908ELNS1_3gpuE7ELNS1_3repE0EEENS1_30default_config_static_selectorELNS0_4arch9wavefront6targetE1EEEvT1_
; %bb.0:
	.section	.rodata,"a",@progbits
	.p2align	6, 0x0
	.amdhsa_kernel _ZN7rocprim17ROCPRIM_400000_NS6detail17trampoline_kernelINS0_14default_configENS1_35adjacent_difference_config_selectorILb1EfEEZNS1_24adjacent_difference_implIS3_Lb1ELb0EPKfPfN6thrust23THRUST_200600_302600_NS4plusIfEEEE10hipError_tPvRmT2_T3_mT4_P12ihipStream_tbEUlT_E_NS1_11comp_targetILNS1_3genE3ELNS1_11target_archE908ELNS1_3gpuE7ELNS1_3repE0EEENS1_30default_config_static_selectorELNS0_4arch9wavefront6targetE1EEEvT1_
		.amdhsa_group_segment_fixed_size 0
		.amdhsa_private_segment_fixed_size 0
		.amdhsa_kernarg_size 56
		.amdhsa_user_sgpr_count 2
		.amdhsa_user_sgpr_dispatch_ptr 0
		.amdhsa_user_sgpr_queue_ptr 0
		.amdhsa_user_sgpr_kernarg_segment_ptr 1
		.amdhsa_user_sgpr_dispatch_id 0
		.amdhsa_user_sgpr_kernarg_preload_length 0
		.amdhsa_user_sgpr_kernarg_preload_offset 0
		.amdhsa_user_sgpr_private_segment_size 0
		.amdhsa_uses_dynamic_stack 0
		.amdhsa_enable_private_segment 0
		.amdhsa_system_sgpr_workgroup_id_x 1
		.amdhsa_system_sgpr_workgroup_id_y 0
		.amdhsa_system_sgpr_workgroup_id_z 0
		.amdhsa_system_sgpr_workgroup_info 0
		.amdhsa_system_vgpr_workitem_id 0
		.amdhsa_next_free_vgpr 1
		.amdhsa_next_free_sgpr 0
		.amdhsa_accum_offset 4
		.amdhsa_reserve_vcc 0
		.amdhsa_float_round_mode_32 0
		.amdhsa_float_round_mode_16_64 0
		.amdhsa_float_denorm_mode_32 3
		.amdhsa_float_denorm_mode_16_64 3
		.amdhsa_dx10_clamp 1
		.amdhsa_ieee_mode 1
		.amdhsa_fp16_overflow 0
		.amdhsa_tg_split 0
		.amdhsa_exception_fp_ieee_invalid_op 0
		.amdhsa_exception_fp_denorm_src 0
		.amdhsa_exception_fp_ieee_div_zero 0
		.amdhsa_exception_fp_ieee_overflow 0
		.amdhsa_exception_fp_ieee_underflow 0
		.amdhsa_exception_fp_ieee_inexact 0
		.amdhsa_exception_int_div_zero 0
	.end_amdhsa_kernel
	.section	.text._ZN7rocprim17ROCPRIM_400000_NS6detail17trampoline_kernelINS0_14default_configENS1_35adjacent_difference_config_selectorILb1EfEEZNS1_24adjacent_difference_implIS3_Lb1ELb0EPKfPfN6thrust23THRUST_200600_302600_NS4plusIfEEEE10hipError_tPvRmT2_T3_mT4_P12ihipStream_tbEUlT_E_NS1_11comp_targetILNS1_3genE3ELNS1_11target_archE908ELNS1_3gpuE7ELNS1_3repE0EEENS1_30default_config_static_selectorELNS0_4arch9wavefront6targetE1EEEvT1_,"axG",@progbits,_ZN7rocprim17ROCPRIM_400000_NS6detail17trampoline_kernelINS0_14default_configENS1_35adjacent_difference_config_selectorILb1EfEEZNS1_24adjacent_difference_implIS3_Lb1ELb0EPKfPfN6thrust23THRUST_200600_302600_NS4plusIfEEEE10hipError_tPvRmT2_T3_mT4_P12ihipStream_tbEUlT_E_NS1_11comp_targetILNS1_3genE3ELNS1_11target_archE908ELNS1_3gpuE7ELNS1_3repE0EEENS1_30default_config_static_selectorELNS0_4arch9wavefront6targetE1EEEvT1_,comdat
.Lfunc_end637:
	.size	_ZN7rocprim17ROCPRIM_400000_NS6detail17trampoline_kernelINS0_14default_configENS1_35adjacent_difference_config_selectorILb1EfEEZNS1_24adjacent_difference_implIS3_Lb1ELb0EPKfPfN6thrust23THRUST_200600_302600_NS4plusIfEEEE10hipError_tPvRmT2_T3_mT4_P12ihipStream_tbEUlT_E_NS1_11comp_targetILNS1_3genE3ELNS1_11target_archE908ELNS1_3gpuE7ELNS1_3repE0EEENS1_30default_config_static_selectorELNS0_4arch9wavefront6targetE1EEEvT1_, .Lfunc_end637-_ZN7rocprim17ROCPRIM_400000_NS6detail17trampoline_kernelINS0_14default_configENS1_35adjacent_difference_config_selectorILb1EfEEZNS1_24adjacent_difference_implIS3_Lb1ELb0EPKfPfN6thrust23THRUST_200600_302600_NS4plusIfEEEE10hipError_tPvRmT2_T3_mT4_P12ihipStream_tbEUlT_E_NS1_11comp_targetILNS1_3genE3ELNS1_11target_archE908ELNS1_3gpuE7ELNS1_3repE0EEENS1_30default_config_static_selectorELNS0_4arch9wavefront6targetE1EEEvT1_
                                        ; -- End function
	.section	.AMDGPU.csdata,"",@progbits
; Kernel info:
; codeLenInByte = 0
; NumSgprs: 6
; NumVgprs: 0
; NumAgprs: 0
; TotalNumVgprs: 0
; ScratchSize: 0
; MemoryBound: 0
; FloatMode: 240
; IeeeMode: 1
; LDSByteSize: 0 bytes/workgroup (compile time only)
; SGPRBlocks: 0
; VGPRBlocks: 0
; NumSGPRsForWavesPerEU: 6
; NumVGPRsForWavesPerEU: 1
; AccumOffset: 4
; Occupancy: 8
; WaveLimiterHint : 0
; COMPUTE_PGM_RSRC2:SCRATCH_EN: 0
; COMPUTE_PGM_RSRC2:USER_SGPR: 2
; COMPUTE_PGM_RSRC2:TRAP_HANDLER: 0
; COMPUTE_PGM_RSRC2:TGID_X_EN: 1
; COMPUTE_PGM_RSRC2:TGID_Y_EN: 0
; COMPUTE_PGM_RSRC2:TGID_Z_EN: 0
; COMPUTE_PGM_RSRC2:TIDIG_COMP_CNT: 0
; COMPUTE_PGM_RSRC3_GFX90A:ACCUM_OFFSET: 0
; COMPUTE_PGM_RSRC3_GFX90A:TG_SPLIT: 0
	.section	.text._ZN7rocprim17ROCPRIM_400000_NS6detail17trampoline_kernelINS0_14default_configENS1_35adjacent_difference_config_selectorILb1EfEEZNS1_24adjacent_difference_implIS3_Lb1ELb0EPKfPfN6thrust23THRUST_200600_302600_NS4plusIfEEEE10hipError_tPvRmT2_T3_mT4_P12ihipStream_tbEUlT_E_NS1_11comp_targetILNS1_3genE2ELNS1_11target_archE906ELNS1_3gpuE6ELNS1_3repE0EEENS1_30default_config_static_selectorELNS0_4arch9wavefront6targetE1EEEvT1_,"axG",@progbits,_ZN7rocprim17ROCPRIM_400000_NS6detail17trampoline_kernelINS0_14default_configENS1_35adjacent_difference_config_selectorILb1EfEEZNS1_24adjacent_difference_implIS3_Lb1ELb0EPKfPfN6thrust23THRUST_200600_302600_NS4plusIfEEEE10hipError_tPvRmT2_T3_mT4_P12ihipStream_tbEUlT_E_NS1_11comp_targetILNS1_3genE2ELNS1_11target_archE906ELNS1_3gpuE6ELNS1_3repE0EEENS1_30default_config_static_selectorELNS0_4arch9wavefront6targetE1EEEvT1_,comdat
	.protected	_ZN7rocprim17ROCPRIM_400000_NS6detail17trampoline_kernelINS0_14default_configENS1_35adjacent_difference_config_selectorILb1EfEEZNS1_24adjacent_difference_implIS3_Lb1ELb0EPKfPfN6thrust23THRUST_200600_302600_NS4plusIfEEEE10hipError_tPvRmT2_T3_mT4_P12ihipStream_tbEUlT_E_NS1_11comp_targetILNS1_3genE2ELNS1_11target_archE906ELNS1_3gpuE6ELNS1_3repE0EEENS1_30default_config_static_selectorELNS0_4arch9wavefront6targetE1EEEvT1_ ; -- Begin function _ZN7rocprim17ROCPRIM_400000_NS6detail17trampoline_kernelINS0_14default_configENS1_35adjacent_difference_config_selectorILb1EfEEZNS1_24adjacent_difference_implIS3_Lb1ELb0EPKfPfN6thrust23THRUST_200600_302600_NS4plusIfEEEE10hipError_tPvRmT2_T3_mT4_P12ihipStream_tbEUlT_E_NS1_11comp_targetILNS1_3genE2ELNS1_11target_archE906ELNS1_3gpuE6ELNS1_3repE0EEENS1_30default_config_static_selectorELNS0_4arch9wavefront6targetE1EEEvT1_
	.globl	_ZN7rocprim17ROCPRIM_400000_NS6detail17trampoline_kernelINS0_14default_configENS1_35adjacent_difference_config_selectorILb1EfEEZNS1_24adjacent_difference_implIS3_Lb1ELb0EPKfPfN6thrust23THRUST_200600_302600_NS4plusIfEEEE10hipError_tPvRmT2_T3_mT4_P12ihipStream_tbEUlT_E_NS1_11comp_targetILNS1_3genE2ELNS1_11target_archE906ELNS1_3gpuE6ELNS1_3repE0EEENS1_30default_config_static_selectorELNS0_4arch9wavefront6targetE1EEEvT1_
	.p2align	8
	.type	_ZN7rocprim17ROCPRIM_400000_NS6detail17trampoline_kernelINS0_14default_configENS1_35adjacent_difference_config_selectorILb1EfEEZNS1_24adjacent_difference_implIS3_Lb1ELb0EPKfPfN6thrust23THRUST_200600_302600_NS4plusIfEEEE10hipError_tPvRmT2_T3_mT4_P12ihipStream_tbEUlT_E_NS1_11comp_targetILNS1_3genE2ELNS1_11target_archE906ELNS1_3gpuE6ELNS1_3repE0EEENS1_30default_config_static_selectorELNS0_4arch9wavefront6targetE1EEEvT1_,@function
_ZN7rocprim17ROCPRIM_400000_NS6detail17trampoline_kernelINS0_14default_configENS1_35adjacent_difference_config_selectorILb1EfEEZNS1_24adjacent_difference_implIS3_Lb1ELb0EPKfPfN6thrust23THRUST_200600_302600_NS4plusIfEEEE10hipError_tPvRmT2_T3_mT4_P12ihipStream_tbEUlT_E_NS1_11comp_targetILNS1_3genE2ELNS1_11target_archE906ELNS1_3gpuE6ELNS1_3repE0EEENS1_30default_config_static_selectorELNS0_4arch9wavefront6targetE1EEEvT1_: ; @_ZN7rocprim17ROCPRIM_400000_NS6detail17trampoline_kernelINS0_14default_configENS1_35adjacent_difference_config_selectorILb1EfEEZNS1_24adjacent_difference_implIS3_Lb1ELb0EPKfPfN6thrust23THRUST_200600_302600_NS4plusIfEEEE10hipError_tPvRmT2_T3_mT4_P12ihipStream_tbEUlT_E_NS1_11comp_targetILNS1_3genE2ELNS1_11target_archE906ELNS1_3gpuE6ELNS1_3repE0EEENS1_30default_config_static_selectorELNS0_4arch9wavefront6targetE1EEEvT1_
; %bb.0:
	.section	.rodata,"a",@progbits
	.p2align	6, 0x0
	.amdhsa_kernel _ZN7rocprim17ROCPRIM_400000_NS6detail17trampoline_kernelINS0_14default_configENS1_35adjacent_difference_config_selectorILb1EfEEZNS1_24adjacent_difference_implIS3_Lb1ELb0EPKfPfN6thrust23THRUST_200600_302600_NS4plusIfEEEE10hipError_tPvRmT2_T3_mT4_P12ihipStream_tbEUlT_E_NS1_11comp_targetILNS1_3genE2ELNS1_11target_archE906ELNS1_3gpuE6ELNS1_3repE0EEENS1_30default_config_static_selectorELNS0_4arch9wavefront6targetE1EEEvT1_
		.amdhsa_group_segment_fixed_size 0
		.amdhsa_private_segment_fixed_size 0
		.amdhsa_kernarg_size 56
		.amdhsa_user_sgpr_count 2
		.amdhsa_user_sgpr_dispatch_ptr 0
		.amdhsa_user_sgpr_queue_ptr 0
		.amdhsa_user_sgpr_kernarg_segment_ptr 1
		.amdhsa_user_sgpr_dispatch_id 0
		.amdhsa_user_sgpr_kernarg_preload_length 0
		.amdhsa_user_sgpr_kernarg_preload_offset 0
		.amdhsa_user_sgpr_private_segment_size 0
		.amdhsa_uses_dynamic_stack 0
		.amdhsa_enable_private_segment 0
		.amdhsa_system_sgpr_workgroup_id_x 1
		.amdhsa_system_sgpr_workgroup_id_y 0
		.amdhsa_system_sgpr_workgroup_id_z 0
		.amdhsa_system_sgpr_workgroup_info 0
		.amdhsa_system_vgpr_workitem_id 0
		.amdhsa_next_free_vgpr 1
		.amdhsa_next_free_sgpr 0
		.amdhsa_accum_offset 4
		.amdhsa_reserve_vcc 0
		.amdhsa_float_round_mode_32 0
		.amdhsa_float_round_mode_16_64 0
		.amdhsa_float_denorm_mode_32 3
		.amdhsa_float_denorm_mode_16_64 3
		.amdhsa_dx10_clamp 1
		.amdhsa_ieee_mode 1
		.amdhsa_fp16_overflow 0
		.amdhsa_tg_split 0
		.amdhsa_exception_fp_ieee_invalid_op 0
		.amdhsa_exception_fp_denorm_src 0
		.amdhsa_exception_fp_ieee_div_zero 0
		.amdhsa_exception_fp_ieee_overflow 0
		.amdhsa_exception_fp_ieee_underflow 0
		.amdhsa_exception_fp_ieee_inexact 0
		.amdhsa_exception_int_div_zero 0
	.end_amdhsa_kernel
	.section	.text._ZN7rocprim17ROCPRIM_400000_NS6detail17trampoline_kernelINS0_14default_configENS1_35adjacent_difference_config_selectorILb1EfEEZNS1_24adjacent_difference_implIS3_Lb1ELb0EPKfPfN6thrust23THRUST_200600_302600_NS4plusIfEEEE10hipError_tPvRmT2_T3_mT4_P12ihipStream_tbEUlT_E_NS1_11comp_targetILNS1_3genE2ELNS1_11target_archE906ELNS1_3gpuE6ELNS1_3repE0EEENS1_30default_config_static_selectorELNS0_4arch9wavefront6targetE1EEEvT1_,"axG",@progbits,_ZN7rocprim17ROCPRIM_400000_NS6detail17trampoline_kernelINS0_14default_configENS1_35adjacent_difference_config_selectorILb1EfEEZNS1_24adjacent_difference_implIS3_Lb1ELb0EPKfPfN6thrust23THRUST_200600_302600_NS4plusIfEEEE10hipError_tPvRmT2_T3_mT4_P12ihipStream_tbEUlT_E_NS1_11comp_targetILNS1_3genE2ELNS1_11target_archE906ELNS1_3gpuE6ELNS1_3repE0EEENS1_30default_config_static_selectorELNS0_4arch9wavefront6targetE1EEEvT1_,comdat
.Lfunc_end638:
	.size	_ZN7rocprim17ROCPRIM_400000_NS6detail17trampoline_kernelINS0_14default_configENS1_35adjacent_difference_config_selectorILb1EfEEZNS1_24adjacent_difference_implIS3_Lb1ELb0EPKfPfN6thrust23THRUST_200600_302600_NS4plusIfEEEE10hipError_tPvRmT2_T3_mT4_P12ihipStream_tbEUlT_E_NS1_11comp_targetILNS1_3genE2ELNS1_11target_archE906ELNS1_3gpuE6ELNS1_3repE0EEENS1_30default_config_static_selectorELNS0_4arch9wavefront6targetE1EEEvT1_, .Lfunc_end638-_ZN7rocprim17ROCPRIM_400000_NS6detail17trampoline_kernelINS0_14default_configENS1_35adjacent_difference_config_selectorILb1EfEEZNS1_24adjacent_difference_implIS3_Lb1ELb0EPKfPfN6thrust23THRUST_200600_302600_NS4plusIfEEEE10hipError_tPvRmT2_T3_mT4_P12ihipStream_tbEUlT_E_NS1_11comp_targetILNS1_3genE2ELNS1_11target_archE906ELNS1_3gpuE6ELNS1_3repE0EEENS1_30default_config_static_selectorELNS0_4arch9wavefront6targetE1EEEvT1_
                                        ; -- End function
	.section	.AMDGPU.csdata,"",@progbits
; Kernel info:
; codeLenInByte = 0
; NumSgprs: 6
; NumVgprs: 0
; NumAgprs: 0
; TotalNumVgprs: 0
; ScratchSize: 0
; MemoryBound: 0
; FloatMode: 240
; IeeeMode: 1
; LDSByteSize: 0 bytes/workgroup (compile time only)
; SGPRBlocks: 0
; VGPRBlocks: 0
; NumSGPRsForWavesPerEU: 6
; NumVGPRsForWavesPerEU: 1
; AccumOffset: 4
; Occupancy: 8
; WaveLimiterHint : 0
; COMPUTE_PGM_RSRC2:SCRATCH_EN: 0
; COMPUTE_PGM_RSRC2:USER_SGPR: 2
; COMPUTE_PGM_RSRC2:TRAP_HANDLER: 0
; COMPUTE_PGM_RSRC2:TGID_X_EN: 1
; COMPUTE_PGM_RSRC2:TGID_Y_EN: 0
; COMPUTE_PGM_RSRC2:TGID_Z_EN: 0
; COMPUTE_PGM_RSRC2:TIDIG_COMP_CNT: 0
; COMPUTE_PGM_RSRC3_GFX90A:ACCUM_OFFSET: 0
; COMPUTE_PGM_RSRC3_GFX90A:TG_SPLIT: 0
	.section	.text._ZN7rocprim17ROCPRIM_400000_NS6detail17trampoline_kernelINS0_14default_configENS1_35adjacent_difference_config_selectorILb1EfEEZNS1_24adjacent_difference_implIS3_Lb1ELb0EPKfPfN6thrust23THRUST_200600_302600_NS4plusIfEEEE10hipError_tPvRmT2_T3_mT4_P12ihipStream_tbEUlT_E_NS1_11comp_targetILNS1_3genE9ELNS1_11target_archE1100ELNS1_3gpuE3ELNS1_3repE0EEENS1_30default_config_static_selectorELNS0_4arch9wavefront6targetE1EEEvT1_,"axG",@progbits,_ZN7rocprim17ROCPRIM_400000_NS6detail17trampoline_kernelINS0_14default_configENS1_35adjacent_difference_config_selectorILb1EfEEZNS1_24adjacent_difference_implIS3_Lb1ELb0EPKfPfN6thrust23THRUST_200600_302600_NS4plusIfEEEE10hipError_tPvRmT2_T3_mT4_P12ihipStream_tbEUlT_E_NS1_11comp_targetILNS1_3genE9ELNS1_11target_archE1100ELNS1_3gpuE3ELNS1_3repE0EEENS1_30default_config_static_selectorELNS0_4arch9wavefront6targetE1EEEvT1_,comdat
	.protected	_ZN7rocprim17ROCPRIM_400000_NS6detail17trampoline_kernelINS0_14default_configENS1_35adjacent_difference_config_selectorILb1EfEEZNS1_24adjacent_difference_implIS3_Lb1ELb0EPKfPfN6thrust23THRUST_200600_302600_NS4plusIfEEEE10hipError_tPvRmT2_T3_mT4_P12ihipStream_tbEUlT_E_NS1_11comp_targetILNS1_3genE9ELNS1_11target_archE1100ELNS1_3gpuE3ELNS1_3repE0EEENS1_30default_config_static_selectorELNS0_4arch9wavefront6targetE1EEEvT1_ ; -- Begin function _ZN7rocprim17ROCPRIM_400000_NS6detail17trampoline_kernelINS0_14default_configENS1_35adjacent_difference_config_selectorILb1EfEEZNS1_24adjacent_difference_implIS3_Lb1ELb0EPKfPfN6thrust23THRUST_200600_302600_NS4plusIfEEEE10hipError_tPvRmT2_T3_mT4_P12ihipStream_tbEUlT_E_NS1_11comp_targetILNS1_3genE9ELNS1_11target_archE1100ELNS1_3gpuE3ELNS1_3repE0EEENS1_30default_config_static_selectorELNS0_4arch9wavefront6targetE1EEEvT1_
	.globl	_ZN7rocprim17ROCPRIM_400000_NS6detail17trampoline_kernelINS0_14default_configENS1_35adjacent_difference_config_selectorILb1EfEEZNS1_24adjacent_difference_implIS3_Lb1ELb0EPKfPfN6thrust23THRUST_200600_302600_NS4plusIfEEEE10hipError_tPvRmT2_T3_mT4_P12ihipStream_tbEUlT_E_NS1_11comp_targetILNS1_3genE9ELNS1_11target_archE1100ELNS1_3gpuE3ELNS1_3repE0EEENS1_30default_config_static_selectorELNS0_4arch9wavefront6targetE1EEEvT1_
	.p2align	8
	.type	_ZN7rocprim17ROCPRIM_400000_NS6detail17trampoline_kernelINS0_14default_configENS1_35adjacent_difference_config_selectorILb1EfEEZNS1_24adjacent_difference_implIS3_Lb1ELb0EPKfPfN6thrust23THRUST_200600_302600_NS4plusIfEEEE10hipError_tPvRmT2_T3_mT4_P12ihipStream_tbEUlT_E_NS1_11comp_targetILNS1_3genE9ELNS1_11target_archE1100ELNS1_3gpuE3ELNS1_3repE0EEENS1_30default_config_static_selectorELNS0_4arch9wavefront6targetE1EEEvT1_,@function
_ZN7rocprim17ROCPRIM_400000_NS6detail17trampoline_kernelINS0_14default_configENS1_35adjacent_difference_config_selectorILb1EfEEZNS1_24adjacent_difference_implIS3_Lb1ELb0EPKfPfN6thrust23THRUST_200600_302600_NS4plusIfEEEE10hipError_tPvRmT2_T3_mT4_P12ihipStream_tbEUlT_E_NS1_11comp_targetILNS1_3genE9ELNS1_11target_archE1100ELNS1_3gpuE3ELNS1_3repE0EEENS1_30default_config_static_selectorELNS0_4arch9wavefront6targetE1EEEvT1_: ; @_ZN7rocprim17ROCPRIM_400000_NS6detail17trampoline_kernelINS0_14default_configENS1_35adjacent_difference_config_selectorILb1EfEEZNS1_24adjacent_difference_implIS3_Lb1ELb0EPKfPfN6thrust23THRUST_200600_302600_NS4plusIfEEEE10hipError_tPvRmT2_T3_mT4_P12ihipStream_tbEUlT_E_NS1_11comp_targetILNS1_3genE9ELNS1_11target_archE1100ELNS1_3gpuE3ELNS1_3repE0EEENS1_30default_config_static_selectorELNS0_4arch9wavefront6targetE1EEEvT1_
; %bb.0:
	.section	.rodata,"a",@progbits
	.p2align	6, 0x0
	.amdhsa_kernel _ZN7rocprim17ROCPRIM_400000_NS6detail17trampoline_kernelINS0_14default_configENS1_35adjacent_difference_config_selectorILb1EfEEZNS1_24adjacent_difference_implIS3_Lb1ELb0EPKfPfN6thrust23THRUST_200600_302600_NS4plusIfEEEE10hipError_tPvRmT2_T3_mT4_P12ihipStream_tbEUlT_E_NS1_11comp_targetILNS1_3genE9ELNS1_11target_archE1100ELNS1_3gpuE3ELNS1_3repE0EEENS1_30default_config_static_selectorELNS0_4arch9wavefront6targetE1EEEvT1_
		.amdhsa_group_segment_fixed_size 0
		.amdhsa_private_segment_fixed_size 0
		.amdhsa_kernarg_size 56
		.amdhsa_user_sgpr_count 2
		.amdhsa_user_sgpr_dispatch_ptr 0
		.amdhsa_user_sgpr_queue_ptr 0
		.amdhsa_user_sgpr_kernarg_segment_ptr 1
		.amdhsa_user_sgpr_dispatch_id 0
		.amdhsa_user_sgpr_kernarg_preload_length 0
		.amdhsa_user_sgpr_kernarg_preload_offset 0
		.amdhsa_user_sgpr_private_segment_size 0
		.amdhsa_uses_dynamic_stack 0
		.amdhsa_enable_private_segment 0
		.amdhsa_system_sgpr_workgroup_id_x 1
		.amdhsa_system_sgpr_workgroup_id_y 0
		.amdhsa_system_sgpr_workgroup_id_z 0
		.amdhsa_system_sgpr_workgroup_info 0
		.amdhsa_system_vgpr_workitem_id 0
		.amdhsa_next_free_vgpr 1
		.amdhsa_next_free_sgpr 0
		.amdhsa_accum_offset 4
		.amdhsa_reserve_vcc 0
		.amdhsa_float_round_mode_32 0
		.amdhsa_float_round_mode_16_64 0
		.amdhsa_float_denorm_mode_32 3
		.amdhsa_float_denorm_mode_16_64 3
		.amdhsa_dx10_clamp 1
		.amdhsa_ieee_mode 1
		.amdhsa_fp16_overflow 0
		.amdhsa_tg_split 0
		.amdhsa_exception_fp_ieee_invalid_op 0
		.amdhsa_exception_fp_denorm_src 0
		.amdhsa_exception_fp_ieee_div_zero 0
		.amdhsa_exception_fp_ieee_overflow 0
		.amdhsa_exception_fp_ieee_underflow 0
		.amdhsa_exception_fp_ieee_inexact 0
		.amdhsa_exception_int_div_zero 0
	.end_amdhsa_kernel
	.section	.text._ZN7rocprim17ROCPRIM_400000_NS6detail17trampoline_kernelINS0_14default_configENS1_35adjacent_difference_config_selectorILb1EfEEZNS1_24adjacent_difference_implIS3_Lb1ELb0EPKfPfN6thrust23THRUST_200600_302600_NS4plusIfEEEE10hipError_tPvRmT2_T3_mT4_P12ihipStream_tbEUlT_E_NS1_11comp_targetILNS1_3genE9ELNS1_11target_archE1100ELNS1_3gpuE3ELNS1_3repE0EEENS1_30default_config_static_selectorELNS0_4arch9wavefront6targetE1EEEvT1_,"axG",@progbits,_ZN7rocprim17ROCPRIM_400000_NS6detail17trampoline_kernelINS0_14default_configENS1_35adjacent_difference_config_selectorILb1EfEEZNS1_24adjacent_difference_implIS3_Lb1ELb0EPKfPfN6thrust23THRUST_200600_302600_NS4plusIfEEEE10hipError_tPvRmT2_T3_mT4_P12ihipStream_tbEUlT_E_NS1_11comp_targetILNS1_3genE9ELNS1_11target_archE1100ELNS1_3gpuE3ELNS1_3repE0EEENS1_30default_config_static_selectorELNS0_4arch9wavefront6targetE1EEEvT1_,comdat
.Lfunc_end639:
	.size	_ZN7rocprim17ROCPRIM_400000_NS6detail17trampoline_kernelINS0_14default_configENS1_35adjacent_difference_config_selectorILb1EfEEZNS1_24adjacent_difference_implIS3_Lb1ELb0EPKfPfN6thrust23THRUST_200600_302600_NS4plusIfEEEE10hipError_tPvRmT2_T3_mT4_P12ihipStream_tbEUlT_E_NS1_11comp_targetILNS1_3genE9ELNS1_11target_archE1100ELNS1_3gpuE3ELNS1_3repE0EEENS1_30default_config_static_selectorELNS0_4arch9wavefront6targetE1EEEvT1_, .Lfunc_end639-_ZN7rocprim17ROCPRIM_400000_NS6detail17trampoline_kernelINS0_14default_configENS1_35adjacent_difference_config_selectorILb1EfEEZNS1_24adjacent_difference_implIS3_Lb1ELb0EPKfPfN6thrust23THRUST_200600_302600_NS4plusIfEEEE10hipError_tPvRmT2_T3_mT4_P12ihipStream_tbEUlT_E_NS1_11comp_targetILNS1_3genE9ELNS1_11target_archE1100ELNS1_3gpuE3ELNS1_3repE0EEENS1_30default_config_static_selectorELNS0_4arch9wavefront6targetE1EEEvT1_
                                        ; -- End function
	.section	.AMDGPU.csdata,"",@progbits
; Kernel info:
; codeLenInByte = 0
; NumSgprs: 6
; NumVgprs: 0
; NumAgprs: 0
; TotalNumVgprs: 0
; ScratchSize: 0
; MemoryBound: 0
; FloatMode: 240
; IeeeMode: 1
; LDSByteSize: 0 bytes/workgroup (compile time only)
; SGPRBlocks: 0
; VGPRBlocks: 0
; NumSGPRsForWavesPerEU: 6
; NumVGPRsForWavesPerEU: 1
; AccumOffset: 4
; Occupancy: 8
; WaveLimiterHint : 0
; COMPUTE_PGM_RSRC2:SCRATCH_EN: 0
; COMPUTE_PGM_RSRC2:USER_SGPR: 2
; COMPUTE_PGM_RSRC2:TRAP_HANDLER: 0
; COMPUTE_PGM_RSRC2:TGID_X_EN: 1
; COMPUTE_PGM_RSRC2:TGID_Y_EN: 0
; COMPUTE_PGM_RSRC2:TGID_Z_EN: 0
; COMPUTE_PGM_RSRC2:TIDIG_COMP_CNT: 0
; COMPUTE_PGM_RSRC3_GFX90A:ACCUM_OFFSET: 0
; COMPUTE_PGM_RSRC3_GFX90A:TG_SPLIT: 0
	.section	.text._ZN7rocprim17ROCPRIM_400000_NS6detail17trampoline_kernelINS0_14default_configENS1_35adjacent_difference_config_selectorILb1EfEEZNS1_24adjacent_difference_implIS3_Lb1ELb0EPKfPfN6thrust23THRUST_200600_302600_NS4plusIfEEEE10hipError_tPvRmT2_T3_mT4_P12ihipStream_tbEUlT_E_NS1_11comp_targetILNS1_3genE8ELNS1_11target_archE1030ELNS1_3gpuE2ELNS1_3repE0EEENS1_30default_config_static_selectorELNS0_4arch9wavefront6targetE1EEEvT1_,"axG",@progbits,_ZN7rocprim17ROCPRIM_400000_NS6detail17trampoline_kernelINS0_14default_configENS1_35adjacent_difference_config_selectorILb1EfEEZNS1_24adjacent_difference_implIS3_Lb1ELb0EPKfPfN6thrust23THRUST_200600_302600_NS4plusIfEEEE10hipError_tPvRmT2_T3_mT4_P12ihipStream_tbEUlT_E_NS1_11comp_targetILNS1_3genE8ELNS1_11target_archE1030ELNS1_3gpuE2ELNS1_3repE0EEENS1_30default_config_static_selectorELNS0_4arch9wavefront6targetE1EEEvT1_,comdat
	.protected	_ZN7rocprim17ROCPRIM_400000_NS6detail17trampoline_kernelINS0_14default_configENS1_35adjacent_difference_config_selectorILb1EfEEZNS1_24adjacent_difference_implIS3_Lb1ELb0EPKfPfN6thrust23THRUST_200600_302600_NS4plusIfEEEE10hipError_tPvRmT2_T3_mT4_P12ihipStream_tbEUlT_E_NS1_11comp_targetILNS1_3genE8ELNS1_11target_archE1030ELNS1_3gpuE2ELNS1_3repE0EEENS1_30default_config_static_selectorELNS0_4arch9wavefront6targetE1EEEvT1_ ; -- Begin function _ZN7rocprim17ROCPRIM_400000_NS6detail17trampoline_kernelINS0_14default_configENS1_35adjacent_difference_config_selectorILb1EfEEZNS1_24adjacent_difference_implIS3_Lb1ELb0EPKfPfN6thrust23THRUST_200600_302600_NS4plusIfEEEE10hipError_tPvRmT2_T3_mT4_P12ihipStream_tbEUlT_E_NS1_11comp_targetILNS1_3genE8ELNS1_11target_archE1030ELNS1_3gpuE2ELNS1_3repE0EEENS1_30default_config_static_selectorELNS0_4arch9wavefront6targetE1EEEvT1_
	.globl	_ZN7rocprim17ROCPRIM_400000_NS6detail17trampoline_kernelINS0_14default_configENS1_35adjacent_difference_config_selectorILb1EfEEZNS1_24adjacent_difference_implIS3_Lb1ELb0EPKfPfN6thrust23THRUST_200600_302600_NS4plusIfEEEE10hipError_tPvRmT2_T3_mT4_P12ihipStream_tbEUlT_E_NS1_11comp_targetILNS1_3genE8ELNS1_11target_archE1030ELNS1_3gpuE2ELNS1_3repE0EEENS1_30default_config_static_selectorELNS0_4arch9wavefront6targetE1EEEvT1_
	.p2align	8
	.type	_ZN7rocprim17ROCPRIM_400000_NS6detail17trampoline_kernelINS0_14default_configENS1_35adjacent_difference_config_selectorILb1EfEEZNS1_24adjacent_difference_implIS3_Lb1ELb0EPKfPfN6thrust23THRUST_200600_302600_NS4plusIfEEEE10hipError_tPvRmT2_T3_mT4_P12ihipStream_tbEUlT_E_NS1_11comp_targetILNS1_3genE8ELNS1_11target_archE1030ELNS1_3gpuE2ELNS1_3repE0EEENS1_30default_config_static_selectorELNS0_4arch9wavefront6targetE1EEEvT1_,@function
_ZN7rocprim17ROCPRIM_400000_NS6detail17trampoline_kernelINS0_14default_configENS1_35adjacent_difference_config_selectorILb1EfEEZNS1_24adjacent_difference_implIS3_Lb1ELb0EPKfPfN6thrust23THRUST_200600_302600_NS4plusIfEEEE10hipError_tPvRmT2_T3_mT4_P12ihipStream_tbEUlT_E_NS1_11comp_targetILNS1_3genE8ELNS1_11target_archE1030ELNS1_3gpuE2ELNS1_3repE0EEENS1_30default_config_static_selectorELNS0_4arch9wavefront6targetE1EEEvT1_: ; @_ZN7rocprim17ROCPRIM_400000_NS6detail17trampoline_kernelINS0_14default_configENS1_35adjacent_difference_config_selectorILb1EfEEZNS1_24adjacent_difference_implIS3_Lb1ELb0EPKfPfN6thrust23THRUST_200600_302600_NS4plusIfEEEE10hipError_tPvRmT2_T3_mT4_P12ihipStream_tbEUlT_E_NS1_11comp_targetILNS1_3genE8ELNS1_11target_archE1030ELNS1_3gpuE2ELNS1_3repE0EEENS1_30default_config_static_selectorELNS0_4arch9wavefront6targetE1EEEvT1_
; %bb.0:
	.section	.rodata,"a",@progbits
	.p2align	6, 0x0
	.amdhsa_kernel _ZN7rocprim17ROCPRIM_400000_NS6detail17trampoline_kernelINS0_14default_configENS1_35adjacent_difference_config_selectorILb1EfEEZNS1_24adjacent_difference_implIS3_Lb1ELb0EPKfPfN6thrust23THRUST_200600_302600_NS4plusIfEEEE10hipError_tPvRmT2_T3_mT4_P12ihipStream_tbEUlT_E_NS1_11comp_targetILNS1_3genE8ELNS1_11target_archE1030ELNS1_3gpuE2ELNS1_3repE0EEENS1_30default_config_static_selectorELNS0_4arch9wavefront6targetE1EEEvT1_
		.amdhsa_group_segment_fixed_size 0
		.amdhsa_private_segment_fixed_size 0
		.amdhsa_kernarg_size 56
		.amdhsa_user_sgpr_count 2
		.amdhsa_user_sgpr_dispatch_ptr 0
		.amdhsa_user_sgpr_queue_ptr 0
		.amdhsa_user_sgpr_kernarg_segment_ptr 1
		.amdhsa_user_sgpr_dispatch_id 0
		.amdhsa_user_sgpr_kernarg_preload_length 0
		.amdhsa_user_sgpr_kernarg_preload_offset 0
		.amdhsa_user_sgpr_private_segment_size 0
		.amdhsa_uses_dynamic_stack 0
		.amdhsa_enable_private_segment 0
		.amdhsa_system_sgpr_workgroup_id_x 1
		.amdhsa_system_sgpr_workgroup_id_y 0
		.amdhsa_system_sgpr_workgroup_id_z 0
		.amdhsa_system_sgpr_workgroup_info 0
		.amdhsa_system_vgpr_workitem_id 0
		.amdhsa_next_free_vgpr 1
		.amdhsa_next_free_sgpr 0
		.amdhsa_accum_offset 4
		.amdhsa_reserve_vcc 0
		.amdhsa_float_round_mode_32 0
		.amdhsa_float_round_mode_16_64 0
		.amdhsa_float_denorm_mode_32 3
		.amdhsa_float_denorm_mode_16_64 3
		.amdhsa_dx10_clamp 1
		.amdhsa_ieee_mode 1
		.amdhsa_fp16_overflow 0
		.amdhsa_tg_split 0
		.amdhsa_exception_fp_ieee_invalid_op 0
		.amdhsa_exception_fp_denorm_src 0
		.amdhsa_exception_fp_ieee_div_zero 0
		.amdhsa_exception_fp_ieee_overflow 0
		.amdhsa_exception_fp_ieee_underflow 0
		.amdhsa_exception_fp_ieee_inexact 0
		.amdhsa_exception_int_div_zero 0
	.end_amdhsa_kernel
	.section	.text._ZN7rocprim17ROCPRIM_400000_NS6detail17trampoline_kernelINS0_14default_configENS1_35adjacent_difference_config_selectorILb1EfEEZNS1_24adjacent_difference_implIS3_Lb1ELb0EPKfPfN6thrust23THRUST_200600_302600_NS4plusIfEEEE10hipError_tPvRmT2_T3_mT4_P12ihipStream_tbEUlT_E_NS1_11comp_targetILNS1_3genE8ELNS1_11target_archE1030ELNS1_3gpuE2ELNS1_3repE0EEENS1_30default_config_static_selectorELNS0_4arch9wavefront6targetE1EEEvT1_,"axG",@progbits,_ZN7rocprim17ROCPRIM_400000_NS6detail17trampoline_kernelINS0_14default_configENS1_35adjacent_difference_config_selectorILb1EfEEZNS1_24adjacent_difference_implIS3_Lb1ELb0EPKfPfN6thrust23THRUST_200600_302600_NS4plusIfEEEE10hipError_tPvRmT2_T3_mT4_P12ihipStream_tbEUlT_E_NS1_11comp_targetILNS1_3genE8ELNS1_11target_archE1030ELNS1_3gpuE2ELNS1_3repE0EEENS1_30default_config_static_selectorELNS0_4arch9wavefront6targetE1EEEvT1_,comdat
.Lfunc_end640:
	.size	_ZN7rocprim17ROCPRIM_400000_NS6detail17trampoline_kernelINS0_14default_configENS1_35adjacent_difference_config_selectorILb1EfEEZNS1_24adjacent_difference_implIS3_Lb1ELb0EPKfPfN6thrust23THRUST_200600_302600_NS4plusIfEEEE10hipError_tPvRmT2_T3_mT4_P12ihipStream_tbEUlT_E_NS1_11comp_targetILNS1_3genE8ELNS1_11target_archE1030ELNS1_3gpuE2ELNS1_3repE0EEENS1_30default_config_static_selectorELNS0_4arch9wavefront6targetE1EEEvT1_, .Lfunc_end640-_ZN7rocprim17ROCPRIM_400000_NS6detail17trampoline_kernelINS0_14default_configENS1_35adjacent_difference_config_selectorILb1EfEEZNS1_24adjacent_difference_implIS3_Lb1ELb0EPKfPfN6thrust23THRUST_200600_302600_NS4plusIfEEEE10hipError_tPvRmT2_T3_mT4_P12ihipStream_tbEUlT_E_NS1_11comp_targetILNS1_3genE8ELNS1_11target_archE1030ELNS1_3gpuE2ELNS1_3repE0EEENS1_30default_config_static_selectorELNS0_4arch9wavefront6targetE1EEEvT1_
                                        ; -- End function
	.section	.AMDGPU.csdata,"",@progbits
; Kernel info:
; codeLenInByte = 0
; NumSgprs: 6
; NumVgprs: 0
; NumAgprs: 0
; TotalNumVgprs: 0
; ScratchSize: 0
; MemoryBound: 0
; FloatMode: 240
; IeeeMode: 1
; LDSByteSize: 0 bytes/workgroup (compile time only)
; SGPRBlocks: 0
; VGPRBlocks: 0
; NumSGPRsForWavesPerEU: 6
; NumVGPRsForWavesPerEU: 1
; AccumOffset: 4
; Occupancy: 8
; WaveLimiterHint : 0
; COMPUTE_PGM_RSRC2:SCRATCH_EN: 0
; COMPUTE_PGM_RSRC2:USER_SGPR: 2
; COMPUTE_PGM_RSRC2:TRAP_HANDLER: 0
; COMPUTE_PGM_RSRC2:TGID_X_EN: 1
; COMPUTE_PGM_RSRC2:TGID_Y_EN: 0
; COMPUTE_PGM_RSRC2:TGID_Z_EN: 0
; COMPUTE_PGM_RSRC2:TIDIG_COMP_CNT: 0
; COMPUTE_PGM_RSRC3_GFX90A:ACCUM_OFFSET: 0
; COMPUTE_PGM_RSRC3_GFX90A:TG_SPLIT: 0
	.section	.text._ZN7rocprim17ROCPRIM_400000_NS6detail17trampoline_kernelINS0_14default_configENS1_35adjacent_difference_config_selectorILb0EdEEZNS1_24adjacent_difference_implIS3_Lb0ELb0EPKdPdN6thrust23THRUST_200600_302600_NS4plusIdEEEE10hipError_tPvRmT2_T3_mT4_P12ihipStream_tbEUlT_E_NS1_11comp_targetILNS1_3genE0ELNS1_11target_archE4294967295ELNS1_3gpuE0ELNS1_3repE0EEENS1_30default_config_static_selectorELNS0_4arch9wavefront6targetE1EEEvT1_,"axG",@progbits,_ZN7rocprim17ROCPRIM_400000_NS6detail17trampoline_kernelINS0_14default_configENS1_35adjacent_difference_config_selectorILb0EdEEZNS1_24adjacent_difference_implIS3_Lb0ELb0EPKdPdN6thrust23THRUST_200600_302600_NS4plusIdEEEE10hipError_tPvRmT2_T3_mT4_P12ihipStream_tbEUlT_E_NS1_11comp_targetILNS1_3genE0ELNS1_11target_archE4294967295ELNS1_3gpuE0ELNS1_3repE0EEENS1_30default_config_static_selectorELNS0_4arch9wavefront6targetE1EEEvT1_,comdat
	.protected	_ZN7rocprim17ROCPRIM_400000_NS6detail17trampoline_kernelINS0_14default_configENS1_35adjacent_difference_config_selectorILb0EdEEZNS1_24adjacent_difference_implIS3_Lb0ELb0EPKdPdN6thrust23THRUST_200600_302600_NS4plusIdEEEE10hipError_tPvRmT2_T3_mT4_P12ihipStream_tbEUlT_E_NS1_11comp_targetILNS1_3genE0ELNS1_11target_archE4294967295ELNS1_3gpuE0ELNS1_3repE0EEENS1_30default_config_static_selectorELNS0_4arch9wavefront6targetE1EEEvT1_ ; -- Begin function _ZN7rocprim17ROCPRIM_400000_NS6detail17trampoline_kernelINS0_14default_configENS1_35adjacent_difference_config_selectorILb0EdEEZNS1_24adjacent_difference_implIS3_Lb0ELb0EPKdPdN6thrust23THRUST_200600_302600_NS4plusIdEEEE10hipError_tPvRmT2_T3_mT4_P12ihipStream_tbEUlT_E_NS1_11comp_targetILNS1_3genE0ELNS1_11target_archE4294967295ELNS1_3gpuE0ELNS1_3repE0EEENS1_30default_config_static_selectorELNS0_4arch9wavefront6targetE1EEEvT1_
	.globl	_ZN7rocprim17ROCPRIM_400000_NS6detail17trampoline_kernelINS0_14default_configENS1_35adjacent_difference_config_selectorILb0EdEEZNS1_24adjacent_difference_implIS3_Lb0ELb0EPKdPdN6thrust23THRUST_200600_302600_NS4plusIdEEEE10hipError_tPvRmT2_T3_mT4_P12ihipStream_tbEUlT_E_NS1_11comp_targetILNS1_3genE0ELNS1_11target_archE4294967295ELNS1_3gpuE0ELNS1_3repE0EEENS1_30default_config_static_selectorELNS0_4arch9wavefront6targetE1EEEvT1_
	.p2align	8
	.type	_ZN7rocprim17ROCPRIM_400000_NS6detail17trampoline_kernelINS0_14default_configENS1_35adjacent_difference_config_selectorILb0EdEEZNS1_24adjacent_difference_implIS3_Lb0ELb0EPKdPdN6thrust23THRUST_200600_302600_NS4plusIdEEEE10hipError_tPvRmT2_T3_mT4_P12ihipStream_tbEUlT_E_NS1_11comp_targetILNS1_3genE0ELNS1_11target_archE4294967295ELNS1_3gpuE0ELNS1_3repE0EEENS1_30default_config_static_selectorELNS0_4arch9wavefront6targetE1EEEvT1_,@function
_ZN7rocprim17ROCPRIM_400000_NS6detail17trampoline_kernelINS0_14default_configENS1_35adjacent_difference_config_selectorILb0EdEEZNS1_24adjacent_difference_implIS3_Lb0ELb0EPKdPdN6thrust23THRUST_200600_302600_NS4plusIdEEEE10hipError_tPvRmT2_T3_mT4_P12ihipStream_tbEUlT_E_NS1_11comp_targetILNS1_3genE0ELNS1_11target_archE4294967295ELNS1_3gpuE0ELNS1_3repE0EEENS1_30default_config_static_selectorELNS0_4arch9wavefront6targetE1EEEvT1_: ; @_ZN7rocprim17ROCPRIM_400000_NS6detail17trampoline_kernelINS0_14default_configENS1_35adjacent_difference_config_selectorILb0EdEEZNS1_24adjacent_difference_implIS3_Lb0ELb0EPKdPdN6thrust23THRUST_200600_302600_NS4plusIdEEEE10hipError_tPvRmT2_T3_mT4_P12ihipStream_tbEUlT_E_NS1_11comp_targetILNS1_3genE0ELNS1_11target_archE4294967295ELNS1_3gpuE0ELNS1_3repE0EEENS1_30default_config_static_selectorELNS0_4arch9wavefront6targetE1EEEvT1_
; %bb.0:
	.section	.rodata,"a",@progbits
	.p2align	6, 0x0
	.amdhsa_kernel _ZN7rocprim17ROCPRIM_400000_NS6detail17trampoline_kernelINS0_14default_configENS1_35adjacent_difference_config_selectorILb0EdEEZNS1_24adjacent_difference_implIS3_Lb0ELb0EPKdPdN6thrust23THRUST_200600_302600_NS4plusIdEEEE10hipError_tPvRmT2_T3_mT4_P12ihipStream_tbEUlT_E_NS1_11comp_targetILNS1_3genE0ELNS1_11target_archE4294967295ELNS1_3gpuE0ELNS1_3repE0EEENS1_30default_config_static_selectorELNS0_4arch9wavefront6targetE1EEEvT1_
		.amdhsa_group_segment_fixed_size 0
		.amdhsa_private_segment_fixed_size 0
		.amdhsa_kernarg_size 56
		.amdhsa_user_sgpr_count 2
		.amdhsa_user_sgpr_dispatch_ptr 0
		.amdhsa_user_sgpr_queue_ptr 0
		.amdhsa_user_sgpr_kernarg_segment_ptr 1
		.amdhsa_user_sgpr_dispatch_id 0
		.amdhsa_user_sgpr_kernarg_preload_length 0
		.amdhsa_user_sgpr_kernarg_preload_offset 0
		.amdhsa_user_sgpr_private_segment_size 0
		.amdhsa_uses_dynamic_stack 0
		.amdhsa_enable_private_segment 0
		.amdhsa_system_sgpr_workgroup_id_x 1
		.amdhsa_system_sgpr_workgroup_id_y 0
		.amdhsa_system_sgpr_workgroup_id_z 0
		.amdhsa_system_sgpr_workgroup_info 0
		.amdhsa_system_vgpr_workitem_id 0
		.amdhsa_next_free_vgpr 1
		.amdhsa_next_free_sgpr 0
		.amdhsa_accum_offset 4
		.amdhsa_reserve_vcc 0
		.amdhsa_float_round_mode_32 0
		.amdhsa_float_round_mode_16_64 0
		.amdhsa_float_denorm_mode_32 3
		.amdhsa_float_denorm_mode_16_64 3
		.amdhsa_dx10_clamp 1
		.amdhsa_ieee_mode 1
		.amdhsa_fp16_overflow 0
		.amdhsa_tg_split 0
		.amdhsa_exception_fp_ieee_invalid_op 0
		.amdhsa_exception_fp_denorm_src 0
		.amdhsa_exception_fp_ieee_div_zero 0
		.amdhsa_exception_fp_ieee_overflow 0
		.amdhsa_exception_fp_ieee_underflow 0
		.amdhsa_exception_fp_ieee_inexact 0
		.amdhsa_exception_int_div_zero 0
	.end_amdhsa_kernel
	.section	.text._ZN7rocprim17ROCPRIM_400000_NS6detail17trampoline_kernelINS0_14default_configENS1_35adjacent_difference_config_selectorILb0EdEEZNS1_24adjacent_difference_implIS3_Lb0ELb0EPKdPdN6thrust23THRUST_200600_302600_NS4plusIdEEEE10hipError_tPvRmT2_T3_mT4_P12ihipStream_tbEUlT_E_NS1_11comp_targetILNS1_3genE0ELNS1_11target_archE4294967295ELNS1_3gpuE0ELNS1_3repE0EEENS1_30default_config_static_selectorELNS0_4arch9wavefront6targetE1EEEvT1_,"axG",@progbits,_ZN7rocprim17ROCPRIM_400000_NS6detail17trampoline_kernelINS0_14default_configENS1_35adjacent_difference_config_selectorILb0EdEEZNS1_24adjacent_difference_implIS3_Lb0ELb0EPKdPdN6thrust23THRUST_200600_302600_NS4plusIdEEEE10hipError_tPvRmT2_T3_mT4_P12ihipStream_tbEUlT_E_NS1_11comp_targetILNS1_3genE0ELNS1_11target_archE4294967295ELNS1_3gpuE0ELNS1_3repE0EEENS1_30default_config_static_selectorELNS0_4arch9wavefront6targetE1EEEvT1_,comdat
.Lfunc_end641:
	.size	_ZN7rocprim17ROCPRIM_400000_NS6detail17trampoline_kernelINS0_14default_configENS1_35adjacent_difference_config_selectorILb0EdEEZNS1_24adjacent_difference_implIS3_Lb0ELb0EPKdPdN6thrust23THRUST_200600_302600_NS4plusIdEEEE10hipError_tPvRmT2_T3_mT4_P12ihipStream_tbEUlT_E_NS1_11comp_targetILNS1_3genE0ELNS1_11target_archE4294967295ELNS1_3gpuE0ELNS1_3repE0EEENS1_30default_config_static_selectorELNS0_4arch9wavefront6targetE1EEEvT1_, .Lfunc_end641-_ZN7rocprim17ROCPRIM_400000_NS6detail17trampoline_kernelINS0_14default_configENS1_35adjacent_difference_config_selectorILb0EdEEZNS1_24adjacent_difference_implIS3_Lb0ELb0EPKdPdN6thrust23THRUST_200600_302600_NS4plusIdEEEE10hipError_tPvRmT2_T3_mT4_P12ihipStream_tbEUlT_E_NS1_11comp_targetILNS1_3genE0ELNS1_11target_archE4294967295ELNS1_3gpuE0ELNS1_3repE0EEENS1_30default_config_static_selectorELNS0_4arch9wavefront6targetE1EEEvT1_
                                        ; -- End function
	.section	.AMDGPU.csdata,"",@progbits
; Kernel info:
; codeLenInByte = 0
; NumSgprs: 6
; NumVgprs: 0
; NumAgprs: 0
; TotalNumVgprs: 0
; ScratchSize: 0
; MemoryBound: 0
; FloatMode: 240
; IeeeMode: 1
; LDSByteSize: 0 bytes/workgroup (compile time only)
; SGPRBlocks: 0
; VGPRBlocks: 0
; NumSGPRsForWavesPerEU: 6
; NumVGPRsForWavesPerEU: 1
; AccumOffset: 4
; Occupancy: 8
; WaveLimiterHint : 0
; COMPUTE_PGM_RSRC2:SCRATCH_EN: 0
; COMPUTE_PGM_RSRC2:USER_SGPR: 2
; COMPUTE_PGM_RSRC2:TRAP_HANDLER: 0
; COMPUTE_PGM_RSRC2:TGID_X_EN: 1
; COMPUTE_PGM_RSRC2:TGID_Y_EN: 0
; COMPUTE_PGM_RSRC2:TGID_Z_EN: 0
; COMPUTE_PGM_RSRC2:TIDIG_COMP_CNT: 0
; COMPUTE_PGM_RSRC3_GFX90A:ACCUM_OFFSET: 0
; COMPUTE_PGM_RSRC3_GFX90A:TG_SPLIT: 0
	.section	.text._ZN7rocprim17ROCPRIM_400000_NS6detail17trampoline_kernelINS0_14default_configENS1_35adjacent_difference_config_selectorILb0EdEEZNS1_24adjacent_difference_implIS3_Lb0ELb0EPKdPdN6thrust23THRUST_200600_302600_NS4plusIdEEEE10hipError_tPvRmT2_T3_mT4_P12ihipStream_tbEUlT_E_NS1_11comp_targetILNS1_3genE10ELNS1_11target_archE1201ELNS1_3gpuE5ELNS1_3repE0EEENS1_30default_config_static_selectorELNS0_4arch9wavefront6targetE1EEEvT1_,"axG",@progbits,_ZN7rocprim17ROCPRIM_400000_NS6detail17trampoline_kernelINS0_14default_configENS1_35adjacent_difference_config_selectorILb0EdEEZNS1_24adjacent_difference_implIS3_Lb0ELb0EPKdPdN6thrust23THRUST_200600_302600_NS4plusIdEEEE10hipError_tPvRmT2_T3_mT4_P12ihipStream_tbEUlT_E_NS1_11comp_targetILNS1_3genE10ELNS1_11target_archE1201ELNS1_3gpuE5ELNS1_3repE0EEENS1_30default_config_static_selectorELNS0_4arch9wavefront6targetE1EEEvT1_,comdat
	.protected	_ZN7rocprim17ROCPRIM_400000_NS6detail17trampoline_kernelINS0_14default_configENS1_35adjacent_difference_config_selectorILb0EdEEZNS1_24adjacent_difference_implIS3_Lb0ELb0EPKdPdN6thrust23THRUST_200600_302600_NS4plusIdEEEE10hipError_tPvRmT2_T3_mT4_P12ihipStream_tbEUlT_E_NS1_11comp_targetILNS1_3genE10ELNS1_11target_archE1201ELNS1_3gpuE5ELNS1_3repE0EEENS1_30default_config_static_selectorELNS0_4arch9wavefront6targetE1EEEvT1_ ; -- Begin function _ZN7rocprim17ROCPRIM_400000_NS6detail17trampoline_kernelINS0_14default_configENS1_35adjacent_difference_config_selectorILb0EdEEZNS1_24adjacent_difference_implIS3_Lb0ELb0EPKdPdN6thrust23THRUST_200600_302600_NS4plusIdEEEE10hipError_tPvRmT2_T3_mT4_P12ihipStream_tbEUlT_E_NS1_11comp_targetILNS1_3genE10ELNS1_11target_archE1201ELNS1_3gpuE5ELNS1_3repE0EEENS1_30default_config_static_selectorELNS0_4arch9wavefront6targetE1EEEvT1_
	.globl	_ZN7rocprim17ROCPRIM_400000_NS6detail17trampoline_kernelINS0_14default_configENS1_35adjacent_difference_config_selectorILb0EdEEZNS1_24adjacent_difference_implIS3_Lb0ELb0EPKdPdN6thrust23THRUST_200600_302600_NS4plusIdEEEE10hipError_tPvRmT2_T3_mT4_P12ihipStream_tbEUlT_E_NS1_11comp_targetILNS1_3genE10ELNS1_11target_archE1201ELNS1_3gpuE5ELNS1_3repE0EEENS1_30default_config_static_selectorELNS0_4arch9wavefront6targetE1EEEvT1_
	.p2align	8
	.type	_ZN7rocprim17ROCPRIM_400000_NS6detail17trampoline_kernelINS0_14default_configENS1_35adjacent_difference_config_selectorILb0EdEEZNS1_24adjacent_difference_implIS3_Lb0ELb0EPKdPdN6thrust23THRUST_200600_302600_NS4plusIdEEEE10hipError_tPvRmT2_T3_mT4_P12ihipStream_tbEUlT_E_NS1_11comp_targetILNS1_3genE10ELNS1_11target_archE1201ELNS1_3gpuE5ELNS1_3repE0EEENS1_30default_config_static_selectorELNS0_4arch9wavefront6targetE1EEEvT1_,@function
_ZN7rocprim17ROCPRIM_400000_NS6detail17trampoline_kernelINS0_14default_configENS1_35adjacent_difference_config_selectorILb0EdEEZNS1_24adjacent_difference_implIS3_Lb0ELb0EPKdPdN6thrust23THRUST_200600_302600_NS4plusIdEEEE10hipError_tPvRmT2_T3_mT4_P12ihipStream_tbEUlT_E_NS1_11comp_targetILNS1_3genE10ELNS1_11target_archE1201ELNS1_3gpuE5ELNS1_3repE0EEENS1_30default_config_static_selectorELNS0_4arch9wavefront6targetE1EEEvT1_: ; @_ZN7rocprim17ROCPRIM_400000_NS6detail17trampoline_kernelINS0_14default_configENS1_35adjacent_difference_config_selectorILb0EdEEZNS1_24adjacent_difference_implIS3_Lb0ELb0EPKdPdN6thrust23THRUST_200600_302600_NS4plusIdEEEE10hipError_tPvRmT2_T3_mT4_P12ihipStream_tbEUlT_E_NS1_11comp_targetILNS1_3genE10ELNS1_11target_archE1201ELNS1_3gpuE5ELNS1_3repE0EEENS1_30default_config_static_selectorELNS0_4arch9wavefront6targetE1EEEvT1_
; %bb.0:
	.section	.rodata,"a",@progbits
	.p2align	6, 0x0
	.amdhsa_kernel _ZN7rocprim17ROCPRIM_400000_NS6detail17trampoline_kernelINS0_14default_configENS1_35adjacent_difference_config_selectorILb0EdEEZNS1_24adjacent_difference_implIS3_Lb0ELb0EPKdPdN6thrust23THRUST_200600_302600_NS4plusIdEEEE10hipError_tPvRmT2_T3_mT4_P12ihipStream_tbEUlT_E_NS1_11comp_targetILNS1_3genE10ELNS1_11target_archE1201ELNS1_3gpuE5ELNS1_3repE0EEENS1_30default_config_static_selectorELNS0_4arch9wavefront6targetE1EEEvT1_
		.amdhsa_group_segment_fixed_size 0
		.amdhsa_private_segment_fixed_size 0
		.amdhsa_kernarg_size 56
		.amdhsa_user_sgpr_count 2
		.amdhsa_user_sgpr_dispatch_ptr 0
		.amdhsa_user_sgpr_queue_ptr 0
		.amdhsa_user_sgpr_kernarg_segment_ptr 1
		.amdhsa_user_sgpr_dispatch_id 0
		.amdhsa_user_sgpr_kernarg_preload_length 0
		.amdhsa_user_sgpr_kernarg_preload_offset 0
		.amdhsa_user_sgpr_private_segment_size 0
		.amdhsa_uses_dynamic_stack 0
		.amdhsa_enable_private_segment 0
		.amdhsa_system_sgpr_workgroup_id_x 1
		.amdhsa_system_sgpr_workgroup_id_y 0
		.amdhsa_system_sgpr_workgroup_id_z 0
		.amdhsa_system_sgpr_workgroup_info 0
		.amdhsa_system_vgpr_workitem_id 0
		.amdhsa_next_free_vgpr 1
		.amdhsa_next_free_sgpr 0
		.amdhsa_accum_offset 4
		.amdhsa_reserve_vcc 0
		.amdhsa_float_round_mode_32 0
		.amdhsa_float_round_mode_16_64 0
		.amdhsa_float_denorm_mode_32 3
		.amdhsa_float_denorm_mode_16_64 3
		.amdhsa_dx10_clamp 1
		.amdhsa_ieee_mode 1
		.amdhsa_fp16_overflow 0
		.amdhsa_tg_split 0
		.amdhsa_exception_fp_ieee_invalid_op 0
		.amdhsa_exception_fp_denorm_src 0
		.amdhsa_exception_fp_ieee_div_zero 0
		.amdhsa_exception_fp_ieee_overflow 0
		.amdhsa_exception_fp_ieee_underflow 0
		.amdhsa_exception_fp_ieee_inexact 0
		.amdhsa_exception_int_div_zero 0
	.end_amdhsa_kernel
	.section	.text._ZN7rocprim17ROCPRIM_400000_NS6detail17trampoline_kernelINS0_14default_configENS1_35adjacent_difference_config_selectorILb0EdEEZNS1_24adjacent_difference_implIS3_Lb0ELb0EPKdPdN6thrust23THRUST_200600_302600_NS4plusIdEEEE10hipError_tPvRmT2_T3_mT4_P12ihipStream_tbEUlT_E_NS1_11comp_targetILNS1_3genE10ELNS1_11target_archE1201ELNS1_3gpuE5ELNS1_3repE0EEENS1_30default_config_static_selectorELNS0_4arch9wavefront6targetE1EEEvT1_,"axG",@progbits,_ZN7rocprim17ROCPRIM_400000_NS6detail17trampoline_kernelINS0_14default_configENS1_35adjacent_difference_config_selectorILb0EdEEZNS1_24adjacent_difference_implIS3_Lb0ELb0EPKdPdN6thrust23THRUST_200600_302600_NS4plusIdEEEE10hipError_tPvRmT2_T3_mT4_P12ihipStream_tbEUlT_E_NS1_11comp_targetILNS1_3genE10ELNS1_11target_archE1201ELNS1_3gpuE5ELNS1_3repE0EEENS1_30default_config_static_selectorELNS0_4arch9wavefront6targetE1EEEvT1_,comdat
.Lfunc_end642:
	.size	_ZN7rocprim17ROCPRIM_400000_NS6detail17trampoline_kernelINS0_14default_configENS1_35adjacent_difference_config_selectorILb0EdEEZNS1_24adjacent_difference_implIS3_Lb0ELb0EPKdPdN6thrust23THRUST_200600_302600_NS4plusIdEEEE10hipError_tPvRmT2_T3_mT4_P12ihipStream_tbEUlT_E_NS1_11comp_targetILNS1_3genE10ELNS1_11target_archE1201ELNS1_3gpuE5ELNS1_3repE0EEENS1_30default_config_static_selectorELNS0_4arch9wavefront6targetE1EEEvT1_, .Lfunc_end642-_ZN7rocprim17ROCPRIM_400000_NS6detail17trampoline_kernelINS0_14default_configENS1_35adjacent_difference_config_selectorILb0EdEEZNS1_24adjacent_difference_implIS3_Lb0ELb0EPKdPdN6thrust23THRUST_200600_302600_NS4plusIdEEEE10hipError_tPvRmT2_T3_mT4_P12ihipStream_tbEUlT_E_NS1_11comp_targetILNS1_3genE10ELNS1_11target_archE1201ELNS1_3gpuE5ELNS1_3repE0EEENS1_30default_config_static_selectorELNS0_4arch9wavefront6targetE1EEEvT1_
                                        ; -- End function
	.section	.AMDGPU.csdata,"",@progbits
; Kernel info:
; codeLenInByte = 0
; NumSgprs: 6
; NumVgprs: 0
; NumAgprs: 0
; TotalNumVgprs: 0
; ScratchSize: 0
; MemoryBound: 0
; FloatMode: 240
; IeeeMode: 1
; LDSByteSize: 0 bytes/workgroup (compile time only)
; SGPRBlocks: 0
; VGPRBlocks: 0
; NumSGPRsForWavesPerEU: 6
; NumVGPRsForWavesPerEU: 1
; AccumOffset: 4
; Occupancy: 8
; WaveLimiterHint : 0
; COMPUTE_PGM_RSRC2:SCRATCH_EN: 0
; COMPUTE_PGM_RSRC2:USER_SGPR: 2
; COMPUTE_PGM_RSRC2:TRAP_HANDLER: 0
; COMPUTE_PGM_RSRC2:TGID_X_EN: 1
; COMPUTE_PGM_RSRC2:TGID_Y_EN: 0
; COMPUTE_PGM_RSRC2:TGID_Z_EN: 0
; COMPUTE_PGM_RSRC2:TIDIG_COMP_CNT: 0
; COMPUTE_PGM_RSRC3_GFX90A:ACCUM_OFFSET: 0
; COMPUTE_PGM_RSRC3_GFX90A:TG_SPLIT: 0
	.section	.text._ZN7rocprim17ROCPRIM_400000_NS6detail17trampoline_kernelINS0_14default_configENS1_35adjacent_difference_config_selectorILb0EdEEZNS1_24adjacent_difference_implIS3_Lb0ELb0EPKdPdN6thrust23THRUST_200600_302600_NS4plusIdEEEE10hipError_tPvRmT2_T3_mT4_P12ihipStream_tbEUlT_E_NS1_11comp_targetILNS1_3genE5ELNS1_11target_archE942ELNS1_3gpuE9ELNS1_3repE0EEENS1_30default_config_static_selectorELNS0_4arch9wavefront6targetE1EEEvT1_,"axG",@progbits,_ZN7rocprim17ROCPRIM_400000_NS6detail17trampoline_kernelINS0_14default_configENS1_35adjacent_difference_config_selectorILb0EdEEZNS1_24adjacent_difference_implIS3_Lb0ELb0EPKdPdN6thrust23THRUST_200600_302600_NS4plusIdEEEE10hipError_tPvRmT2_T3_mT4_P12ihipStream_tbEUlT_E_NS1_11comp_targetILNS1_3genE5ELNS1_11target_archE942ELNS1_3gpuE9ELNS1_3repE0EEENS1_30default_config_static_selectorELNS0_4arch9wavefront6targetE1EEEvT1_,comdat
	.protected	_ZN7rocprim17ROCPRIM_400000_NS6detail17trampoline_kernelINS0_14default_configENS1_35adjacent_difference_config_selectorILb0EdEEZNS1_24adjacent_difference_implIS3_Lb0ELb0EPKdPdN6thrust23THRUST_200600_302600_NS4plusIdEEEE10hipError_tPvRmT2_T3_mT4_P12ihipStream_tbEUlT_E_NS1_11comp_targetILNS1_3genE5ELNS1_11target_archE942ELNS1_3gpuE9ELNS1_3repE0EEENS1_30default_config_static_selectorELNS0_4arch9wavefront6targetE1EEEvT1_ ; -- Begin function _ZN7rocprim17ROCPRIM_400000_NS6detail17trampoline_kernelINS0_14default_configENS1_35adjacent_difference_config_selectorILb0EdEEZNS1_24adjacent_difference_implIS3_Lb0ELb0EPKdPdN6thrust23THRUST_200600_302600_NS4plusIdEEEE10hipError_tPvRmT2_T3_mT4_P12ihipStream_tbEUlT_E_NS1_11comp_targetILNS1_3genE5ELNS1_11target_archE942ELNS1_3gpuE9ELNS1_3repE0EEENS1_30default_config_static_selectorELNS0_4arch9wavefront6targetE1EEEvT1_
	.globl	_ZN7rocprim17ROCPRIM_400000_NS6detail17trampoline_kernelINS0_14default_configENS1_35adjacent_difference_config_selectorILb0EdEEZNS1_24adjacent_difference_implIS3_Lb0ELb0EPKdPdN6thrust23THRUST_200600_302600_NS4plusIdEEEE10hipError_tPvRmT2_T3_mT4_P12ihipStream_tbEUlT_E_NS1_11comp_targetILNS1_3genE5ELNS1_11target_archE942ELNS1_3gpuE9ELNS1_3repE0EEENS1_30default_config_static_selectorELNS0_4arch9wavefront6targetE1EEEvT1_
	.p2align	8
	.type	_ZN7rocprim17ROCPRIM_400000_NS6detail17trampoline_kernelINS0_14default_configENS1_35adjacent_difference_config_selectorILb0EdEEZNS1_24adjacent_difference_implIS3_Lb0ELb0EPKdPdN6thrust23THRUST_200600_302600_NS4plusIdEEEE10hipError_tPvRmT2_T3_mT4_P12ihipStream_tbEUlT_E_NS1_11comp_targetILNS1_3genE5ELNS1_11target_archE942ELNS1_3gpuE9ELNS1_3repE0EEENS1_30default_config_static_selectorELNS0_4arch9wavefront6targetE1EEEvT1_,@function
_ZN7rocprim17ROCPRIM_400000_NS6detail17trampoline_kernelINS0_14default_configENS1_35adjacent_difference_config_selectorILb0EdEEZNS1_24adjacent_difference_implIS3_Lb0ELb0EPKdPdN6thrust23THRUST_200600_302600_NS4plusIdEEEE10hipError_tPvRmT2_T3_mT4_P12ihipStream_tbEUlT_E_NS1_11comp_targetILNS1_3genE5ELNS1_11target_archE942ELNS1_3gpuE9ELNS1_3repE0EEENS1_30default_config_static_selectorELNS0_4arch9wavefront6targetE1EEEvT1_: ; @_ZN7rocprim17ROCPRIM_400000_NS6detail17trampoline_kernelINS0_14default_configENS1_35adjacent_difference_config_selectorILb0EdEEZNS1_24adjacent_difference_implIS3_Lb0ELb0EPKdPdN6thrust23THRUST_200600_302600_NS4plusIdEEEE10hipError_tPvRmT2_T3_mT4_P12ihipStream_tbEUlT_E_NS1_11comp_targetILNS1_3genE5ELNS1_11target_archE942ELNS1_3gpuE9ELNS1_3repE0EEENS1_30default_config_static_selectorELNS0_4arch9wavefront6targetE1EEEvT1_
; %bb.0:
	s_load_dwordx8 s[4:11], s[0:1], 0x0
	s_mov_b32 s12, 0xcec4e8e0
	v_bfrev_b32_e32 v1, 1
	s_movk_i32 s3, 0x340
	s_load_dwordx2 s[0:1], s[0:1], 0x30
	s_waitcnt lgkmcnt(0)
	s_lshl_b64 s[6:7], s[6:7], 3
	s_add_u32 s20, s4, s6
	s_addc_u32 s21, s5, s7
	s_add_u32 s12, 0x150, s12
	s_addc_u32 s13, 0, 0
	v_add_co_u32_e32 v1, vcc, s12, v1
	s_cmp_lg_u64 vcc, 0
	v_readfirstlane_b32 s14, v1
	s_addc_u32 s12, s13, 0x4ec4eb
	s_mul_hi_u32 s15, s14, 0xfffffcc0
	s_mul_i32 s13, s12, 0xfffffcc0
	s_sub_i32 s15, s15, s14
	s_add_i32 s15, s15, s13
	s_mul_i32 s17, s14, 0xfffffcc0
	s_mul_hi_u32 s13, s14, s15
	s_mul_i32 s16, s14, s15
	s_mul_hi_u32 s14, s14, s17
	s_add_u32 s14, s14, s16
	s_addc_u32 s13, 0, s13
	s_mul_hi_u32 s18, s12, s17
	s_mul_i32 s17, s12, s17
	s_add_u32 s14, s14, s17
	s_mul_hi_u32 s16, s12, s15
	s_addc_u32 s13, s13, s18
	s_addc_u32 s14, s16, 0
	s_mul_i32 s15, s12, s15
	s_add_u32 s13, s13, s15
	s_addc_u32 s14, 0, s14
	v_add_co_u32_e32 v1, vcc, s13, v1
	s_cmp_lg_u64 vcc, 0
	s_addc_u32 s12, s12, s14
	v_readfirstlane_b32 s15, v1
	s_mul_i32 s14, s10, s12
	s_mul_hi_u32 s16, s10, s15
	s_mul_hi_u32 s13, s10, s12
	s_add_u32 s14, s16, s14
	s_addc_u32 s13, 0, s13
	s_mul_hi_u32 s17, s11, s15
	s_mul_i32 s15, s11, s15
	s_add_u32 s14, s14, s15
	s_mul_hi_u32 s16, s11, s12
	s_addc_u32 s13, s13, s17
	s_addc_u32 s14, s16, 0
	s_mul_i32 s12, s11, s12
	s_add_u32 s12, s13, s12
	s_addc_u32 s13, 0, s14
	s_add_u32 s14, s12, 1
	s_addc_u32 s15, s13, 0
	s_add_u32 s16, s12, 2
	s_mul_i32 s18, s13, 0x340
	s_mul_hi_u32 s19, s12, 0x340
	s_addc_u32 s17, s13, 0
	s_add_i32 s19, s19, s18
	s_mul_i32 s18, s12, 0x340
	v_mov_b32_e32 v1, s18
	v_sub_co_u32_e32 v1, vcc, s10, v1
	s_cmp_lg_u64 vcc, 0
	s_subb_u32 s18, s11, s19
	v_subrev_co_u32_e32 v2, vcc, s3, v1
	s_cmp_lg_u64 vcc, 0
	s_subb_u32 s3, s18, 0
	v_readfirstlane_b32 s19, v2
	s_cmpk_gt_u32 s19, 0x33f
	s_cselect_b32 s19, -1, 0
	s_cmp_eq_u32 s3, 0
	s_cselect_b32 s3, s19, -1
	s_cmp_lg_u32 s3, 0
	s_cselect_b32 s3, s16, s14
	s_cselect_b32 s14, s17, s15
	v_readfirstlane_b32 s15, v1
	s_cmpk_gt_u32 s15, 0x33f
	s_cselect_b32 s15, -1, 0
	s_cmp_eq_u32 s18, 0
	s_cselect_b32 s15, s15, -1
	s_cmp_lg_u32 s15, 0
	s_cselect_b32 s14, s14, s13
	s_cselect_b32 s3, s3, s12
	s_mul_i32 s12, s14, 0x340
	s_mul_hi_u32 s13, s3, 0x340
	s_add_i32 s13, s13, s12
	s_mul_i32 s12, s3, 0x340
	s_sub_u32 s12, s10, s12
	s_subb_u32 s13, s11, s13
	s_cmp_lg_u64 s[12:13], 0
	s_cselect_b64 s[12:13], -1, 0
	v_cndmask_b32_e64 v1, 0, 1, s[12:13]
	s_mul_i32 s4, s2, 0x340
	v_readfirstlane_b32 s11, v1
	s_add_u32 s12, s3, s11
	s_addc_u32 s13, s14, 0
	s_add_u32 s2, s0, s2
	s_addc_u32 s3, s1, 0
	s_add_u32 s14, s12, -1
	s_addc_u32 s15, s13, -1
	v_mov_b64_e32 v[2:3], s[14:15]
	v_cmp_ge_u64_e64 s[0:1], s[2:3], v[2:3]
	s_mov_b32 s5, 0
	s_mov_b64 s[16:17], -1
	s_and_b64 vcc, exec, s[0:1]
	s_mul_i32 s11, s14, 0xfffffcc0
	s_cbranch_vccz .LBB643_28
; %bb.1:
	s_add_i32 s22, s11, s10
	s_lshl_b64 s[16:17], s[4:5], 3
	s_add_u32 s16, s20, s16
	s_addc_u32 s17, s21, s17
	v_cmp_gt_u32_e32 vcc, s22, v0
                                        ; implicit-def: $vgpr2_vgpr3_vgpr4_vgpr5_vgpr6_vgpr7_vgpr8_vgpr9_vgpr10_vgpr11_vgpr12_vgpr13_vgpr14_vgpr15_vgpr16_vgpr17_vgpr18_vgpr19_vgpr20_vgpr21_vgpr22_vgpr23_vgpr24_vgpr25_vgpr26_vgpr27_vgpr28_vgpr29_vgpr30_vgpr31_vgpr32_vgpr33
	s_and_saveexec_b64 s[18:19], vcc
	s_cbranch_execz .LBB643_3
; %bb.2:
	v_lshlrev_b32_e32 v1, 3, v0
	global_load_dwordx2 v[2:3], v1, s[16:17]
.LBB643_3:
	s_or_b64 exec, exec, s[18:19]
	v_or_b32_e32 v1, 64, v0
	v_cmp_gt_u32_e32 vcc, s22, v1
	s_and_saveexec_b64 s[18:19], vcc
	s_cbranch_execz .LBB643_5
; %bb.4:
	v_lshlrev_b32_e32 v1, 3, v0
	global_load_dwordx2 v[4:5], v1, s[16:17] offset:512
.LBB643_5:
	s_or_b64 exec, exec, s[18:19]
	v_or_b32_e32 v1, 0x80, v0
	v_cmp_gt_u32_e32 vcc, s22, v1
	s_and_saveexec_b64 s[18:19], vcc
	s_cbranch_execz .LBB643_7
; %bb.6:
	v_lshlrev_b32_e32 v1, 3, v0
	global_load_dwordx2 v[6:7], v1, s[16:17] offset:1024
.LBB643_7:
	;; [unrolled: 9-line block ×7, first 2 shown]
	s_or_b64 exec, exec, s[18:19]
	v_or_b32_e32 v1, 0x200, v0
	v_cmp_gt_u32_e32 vcc, s22, v1
	s_and_saveexec_b64 s[18:19], vcc
	s_cbranch_execz .LBB643_19
; %bb.18:
	v_lshlrev_b32_e32 v1, 3, v1
	global_load_dwordx2 v[18:19], v1, s[16:17]
.LBB643_19:
	s_or_b64 exec, exec, s[18:19]
	v_or_b32_e32 v1, 0x240, v0
	v_cmp_gt_u32_e32 vcc, s22, v1
	s_and_saveexec_b64 s[18:19], vcc
	s_cbranch_execz .LBB643_21
; %bb.20:
	v_lshlrev_b32_e32 v1, 3, v1
	global_load_dwordx2 v[20:21], v1, s[16:17]
.LBB643_21:
	;; [unrolled: 9-line block ×5, first 2 shown]
	s_or_b64 exec, exec, s[18:19]
	v_lshlrev_b32_e32 v1, 3, v0
	s_mov_b64 s[16:17], 0
	s_waitcnt vmcnt(0)
	ds_write2st64_b64 v1, v[2:3], v[4:5] offset1:1
	ds_write2st64_b64 v1, v[6:7], v[8:9] offset0:2 offset1:3
	ds_write2st64_b64 v1, v[10:11], v[12:13] offset0:4 offset1:5
	;; [unrolled: 1-line block ×5, first 2 shown]
	ds_write_b64 v1, v[26:27] offset:6144
	s_waitcnt lgkmcnt(0)
	; wave barrier
.LBB643_28:
	s_and_b64 vcc, exec, s[16:17]
	v_lshlrev_b32_e32 v52, 3, v0
	s_cbranch_vccz .LBB643_30
; %bb.29:
	s_lshl_b64 s[16:17], s[4:5], 3
	s_add_u32 s16, s20, s16
	s_addc_u32 s17, s21, s17
	v_mov_b32_e32 v53, 0
	v_lshl_add_u64 v[2:3], s[16:17], 0, v[52:53]
	s_movk_i32 s5, 0x1000
	v_add_co_u32_e32 v2, vcc, s5, v2
	global_load_dwordx2 v[4:5], v52, s[16:17]
	global_load_dwordx2 v[6:7], v52, s[16:17] offset:512
	global_load_dwordx2 v[8:9], v52, s[16:17] offset:1024
	;; [unrolled: 1-line block ×7, first 2 shown]
	v_addc_co_u32_e32 v3, vcc, 0, v3, vcc
	global_load_dwordx2 v[20:21], v[2:3], off
	global_load_dwordx2 v[22:23], v[2:3], off offset:512
	global_load_dwordx2 v[24:25], v[2:3], off offset:1024
	;; [unrolled: 1-line block ×4, first 2 shown]
	s_waitcnt vmcnt(11)
	ds_write2st64_b64 v52, v[4:5], v[6:7] offset1:1
	s_waitcnt vmcnt(9)
	ds_write2st64_b64 v52, v[8:9], v[10:11] offset0:2 offset1:3
	s_waitcnt vmcnt(7)
	ds_write2st64_b64 v52, v[12:13], v[14:15] offset0:4 offset1:5
	;; [unrolled: 2-line block ×5, first 2 shown]
	s_waitcnt vmcnt(0)
	ds_write_b64 v52, v[28:29] offset:6144
	s_waitcnt lgkmcnt(0)
	; wave barrier
.LBB643_30:
	v_mul_u32_u24_e32 v1, 13, v0
	v_lshlrev_b32_e32 v1, 3, v1
	s_waitcnt lgkmcnt(0)
	ds_read2_b64 v[24:27], v1 offset1:1
	ds_read2_b64 v[32:35], v1 offset0:2 offset1:3
	ds_read2_b64 v[36:39], v1 offset0:4 offset1:5
	;; [unrolled: 1-line block ×5, first 2 shown]
	ds_read_b64 v[66:67], v1 offset:96
	s_cmp_eq_u64 s[2:3], 0
	s_waitcnt lgkmcnt(0)
	; wave barrier
	s_waitcnt lgkmcnt(0)
	s_cbranch_scc1 .LBB643_35
; %bb.31:
	s_mov_b32 s5, 0
	s_lshl_b64 s[16:17], s[4:5], 3
	s_add_u32 s5, s20, s16
	s_addc_u32 s17, s21, s17
	s_add_u32 s16, s5, -8
	s_addc_u32 s17, s17, -1
	s_load_dwordx2 s[16:17], s[16:17], 0x0
	s_cmp_eq_u64 s[2:3], s[14:15]
	s_cbranch_scc1 .LBB643_36
; %bb.32:
	v_cmp_ne_u32_e32 vcc, 0, v0
	s_waitcnt lgkmcnt(0)
	v_mov_b64_e32 v[4:5], s[16:17]
	ds_write_b64 v52, v[66:67]
	s_waitcnt lgkmcnt(0)
	; wave barrier
	s_waitcnt lgkmcnt(0)
	s_and_saveexec_b64 s[14:15], vcc
	s_cbranch_execz .LBB643_34
; %bb.33:
	v_add_u32_e32 v1, -8, v52
	ds_read_b64 v[4:5], v1
.LBB643_34:
	s_or_b64 exec, exec, s[14:15]
	v_add_f64 v[54:55], v[50:51], v[66:67]
	v_add_f64 v[56:57], v[48:49], v[50:51]
	;; [unrolled: 1-line block ×12, first 2 shown]
	s_waitcnt lgkmcnt(0)
	v_add_f64 v[28:29], v[24:25], v[4:5]
	s_branch .LBB643_40
.LBB643_35:
                                        ; implicit-def: $vgpr2_vgpr3_vgpr4_vgpr5
                                        ; implicit-def: $vgpr54_vgpr55
                                        ; implicit-def: $vgpr56_vgpr57
                                        ; implicit-def: $vgpr28_vgpr29
                                        ; implicit-def: $vgpr64_vgpr65
                                        ; implicit-def: $vgpr62_vgpr63
                                        ; implicit-def: $vgpr60_vgpr61
                                        ; implicit-def: $vgpr58_vgpr59
                                        ; implicit-def: $vgpr4_vgpr5_vgpr6_vgpr7
                                        ; implicit-def: $vgpr8_vgpr9_vgpr10_vgpr11
                                        ; implicit-def: $vgpr12_vgpr13_vgpr14_vgpr15
                                        ; implicit-def: $vgpr16_vgpr17_vgpr18_vgpr19
                                        ; implicit-def: $vgpr20_vgpr21_vgpr22_vgpr23
	s_branch .LBB643_41
.LBB643_36:
                                        ; implicit-def: $vgpr2_vgpr3_vgpr4_vgpr5
                                        ; implicit-def: $vgpr54_vgpr55
                                        ; implicit-def: $vgpr56_vgpr57
                                        ; implicit-def: $vgpr28_vgpr29
                                        ; implicit-def: $vgpr64_vgpr65
                                        ; implicit-def: $vgpr62_vgpr63
                                        ; implicit-def: $vgpr60_vgpr61
                                        ; implicit-def: $vgpr58_vgpr59
                                        ; implicit-def: $vgpr4_vgpr5_vgpr6_vgpr7
                                        ; implicit-def: $vgpr8_vgpr9_vgpr10_vgpr11
                                        ; implicit-def: $vgpr12_vgpr13_vgpr14_vgpr15
                                        ; implicit-def: $vgpr16_vgpr17_vgpr18_vgpr19
                                        ; implicit-def: $vgpr20_vgpr21_vgpr22_vgpr23
	s_cbranch_execz .LBB643_40
; %bb.37:
	v_mul_u32_u24_e32 v1, 13, v0
	v_cmp_ne_u32_e32 vcc, 0, v0
	s_waitcnt lgkmcnt(0)
	v_mov_b64_e32 v[4:5], s[16:17]
	ds_write_b64 v52, v[66:67]
	s_waitcnt lgkmcnt(0)
	; wave barrier
	s_waitcnt lgkmcnt(0)
	s_and_saveexec_b64 s[14:15], vcc
	s_cbranch_execz .LBB643_39
; %bb.38:
	v_add_u32_e32 v2, -8, v52
	ds_read_b64 v[4:5], v2
.LBB643_39:
	s_or_b64 exec, exec, s[14:15]
	s_mulk_i32 s2, 0xfcc0
	s_add_i32 s2, s2, s10
	v_add_u32_e32 v6, 12, v1
	v_add_f64 v[2:3], v[50:51], v[66:67]
	v_cmp_gt_u32_e32 vcc, s2, v6
	v_add_u32_e32 v6, 11, v1
	v_add_u32_e32 v8, 9, v1
	v_cndmask_b32_e32 v55, v67, v3, vcc
	v_cndmask_b32_e32 v54, v66, v2, vcc
	v_add_f64 v[2:3], v[48:49], v[50:51]
	v_cmp_gt_u32_e32 vcc, s2, v6
	v_add_u32_e32 v6, 10, v1
	v_add_u32_e32 v10, 8, v1
	v_cndmask_b32_e32 v57, v51, v3, vcc
	v_cndmask_b32_e32 v56, v50, v2, vcc
	v_add_f64 v[2:3], v[46:47], v[48:49]
	v_cmp_gt_u32_e32 vcc, s2, v6
	v_add_f64 v[6:7], v[44:45], v[46:47]
	v_add_u32_e32 v12, 6, v1
	v_cndmask_b32_e32 v3, v49, v3, vcc
	v_cndmask_b32_e32 v2, v48, v2, vcc
	v_cmp_gt_u32_e32 vcc, s2, v8
	v_add_f64 v[8:9], v[42:43], v[44:45]
	s_waitcnt lgkmcnt(0)
	v_add_f64 v[4:5], v[24:25], v[4:5]
	v_cndmask_b32_e32 v7, v47, v7, vcc
	v_cndmask_b32_e32 v6, v46, v6, vcc
	v_cmp_gt_u32_e32 vcc, s2, v10
	v_add_u32_e32 v10, 7, v1
	s_nop 0
	v_cndmask_b32_e32 v59, v45, v9, vcc
	v_cndmask_b32_e32 v58, v44, v8, vcc
	v_add_f64 v[8:9], v[40:41], v[42:43]
	v_cmp_gt_u32_e32 vcc, s2, v10
	s_nop 1
	v_cndmask_b32_e32 v11, v43, v9, vcc
	v_cndmask_b32_e32 v10, v42, v8, vcc
	v_add_f64 v[8:9], v[38:39], v[40:41]
	v_cmp_gt_u32_e32 vcc, s2, v12
	v_add_u32_e32 v12, 5, v1
	s_nop 0
	v_cndmask_b32_e32 v61, v41, v9, vcc
	v_cndmask_b32_e32 v60, v40, v8, vcc
	v_add_f64 v[8:9], v[36:37], v[38:39]
	v_cmp_gt_u32_e32 vcc, s2, v12
	v_add_u32_e32 v12, 4, v1
	;; [unrolled: 6-line block ×5, first 2 shown]
	s_nop 0
	v_cndmask_b32_e32 v65, v33, v9, vcc
	v_cndmask_b32_e32 v64, v32, v8, vcc
	v_add_f64 v[8:9], v[24:25], v[26:27]
	v_cmp_gt_u32_e32 vcc, s2, v12
	s_nop 1
	v_cndmask_b32_e32 v23, v27, v9, vcc
	v_cndmask_b32_e32 v22, v26, v8, vcc
	v_cmp_gt_u32_e32 vcc, s2, v1
	s_nop 1
	v_cndmask_b32_e32 v29, v25, v5, vcc
	v_cndmask_b32_e32 v28, v24, v4, vcc
.LBB643_40:
	s_cbranch_execnz .LBB643_49
.LBB643_41:
	s_cmp_eq_u64 s[12:13], 1
	v_add_f64 v[54:55], v[50:51], v[66:67]
	v_add_f64 v[56:57], v[48:49], v[50:51]
	;; [unrolled: 1-line block ×12, first 2 shown]
	v_cmp_ne_u32_e32 vcc, 0, v0
	s_cbranch_scc1 .LBB643_45
; %bb.42:
	v_mov_b64_e32 v[28:29], v[24:25]
	ds_write_b64 v52, v[66:67]
	s_waitcnt lgkmcnt(0)
	; wave barrier
	s_waitcnt lgkmcnt(0)
	s_and_saveexec_b64 s[2:3], vcc
	s_cbranch_execz .LBB643_44
; %bb.43:
	v_add_u32_e32 v1, -8, v52
	ds_read_b64 v[4:5], v1
	s_waitcnt lgkmcnt(0)
	v_add_f64 v[28:29], v[24:25], v[4:5]
.LBB643_44:
	s_or_b64 exec, exec, s[2:3]
	s_cbranch_execz .LBB643_46
	s_branch .LBB643_49
.LBB643_45:
                                        ; implicit-def: $vgpr28_vgpr29_vgpr30_vgpr31
.LBB643_46:
	v_mad_u32_u24 v4, v0, 13, 12
	v_cmp_gt_u32_e32 vcc, s10, v4
	v_mad_u32_u24 v4, v0, 13, 11
	v_mul_u32_u24_e32 v1, 13, v0
	v_cndmask_b32_e32 v55, v67, v55, vcc
	v_cndmask_b32_e32 v54, v66, v54, vcc
	v_cmp_gt_u32_e32 vcc, s10, v4
	v_mad_u32_u24 v4, v0, 13, 10
	v_cmp_gt_u32_e64 s[2:3], s10, v1
	v_cndmask_b32_e32 v57, v51, v57, vcc
	v_cndmask_b32_e32 v56, v50, v56, vcc
	v_cmp_gt_u32_e32 vcc, s10, v4
	v_mad_u32_u24 v4, v0, 13, 9
	ds_write_b64 v52, v[66:67]
	v_cndmask_b32_e32 v3, v49, v3, vcc
	v_cndmask_b32_e32 v2, v48, v2, vcc
	v_cmp_gt_u32_e32 vcc, s10, v4
	v_mad_u32_u24 v4, v0, 13, 8
	s_waitcnt lgkmcnt(0)
	v_cndmask_b32_e32 v7, v47, v7, vcc
	v_cndmask_b32_e32 v6, v46, v6, vcc
	v_cmp_gt_u32_e32 vcc, s10, v4
	v_mad_u32_u24 v4, v0, 13, 7
	; wave barrier
	s_nop 0
	v_cndmask_b32_e32 v59, v45, v59, vcc
	v_cndmask_b32_e32 v58, v44, v58, vcc
	v_cmp_gt_u32_e32 vcc, s10, v4
	v_mad_u32_u24 v4, v0, 13, 6
	s_nop 0
	v_cndmask_b32_e32 v11, v43, v11, vcc
	v_cndmask_b32_e32 v10, v42, v10, vcc
	v_cmp_gt_u32_e32 vcc, s10, v4
	v_mad_u32_u24 v4, v0, 13, 5
	;; [unrolled: 5-line block ×6, first 2 shown]
	s_nop 0
	v_cndmask_b32_e32 v65, v33, v65, vcc
	v_cndmask_b32_e32 v64, v32, v64, vcc
	v_cmp_gt_u32_e32 vcc, s10, v4
	s_nop 1
	v_cndmask_b32_e32 v23, v27, v23, vcc
	v_cndmask_b32_e32 v22, v26, v22, vcc
	v_cmp_ne_u32_e32 vcc, 0, v0
	s_and_b64 s[12:13], vcc, s[2:3]
	s_and_saveexec_b64 s[2:3], s[12:13]
	s_cbranch_execz .LBB643_48
; %bb.47:
	v_add_u32_e32 v1, -8, v52
	ds_read_b64 v[4:5], v1
	s_waitcnt lgkmcnt(0)
	v_add_f64 v[24:25], v[24:25], v[4:5]
.LBB643_48:
	s_or_b64 exec, exec, s[2:3]
	v_mov_b64_e32 v[28:29], v[24:25]
.LBB643_49:
	s_add_u32 s6, s8, s6
	s_addc_u32 s7, s9, s7
	s_and_b64 vcc, exec, s[0:1]
	s_waitcnt lgkmcnt(0)
	; wave barrier
	s_waitcnt lgkmcnt(0)
	s_cbranch_vccz .LBB643_75
; %bb.50:
	s_movk_i32 s2, 0x68
	v_mul_i32_i24_e32 v8, 0xffffffa0, v0
	v_mul_u32_u24_e32 v1, 0x68, v0
	v_mad_u32_u24 v4, v0, s2, v8
	ds_write2_b64 v1, v[28:29], v[22:23] offset1:1
	ds_write2_b64 v1, v[64:65], v[18:19] offset0:2 offset1:3
	ds_write2_b64 v1, v[62:63], v[14:15] offset0:4 offset1:5
	ds_write2_b64 v1, v[60:61], v[10:11] offset0:6 offset1:7
	ds_write2_b64 v1, v[58:59], v[6:7] offset0:8 offset1:9
	ds_write2_b64 v1, v[2:3], v[56:57] offset0:10 offset1:11
	ds_write_b64 v1, v[54:55] offset:96
	s_waitcnt lgkmcnt(0)
	; wave barrier
	s_waitcnt lgkmcnt(0)
	ds_read2st64_b64 v[46:49], v4 offset0:1 offset1:2
	ds_read2st64_b64 v[42:45], v4 offset0:3 offset1:4
	;; [unrolled: 1-line block ×6, first 2 shown]
	s_mov_b32 s5, 0
	s_add_i32 s11, s11, s10
	s_lshl_b64 s[0:1], s[4:5], 3
	s_add_u32 s0, s6, s0
	s_addc_u32 s1, s7, s1
	v_mov_b32_e32 v53, 0
	v_lshl_add_u64 v[4:5], s[0:1], 0, v[52:53]
	v_cmp_gt_u32_e32 vcc, s11, v0
	s_and_saveexec_b64 s[0:1], vcc
	s_cbranch_execz .LBB643_52
; %bb.51:
	v_add_u32_e32 v1, v1, v8
	ds_read_b64 v[8:9], v1
	s_waitcnt lgkmcnt(0)
	global_store_dwordx2 v[4:5], v[8:9], off
.LBB643_52:
	s_or_b64 exec, exec, s[0:1]
	v_or_b32_e32 v1, 64, v0
	v_cmp_gt_u32_e32 vcc, s11, v1
	s_and_saveexec_b64 s[0:1], vcc
	s_cbranch_execz .LBB643_54
; %bb.53:
	s_waitcnt lgkmcnt(5)
	global_store_dwordx2 v[4:5], v[46:47], off offset:512
.LBB643_54:
	s_or_b64 exec, exec, s[0:1]
	v_or_b32_e32 v1, 0x80, v0
	v_cmp_gt_u32_e32 vcc, s11, v1
	s_and_saveexec_b64 s[0:1], vcc
	s_cbranch_execz .LBB643_56
; %bb.55:
	s_waitcnt lgkmcnt(5)
	global_store_dwordx2 v[4:5], v[48:49], off offset:1024
.LBB643_56:
	;; [unrolled: 9-line block ×7, first 2 shown]
	s_or_b64 exec, exec, s[0:1]
	v_or_b32_e32 v1, 0x200, v0
	v_cmp_gt_u32_e32 vcc, s11, v1
	s_and_saveexec_b64 s[0:1], vcc
	s_cbranch_execz .LBB643_68
; %bb.67:
	v_add_co_u32_e32 v8, vcc, 0x1000, v4
	s_nop 1
	v_addc_co_u32_e32 v9, vcc, 0, v5, vcc
	s_waitcnt lgkmcnt(2)
	global_store_dwordx2 v[8:9], v[36:37], off
.LBB643_68:
	s_or_b64 exec, exec, s[0:1]
	v_or_b32_e32 v1, 0x240, v0
	v_cmp_gt_u32_e32 vcc, s11, v1
	s_and_saveexec_b64 s[0:1], vcc
	s_cbranch_execz .LBB643_70
; %bb.69:
	v_add_co_u32_e32 v8, vcc, 0x1000, v4
	s_nop 1
	v_addc_co_u32_e32 v9, vcc, 0, v5, vcc
	s_waitcnt lgkmcnt(1)
	global_store_dwordx2 v[8:9], v[30:31], off offset:512
.LBB643_70:
	s_or_b64 exec, exec, s[0:1]
	v_or_b32_e32 v1, 0x280, v0
	v_cmp_gt_u32_e32 vcc, s11, v1
	s_and_saveexec_b64 s[0:1], vcc
	s_cbranch_execz .LBB643_72
; %bb.71:
	v_add_co_u32_e32 v8, vcc, 0x1000, v4
	s_nop 1
	v_addc_co_u32_e32 v9, vcc, 0, v5, vcc
	s_waitcnt lgkmcnt(1)
	global_store_dwordx2 v[8:9], v[32:33], off offset:1024
.LBB643_72:
	;; [unrolled: 12-line block ×3, first 2 shown]
	s_or_b64 exec, exec, s[0:1]
	v_or_b32_e32 v1, 0x300, v0
	v_cmp_gt_u32_e64 s[0:1], s11, v1
	s_branch .LBB643_77
.LBB643_75:
	s_mov_b64 s[0:1], 0
                                        ; implicit-def: $vgpr26_vgpr27
                                        ; implicit-def: $vgpr4_vgpr5
	s_cbranch_execz .LBB643_77
; %bb.76:
	s_mov_b32 s5, 0
	v_mul_u32_u24_e32 v1, 0x68, v0
	s_lshl_b64 s[2:3], s[4:5], 3
	s_movk_i32 s4, 0x68
	ds_write2_b64 v1, v[28:29], v[22:23] offset1:1
	ds_write2_b64 v1, v[64:65], v[18:19] offset0:2 offset1:3
	ds_write2_b64 v1, v[62:63], v[14:15] offset0:4 offset1:5
	;; [unrolled: 1-line block ×5, first 2 shown]
	ds_write_b64 v1, v[54:55] offset:96
	v_mul_i32_i24_e32 v1, 0xffffffa0, v0
	s_add_u32 s2, s6, s2
	v_mad_u32_u24 v4, v0, s4, v1
	s_addc_u32 s3, s7, s3
	s_waitcnt lgkmcnt(0)
	; wave barrier
	s_waitcnt lgkmcnt(0)
	ds_read2st64_b64 v[0:3], v4 offset1:1
	ds_read2st64_b64 v[6:9], v4 offset0:2 offset1:3
	ds_read2st64_b64 v[10:13], v4 offset0:4 offset1:5
	;; [unrolled: 1-line block ×5, first 2 shown]
	ds_read_b64 v[26:27], v4 offset:6144
	v_mov_b32_e32 v53, 0
	v_lshl_add_u64 v[4:5], s[2:3], 0, v[52:53]
	s_waitcnt lgkmcnt(6)
	global_store_dwordx2 v52, v[0:1], s[2:3]
	global_store_dwordx2 v52, v[2:3], s[2:3] offset:512
	s_waitcnt lgkmcnt(5)
	global_store_dwordx2 v52, v[6:7], s[2:3] offset:1024
	global_store_dwordx2 v52, v[8:9], s[2:3] offset:1536
	s_waitcnt lgkmcnt(4)
	global_store_dwordx2 v52, v[10:11], s[2:3] offset:2048
	;; [unrolled: 3-line block ×3, first 2 shown]
	global_store_dwordx2 v52, v[16:17], s[2:3] offset:3584
	v_add_co_u32_e32 v0, vcc, 0x1000, v4
	s_or_b64 s[0:1], s[0:1], exec
	s_nop 0
	v_addc_co_u32_e32 v1, vcc, 0, v5, vcc
	s_waitcnt lgkmcnt(2)
	global_store_dwordx2 v[0:1], v[18:19], off
	global_store_dwordx2 v[0:1], v[20:21], off offset:512
	s_waitcnt lgkmcnt(1)
	global_store_dwordx2 v[0:1], v[22:23], off offset:1024
	global_store_dwordx2 v[0:1], v[24:25], off offset:1536
.LBB643_77:
	s_and_saveexec_b64 s[2:3], s[0:1]
	s_cbranch_execnz .LBB643_79
; %bb.78:
	s_endpgm
.LBB643_79:
	v_add_co_u32_e32 v0, vcc, 0x1000, v4
	s_nop 1
	v_addc_co_u32_e32 v1, vcc, 0, v5, vcc
	s_waitcnt lgkmcnt(0)
	global_store_dwordx2 v[0:1], v[26:27], off offset:2048
	s_endpgm
	.section	.rodata,"a",@progbits
	.p2align	6, 0x0
	.amdhsa_kernel _ZN7rocprim17ROCPRIM_400000_NS6detail17trampoline_kernelINS0_14default_configENS1_35adjacent_difference_config_selectorILb0EdEEZNS1_24adjacent_difference_implIS3_Lb0ELb0EPKdPdN6thrust23THRUST_200600_302600_NS4plusIdEEEE10hipError_tPvRmT2_T3_mT4_P12ihipStream_tbEUlT_E_NS1_11comp_targetILNS1_3genE5ELNS1_11target_archE942ELNS1_3gpuE9ELNS1_3repE0EEENS1_30default_config_static_selectorELNS0_4arch9wavefront6targetE1EEEvT1_
		.amdhsa_group_segment_fixed_size 6656
		.amdhsa_private_segment_fixed_size 0
		.amdhsa_kernarg_size 56
		.amdhsa_user_sgpr_count 2
		.amdhsa_user_sgpr_dispatch_ptr 0
		.amdhsa_user_sgpr_queue_ptr 0
		.amdhsa_user_sgpr_kernarg_segment_ptr 1
		.amdhsa_user_sgpr_dispatch_id 0
		.amdhsa_user_sgpr_kernarg_preload_length 0
		.amdhsa_user_sgpr_kernarg_preload_offset 0
		.amdhsa_user_sgpr_private_segment_size 0
		.amdhsa_uses_dynamic_stack 0
		.amdhsa_enable_private_segment 0
		.amdhsa_system_sgpr_workgroup_id_x 1
		.amdhsa_system_sgpr_workgroup_id_y 0
		.amdhsa_system_sgpr_workgroup_id_z 0
		.amdhsa_system_sgpr_workgroup_info 0
		.amdhsa_system_vgpr_workitem_id 0
		.amdhsa_next_free_vgpr 68
		.amdhsa_next_free_sgpr 23
		.amdhsa_accum_offset 68
		.amdhsa_reserve_vcc 1
		.amdhsa_float_round_mode_32 0
		.amdhsa_float_round_mode_16_64 0
		.amdhsa_float_denorm_mode_32 3
		.amdhsa_float_denorm_mode_16_64 3
		.amdhsa_dx10_clamp 1
		.amdhsa_ieee_mode 1
		.amdhsa_fp16_overflow 0
		.amdhsa_tg_split 0
		.amdhsa_exception_fp_ieee_invalid_op 0
		.amdhsa_exception_fp_denorm_src 0
		.amdhsa_exception_fp_ieee_div_zero 0
		.amdhsa_exception_fp_ieee_overflow 0
		.amdhsa_exception_fp_ieee_underflow 0
		.amdhsa_exception_fp_ieee_inexact 0
		.amdhsa_exception_int_div_zero 0
	.end_amdhsa_kernel
	.section	.text._ZN7rocprim17ROCPRIM_400000_NS6detail17trampoline_kernelINS0_14default_configENS1_35adjacent_difference_config_selectorILb0EdEEZNS1_24adjacent_difference_implIS3_Lb0ELb0EPKdPdN6thrust23THRUST_200600_302600_NS4plusIdEEEE10hipError_tPvRmT2_T3_mT4_P12ihipStream_tbEUlT_E_NS1_11comp_targetILNS1_3genE5ELNS1_11target_archE942ELNS1_3gpuE9ELNS1_3repE0EEENS1_30default_config_static_selectorELNS0_4arch9wavefront6targetE1EEEvT1_,"axG",@progbits,_ZN7rocprim17ROCPRIM_400000_NS6detail17trampoline_kernelINS0_14default_configENS1_35adjacent_difference_config_selectorILb0EdEEZNS1_24adjacent_difference_implIS3_Lb0ELb0EPKdPdN6thrust23THRUST_200600_302600_NS4plusIdEEEE10hipError_tPvRmT2_T3_mT4_P12ihipStream_tbEUlT_E_NS1_11comp_targetILNS1_3genE5ELNS1_11target_archE942ELNS1_3gpuE9ELNS1_3repE0EEENS1_30default_config_static_selectorELNS0_4arch9wavefront6targetE1EEEvT1_,comdat
.Lfunc_end643:
	.size	_ZN7rocprim17ROCPRIM_400000_NS6detail17trampoline_kernelINS0_14default_configENS1_35adjacent_difference_config_selectorILb0EdEEZNS1_24adjacent_difference_implIS3_Lb0ELb0EPKdPdN6thrust23THRUST_200600_302600_NS4plusIdEEEE10hipError_tPvRmT2_T3_mT4_P12ihipStream_tbEUlT_E_NS1_11comp_targetILNS1_3genE5ELNS1_11target_archE942ELNS1_3gpuE9ELNS1_3repE0EEENS1_30default_config_static_selectorELNS0_4arch9wavefront6targetE1EEEvT1_, .Lfunc_end643-_ZN7rocprim17ROCPRIM_400000_NS6detail17trampoline_kernelINS0_14default_configENS1_35adjacent_difference_config_selectorILb0EdEEZNS1_24adjacent_difference_implIS3_Lb0ELb0EPKdPdN6thrust23THRUST_200600_302600_NS4plusIdEEEE10hipError_tPvRmT2_T3_mT4_P12ihipStream_tbEUlT_E_NS1_11comp_targetILNS1_3genE5ELNS1_11target_archE942ELNS1_3gpuE9ELNS1_3repE0EEENS1_30default_config_static_selectorELNS0_4arch9wavefront6targetE1EEEvT1_
                                        ; -- End function
	.section	.AMDGPU.csdata,"",@progbits
; Kernel info:
; codeLenInByte = 3592
; NumSgprs: 29
; NumVgprs: 68
; NumAgprs: 0
; TotalNumVgprs: 68
; ScratchSize: 0
; MemoryBound: 0
; FloatMode: 240
; IeeeMode: 1
; LDSByteSize: 6656 bytes/workgroup (compile time only)
; SGPRBlocks: 3
; VGPRBlocks: 8
; NumSGPRsForWavesPerEU: 29
; NumVGPRsForWavesPerEU: 68
; AccumOffset: 68
; Occupancy: 3
; WaveLimiterHint : 1
; COMPUTE_PGM_RSRC2:SCRATCH_EN: 0
; COMPUTE_PGM_RSRC2:USER_SGPR: 2
; COMPUTE_PGM_RSRC2:TRAP_HANDLER: 0
; COMPUTE_PGM_RSRC2:TGID_X_EN: 1
; COMPUTE_PGM_RSRC2:TGID_Y_EN: 0
; COMPUTE_PGM_RSRC2:TGID_Z_EN: 0
; COMPUTE_PGM_RSRC2:TIDIG_COMP_CNT: 0
; COMPUTE_PGM_RSRC3_GFX90A:ACCUM_OFFSET: 16
; COMPUTE_PGM_RSRC3_GFX90A:TG_SPLIT: 0
	.section	.text._ZN7rocprim17ROCPRIM_400000_NS6detail17trampoline_kernelINS0_14default_configENS1_35adjacent_difference_config_selectorILb0EdEEZNS1_24adjacent_difference_implIS3_Lb0ELb0EPKdPdN6thrust23THRUST_200600_302600_NS4plusIdEEEE10hipError_tPvRmT2_T3_mT4_P12ihipStream_tbEUlT_E_NS1_11comp_targetILNS1_3genE4ELNS1_11target_archE910ELNS1_3gpuE8ELNS1_3repE0EEENS1_30default_config_static_selectorELNS0_4arch9wavefront6targetE1EEEvT1_,"axG",@progbits,_ZN7rocprim17ROCPRIM_400000_NS6detail17trampoline_kernelINS0_14default_configENS1_35adjacent_difference_config_selectorILb0EdEEZNS1_24adjacent_difference_implIS3_Lb0ELb0EPKdPdN6thrust23THRUST_200600_302600_NS4plusIdEEEE10hipError_tPvRmT2_T3_mT4_P12ihipStream_tbEUlT_E_NS1_11comp_targetILNS1_3genE4ELNS1_11target_archE910ELNS1_3gpuE8ELNS1_3repE0EEENS1_30default_config_static_selectorELNS0_4arch9wavefront6targetE1EEEvT1_,comdat
	.protected	_ZN7rocprim17ROCPRIM_400000_NS6detail17trampoline_kernelINS0_14default_configENS1_35adjacent_difference_config_selectorILb0EdEEZNS1_24adjacent_difference_implIS3_Lb0ELb0EPKdPdN6thrust23THRUST_200600_302600_NS4plusIdEEEE10hipError_tPvRmT2_T3_mT4_P12ihipStream_tbEUlT_E_NS1_11comp_targetILNS1_3genE4ELNS1_11target_archE910ELNS1_3gpuE8ELNS1_3repE0EEENS1_30default_config_static_selectorELNS0_4arch9wavefront6targetE1EEEvT1_ ; -- Begin function _ZN7rocprim17ROCPRIM_400000_NS6detail17trampoline_kernelINS0_14default_configENS1_35adjacent_difference_config_selectorILb0EdEEZNS1_24adjacent_difference_implIS3_Lb0ELb0EPKdPdN6thrust23THRUST_200600_302600_NS4plusIdEEEE10hipError_tPvRmT2_T3_mT4_P12ihipStream_tbEUlT_E_NS1_11comp_targetILNS1_3genE4ELNS1_11target_archE910ELNS1_3gpuE8ELNS1_3repE0EEENS1_30default_config_static_selectorELNS0_4arch9wavefront6targetE1EEEvT1_
	.globl	_ZN7rocprim17ROCPRIM_400000_NS6detail17trampoline_kernelINS0_14default_configENS1_35adjacent_difference_config_selectorILb0EdEEZNS1_24adjacent_difference_implIS3_Lb0ELb0EPKdPdN6thrust23THRUST_200600_302600_NS4plusIdEEEE10hipError_tPvRmT2_T3_mT4_P12ihipStream_tbEUlT_E_NS1_11comp_targetILNS1_3genE4ELNS1_11target_archE910ELNS1_3gpuE8ELNS1_3repE0EEENS1_30default_config_static_selectorELNS0_4arch9wavefront6targetE1EEEvT1_
	.p2align	8
	.type	_ZN7rocprim17ROCPRIM_400000_NS6detail17trampoline_kernelINS0_14default_configENS1_35adjacent_difference_config_selectorILb0EdEEZNS1_24adjacent_difference_implIS3_Lb0ELb0EPKdPdN6thrust23THRUST_200600_302600_NS4plusIdEEEE10hipError_tPvRmT2_T3_mT4_P12ihipStream_tbEUlT_E_NS1_11comp_targetILNS1_3genE4ELNS1_11target_archE910ELNS1_3gpuE8ELNS1_3repE0EEENS1_30default_config_static_selectorELNS0_4arch9wavefront6targetE1EEEvT1_,@function
_ZN7rocprim17ROCPRIM_400000_NS6detail17trampoline_kernelINS0_14default_configENS1_35adjacent_difference_config_selectorILb0EdEEZNS1_24adjacent_difference_implIS3_Lb0ELb0EPKdPdN6thrust23THRUST_200600_302600_NS4plusIdEEEE10hipError_tPvRmT2_T3_mT4_P12ihipStream_tbEUlT_E_NS1_11comp_targetILNS1_3genE4ELNS1_11target_archE910ELNS1_3gpuE8ELNS1_3repE0EEENS1_30default_config_static_selectorELNS0_4arch9wavefront6targetE1EEEvT1_: ; @_ZN7rocprim17ROCPRIM_400000_NS6detail17trampoline_kernelINS0_14default_configENS1_35adjacent_difference_config_selectorILb0EdEEZNS1_24adjacent_difference_implIS3_Lb0ELb0EPKdPdN6thrust23THRUST_200600_302600_NS4plusIdEEEE10hipError_tPvRmT2_T3_mT4_P12ihipStream_tbEUlT_E_NS1_11comp_targetILNS1_3genE4ELNS1_11target_archE910ELNS1_3gpuE8ELNS1_3repE0EEENS1_30default_config_static_selectorELNS0_4arch9wavefront6targetE1EEEvT1_
; %bb.0:
	.section	.rodata,"a",@progbits
	.p2align	6, 0x0
	.amdhsa_kernel _ZN7rocprim17ROCPRIM_400000_NS6detail17trampoline_kernelINS0_14default_configENS1_35adjacent_difference_config_selectorILb0EdEEZNS1_24adjacent_difference_implIS3_Lb0ELb0EPKdPdN6thrust23THRUST_200600_302600_NS4plusIdEEEE10hipError_tPvRmT2_T3_mT4_P12ihipStream_tbEUlT_E_NS1_11comp_targetILNS1_3genE4ELNS1_11target_archE910ELNS1_3gpuE8ELNS1_3repE0EEENS1_30default_config_static_selectorELNS0_4arch9wavefront6targetE1EEEvT1_
		.amdhsa_group_segment_fixed_size 0
		.amdhsa_private_segment_fixed_size 0
		.amdhsa_kernarg_size 56
		.amdhsa_user_sgpr_count 2
		.amdhsa_user_sgpr_dispatch_ptr 0
		.amdhsa_user_sgpr_queue_ptr 0
		.amdhsa_user_sgpr_kernarg_segment_ptr 1
		.amdhsa_user_sgpr_dispatch_id 0
		.amdhsa_user_sgpr_kernarg_preload_length 0
		.amdhsa_user_sgpr_kernarg_preload_offset 0
		.amdhsa_user_sgpr_private_segment_size 0
		.amdhsa_uses_dynamic_stack 0
		.amdhsa_enable_private_segment 0
		.amdhsa_system_sgpr_workgroup_id_x 1
		.amdhsa_system_sgpr_workgroup_id_y 0
		.amdhsa_system_sgpr_workgroup_id_z 0
		.amdhsa_system_sgpr_workgroup_info 0
		.amdhsa_system_vgpr_workitem_id 0
		.amdhsa_next_free_vgpr 1
		.amdhsa_next_free_sgpr 0
		.amdhsa_accum_offset 4
		.amdhsa_reserve_vcc 0
		.amdhsa_float_round_mode_32 0
		.amdhsa_float_round_mode_16_64 0
		.amdhsa_float_denorm_mode_32 3
		.amdhsa_float_denorm_mode_16_64 3
		.amdhsa_dx10_clamp 1
		.amdhsa_ieee_mode 1
		.amdhsa_fp16_overflow 0
		.amdhsa_tg_split 0
		.amdhsa_exception_fp_ieee_invalid_op 0
		.amdhsa_exception_fp_denorm_src 0
		.amdhsa_exception_fp_ieee_div_zero 0
		.amdhsa_exception_fp_ieee_overflow 0
		.amdhsa_exception_fp_ieee_underflow 0
		.amdhsa_exception_fp_ieee_inexact 0
		.amdhsa_exception_int_div_zero 0
	.end_amdhsa_kernel
	.section	.text._ZN7rocprim17ROCPRIM_400000_NS6detail17trampoline_kernelINS0_14default_configENS1_35adjacent_difference_config_selectorILb0EdEEZNS1_24adjacent_difference_implIS3_Lb0ELb0EPKdPdN6thrust23THRUST_200600_302600_NS4plusIdEEEE10hipError_tPvRmT2_T3_mT4_P12ihipStream_tbEUlT_E_NS1_11comp_targetILNS1_3genE4ELNS1_11target_archE910ELNS1_3gpuE8ELNS1_3repE0EEENS1_30default_config_static_selectorELNS0_4arch9wavefront6targetE1EEEvT1_,"axG",@progbits,_ZN7rocprim17ROCPRIM_400000_NS6detail17trampoline_kernelINS0_14default_configENS1_35adjacent_difference_config_selectorILb0EdEEZNS1_24adjacent_difference_implIS3_Lb0ELb0EPKdPdN6thrust23THRUST_200600_302600_NS4plusIdEEEE10hipError_tPvRmT2_T3_mT4_P12ihipStream_tbEUlT_E_NS1_11comp_targetILNS1_3genE4ELNS1_11target_archE910ELNS1_3gpuE8ELNS1_3repE0EEENS1_30default_config_static_selectorELNS0_4arch9wavefront6targetE1EEEvT1_,comdat
.Lfunc_end644:
	.size	_ZN7rocprim17ROCPRIM_400000_NS6detail17trampoline_kernelINS0_14default_configENS1_35adjacent_difference_config_selectorILb0EdEEZNS1_24adjacent_difference_implIS3_Lb0ELb0EPKdPdN6thrust23THRUST_200600_302600_NS4plusIdEEEE10hipError_tPvRmT2_T3_mT4_P12ihipStream_tbEUlT_E_NS1_11comp_targetILNS1_3genE4ELNS1_11target_archE910ELNS1_3gpuE8ELNS1_3repE0EEENS1_30default_config_static_selectorELNS0_4arch9wavefront6targetE1EEEvT1_, .Lfunc_end644-_ZN7rocprim17ROCPRIM_400000_NS6detail17trampoline_kernelINS0_14default_configENS1_35adjacent_difference_config_selectorILb0EdEEZNS1_24adjacent_difference_implIS3_Lb0ELb0EPKdPdN6thrust23THRUST_200600_302600_NS4plusIdEEEE10hipError_tPvRmT2_T3_mT4_P12ihipStream_tbEUlT_E_NS1_11comp_targetILNS1_3genE4ELNS1_11target_archE910ELNS1_3gpuE8ELNS1_3repE0EEENS1_30default_config_static_selectorELNS0_4arch9wavefront6targetE1EEEvT1_
                                        ; -- End function
	.section	.AMDGPU.csdata,"",@progbits
; Kernel info:
; codeLenInByte = 0
; NumSgprs: 6
; NumVgprs: 0
; NumAgprs: 0
; TotalNumVgprs: 0
; ScratchSize: 0
; MemoryBound: 0
; FloatMode: 240
; IeeeMode: 1
; LDSByteSize: 0 bytes/workgroup (compile time only)
; SGPRBlocks: 0
; VGPRBlocks: 0
; NumSGPRsForWavesPerEU: 6
; NumVGPRsForWavesPerEU: 1
; AccumOffset: 4
; Occupancy: 8
; WaveLimiterHint : 0
; COMPUTE_PGM_RSRC2:SCRATCH_EN: 0
; COMPUTE_PGM_RSRC2:USER_SGPR: 2
; COMPUTE_PGM_RSRC2:TRAP_HANDLER: 0
; COMPUTE_PGM_RSRC2:TGID_X_EN: 1
; COMPUTE_PGM_RSRC2:TGID_Y_EN: 0
; COMPUTE_PGM_RSRC2:TGID_Z_EN: 0
; COMPUTE_PGM_RSRC2:TIDIG_COMP_CNT: 0
; COMPUTE_PGM_RSRC3_GFX90A:ACCUM_OFFSET: 0
; COMPUTE_PGM_RSRC3_GFX90A:TG_SPLIT: 0
	.section	.text._ZN7rocprim17ROCPRIM_400000_NS6detail17trampoline_kernelINS0_14default_configENS1_35adjacent_difference_config_selectorILb0EdEEZNS1_24adjacent_difference_implIS3_Lb0ELb0EPKdPdN6thrust23THRUST_200600_302600_NS4plusIdEEEE10hipError_tPvRmT2_T3_mT4_P12ihipStream_tbEUlT_E_NS1_11comp_targetILNS1_3genE3ELNS1_11target_archE908ELNS1_3gpuE7ELNS1_3repE0EEENS1_30default_config_static_selectorELNS0_4arch9wavefront6targetE1EEEvT1_,"axG",@progbits,_ZN7rocprim17ROCPRIM_400000_NS6detail17trampoline_kernelINS0_14default_configENS1_35adjacent_difference_config_selectorILb0EdEEZNS1_24adjacent_difference_implIS3_Lb0ELb0EPKdPdN6thrust23THRUST_200600_302600_NS4plusIdEEEE10hipError_tPvRmT2_T3_mT4_P12ihipStream_tbEUlT_E_NS1_11comp_targetILNS1_3genE3ELNS1_11target_archE908ELNS1_3gpuE7ELNS1_3repE0EEENS1_30default_config_static_selectorELNS0_4arch9wavefront6targetE1EEEvT1_,comdat
	.protected	_ZN7rocprim17ROCPRIM_400000_NS6detail17trampoline_kernelINS0_14default_configENS1_35adjacent_difference_config_selectorILb0EdEEZNS1_24adjacent_difference_implIS3_Lb0ELb0EPKdPdN6thrust23THRUST_200600_302600_NS4plusIdEEEE10hipError_tPvRmT2_T3_mT4_P12ihipStream_tbEUlT_E_NS1_11comp_targetILNS1_3genE3ELNS1_11target_archE908ELNS1_3gpuE7ELNS1_3repE0EEENS1_30default_config_static_selectorELNS0_4arch9wavefront6targetE1EEEvT1_ ; -- Begin function _ZN7rocprim17ROCPRIM_400000_NS6detail17trampoline_kernelINS0_14default_configENS1_35adjacent_difference_config_selectorILb0EdEEZNS1_24adjacent_difference_implIS3_Lb0ELb0EPKdPdN6thrust23THRUST_200600_302600_NS4plusIdEEEE10hipError_tPvRmT2_T3_mT4_P12ihipStream_tbEUlT_E_NS1_11comp_targetILNS1_3genE3ELNS1_11target_archE908ELNS1_3gpuE7ELNS1_3repE0EEENS1_30default_config_static_selectorELNS0_4arch9wavefront6targetE1EEEvT1_
	.globl	_ZN7rocprim17ROCPRIM_400000_NS6detail17trampoline_kernelINS0_14default_configENS1_35adjacent_difference_config_selectorILb0EdEEZNS1_24adjacent_difference_implIS3_Lb0ELb0EPKdPdN6thrust23THRUST_200600_302600_NS4plusIdEEEE10hipError_tPvRmT2_T3_mT4_P12ihipStream_tbEUlT_E_NS1_11comp_targetILNS1_3genE3ELNS1_11target_archE908ELNS1_3gpuE7ELNS1_3repE0EEENS1_30default_config_static_selectorELNS0_4arch9wavefront6targetE1EEEvT1_
	.p2align	8
	.type	_ZN7rocprim17ROCPRIM_400000_NS6detail17trampoline_kernelINS0_14default_configENS1_35adjacent_difference_config_selectorILb0EdEEZNS1_24adjacent_difference_implIS3_Lb0ELb0EPKdPdN6thrust23THRUST_200600_302600_NS4plusIdEEEE10hipError_tPvRmT2_T3_mT4_P12ihipStream_tbEUlT_E_NS1_11comp_targetILNS1_3genE3ELNS1_11target_archE908ELNS1_3gpuE7ELNS1_3repE0EEENS1_30default_config_static_selectorELNS0_4arch9wavefront6targetE1EEEvT1_,@function
_ZN7rocprim17ROCPRIM_400000_NS6detail17trampoline_kernelINS0_14default_configENS1_35adjacent_difference_config_selectorILb0EdEEZNS1_24adjacent_difference_implIS3_Lb0ELb0EPKdPdN6thrust23THRUST_200600_302600_NS4plusIdEEEE10hipError_tPvRmT2_T3_mT4_P12ihipStream_tbEUlT_E_NS1_11comp_targetILNS1_3genE3ELNS1_11target_archE908ELNS1_3gpuE7ELNS1_3repE0EEENS1_30default_config_static_selectorELNS0_4arch9wavefront6targetE1EEEvT1_: ; @_ZN7rocprim17ROCPRIM_400000_NS6detail17trampoline_kernelINS0_14default_configENS1_35adjacent_difference_config_selectorILb0EdEEZNS1_24adjacent_difference_implIS3_Lb0ELb0EPKdPdN6thrust23THRUST_200600_302600_NS4plusIdEEEE10hipError_tPvRmT2_T3_mT4_P12ihipStream_tbEUlT_E_NS1_11comp_targetILNS1_3genE3ELNS1_11target_archE908ELNS1_3gpuE7ELNS1_3repE0EEENS1_30default_config_static_selectorELNS0_4arch9wavefront6targetE1EEEvT1_
; %bb.0:
	.section	.rodata,"a",@progbits
	.p2align	6, 0x0
	.amdhsa_kernel _ZN7rocprim17ROCPRIM_400000_NS6detail17trampoline_kernelINS0_14default_configENS1_35adjacent_difference_config_selectorILb0EdEEZNS1_24adjacent_difference_implIS3_Lb0ELb0EPKdPdN6thrust23THRUST_200600_302600_NS4plusIdEEEE10hipError_tPvRmT2_T3_mT4_P12ihipStream_tbEUlT_E_NS1_11comp_targetILNS1_3genE3ELNS1_11target_archE908ELNS1_3gpuE7ELNS1_3repE0EEENS1_30default_config_static_selectorELNS0_4arch9wavefront6targetE1EEEvT1_
		.amdhsa_group_segment_fixed_size 0
		.amdhsa_private_segment_fixed_size 0
		.amdhsa_kernarg_size 56
		.amdhsa_user_sgpr_count 2
		.amdhsa_user_sgpr_dispatch_ptr 0
		.amdhsa_user_sgpr_queue_ptr 0
		.amdhsa_user_sgpr_kernarg_segment_ptr 1
		.amdhsa_user_sgpr_dispatch_id 0
		.amdhsa_user_sgpr_kernarg_preload_length 0
		.amdhsa_user_sgpr_kernarg_preload_offset 0
		.amdhsa_user_sgpr_private_segment_size 0
		.amdhsa_uses_dynamic_stack 0
		.amdhsa_enable_private_segment 0
		.amdhsa_system_sgpr_workgroup_id_x 1
		.amdhsa_system_sgpr_workgroup_id_y 0
		.amdhsa_system_sgpr_workgroup_id_z 0
		.amdhsa_system_sgpr_workgroup_info 0
		.amdhsa_system_vgpr_workitem_id 0
		.amdhsa_next_free_vgpr 1
		.amdhsa_next_free_sgpr 0
		.amdhsa_accum_offset 4
		.amdhsa_reserve_vcc 0
		.amdhsa_float_round_mode_32 0
		.amdhsa_float_round_mode_16_64 0
		.amdhsa_float_denorm_mode_32 3
		.amdhsa_float_denorm_mode_16_64 3
		.amdhsa_dx10_clamp 1
		.amdhsa_ieee_mode 1
		.amdhsa_fp16_overflow 0
		.amdhsa_tg_split 0
		.amdhsa_exception_fp_ieee_invalid_op 0
		.amdhsa_exception_fp_denorm_src 0
		.amdhsa_exception_fp_ieee_div_zero 0
		.amdhsa_exception_fp_ieee_overflow 0
		.amdhsa_exception_fp_ieee_underflow 0
		.amdhsa_exception_fp_ieee_inexact 0
		.amdhsa_exception_int_div_zero 0
	.end_amdhsa_kernel
	.section	.text._ZN7rocprim17ROCPRIM_400000_NS6detail17trampoline_kernelINS0_14default_configENS1_35adjacent_difference_config_selectorILb0EdEEZNS1_24adjacent_difference_implIS3_Lb0ELb0EPKdPdN6thrust23THRUST_200600_302600_NS4plusIdEEEE10hipError_tPvRmT2_T3_mT4_P12ihipStream_tbEUlT_E_NS1_11comp_targetILNS1_3genE3ELNS1_11target_archE908ELNS1_3gpuE7ELNS1_3repE0EEENS1_30default_config_static_selectorELNS0_4arch9wavefront6targetE1EEEvT1_,"axG",@progbits,_ZN7rocprim17ROCPRIM_400000_NS6detail17trampoline_kernelINS0_14default_configENS1_35adjacent_difference_config_selectorILb0EdEEZNS1_24adjacent_difference_implIS3_Lb0ELb0EPKdPdN6thrust23THRUST_200600_302600_NS4plusIdEEEE10hipError_tPvRmT2_T3_mT4_P12ihipStream_tbEUlT_E_NS1_11comp_targetILNS1_3genE3ELNS1_11target_archE908ELNS1_3gpuE7ELNS1_3repE0EEENS1_30default_config_static_selectorELNS0_4arch9wavefront6targetE1EEEvT1_,comdat
.Lfunc_end645:
	.size	_ZN7rocprim17ROCPRIM_400000_NS6detail17trampoline_kernelINS0_14default_configENS1_35adjacent_difference_config_selectorILb0EdEEZNS1_24adjacent_difference_implIS3_Lb0ELb0EPKdPdN6thrust23THRUST_200600_302600_NS4plusIdEEEE10hipError_tPvRmT2_T3_mT4_P12ihipStream_tbEUlT_E_NS1_11comp_targetILNS1_3genE3ELNS1_11target_archE908ELNS1_3gpuE7ELNS1_3repE0EEENS1_30default_config_static_selectorELNS0_4arch9wavefront6targetE1EEEvT1_, .Lfunc_end645-_ZN7rocprim17ROCPRIM_400000_NS6detail17trampoline_kernelINS0_14default_configENS1_35adjacent_difference_config_selectorILb0EdEEZNS1_24adjacent_difference_implIS3_Lb0ELb0EPKdPdN6thrust23THRUST_200600_302600_NS4plusIdEEEE10hipError_tPvRmT2_T3_mT4_P12ihipStream_tbEUlT_E_NS1_11comp_targetILNS1_3genE3ELNS1_11target_archE908ELNS1_3gpuE7ELNS1_3repE0EEENS1_30default_config_static_selectorELNS0_4arch9wavefront6targetE1EEEvT1_
                                        ; -- End function
	.section	.AMDGPU.csdata,"",@progbits
; Kernel info:
; codeLenInByte = 0
; NumSgprs: 6
; NumVgprs: 0
; NumAgprs: 0
; TotalNumVgprs: 0
; ScratchSize: 0
; MemoryBound: 0
; FloatMode: 240
; IeeeMode: 1
; LDSByteSize: 0 bytes/workgroup (compile time only)
; SGPRBlocks: 0
; VGPRBlocks: 0
; NumSGPRsForWavesPerEU: 6
; NumVGPRsForWavesPerEU: 1
; AccumOffset: 4
; Occupancy: 8
; WaveLimiterHint : 0
; COMPUTE_PGM_RSRC2:SCRATCH_EN: 0
; COMPUTE_PGM_RSRC2:USER_SGPR: 2
; COMPUTE_PGM_RSRC2:TRAP_HANDLER: 0
; COMPUTE_PGM_RSRC2:TGID_X_EN: 1
; COMPUTE_PGM_RSRC2:TGID_Y_EN: 0
; COMPUTE_PGM_RSRC2:TGID_Z_EN: 0
; COMPUTE_PGM_RSRC2:TIDIG_COMP_CNT: 0
; COMPUTE_PGM_RSRC3_GFX90A:ACCUM_OFFSET: 0
; COMPUTE_PGM_RSRC3_GFX90A:TG_SPLIT: 0
	.section	.text._ZN7rocprim17ROCPRIM_400000_NS6detail17trampoline_kernelINS0_14default_configENS1_35adjacent_difference_config_selectorILb0EdEEZNS1_24adjacent_difference_implIS3_Lb0ELb0EPKdPdN6thrust23THRUST_200600_302600_NS4plusIdEEEE10hipError_tPvRmT2_T3_mT4_P12ihipStream_tbEUlT_E_NS1_11comp_targetILNS1_3genE2ELNS1_11target_archE906ELNS1_3gpuE6ELNS1_3repE0EEENS1_30default_config_static_selectorELNS0_4arch9wavefront6targetE1EEEvT1_,"axG",@progbits,_ZN7rocprim17ROCPRIM_400000_NS6detail17trampoline_kernelINS0_14default_configENS1_35adjacent_difference_config_selectorILb0EdEEZNS1_24adjacent_difference_implIS3_Lb0ELb0EPKdPdN6thrust23THRUST_200600_302600_NS4plusIdEEEE10hipError_tPvRmT2_T3_mT4_P12ihipStream_tbEUlT_E_NS1_11comp_targetILNS1_3genE2ELNS1_11target_archE906ELNS1_3gpuE6ELNS1_3repE0EEENS1_30default_config_static_selectorELNS0_4arch9wavefront6targetE1EEEvT1_,comdat
	.protected	_ZN7rocprim17ROCPRIM_400000_NS6detail17trampoline_kernelINS0_14default_configENS1_35adjacent_difference_config_selectorILb0EdEEZNS1_24adjacent_difference_implIS3_Lb0ELb0EPKdPdN6thrust23THRUST_200600_302600_NS4plusIdEEEE10hipError_tPvRmT2_T3_mT4_P12ihipStream_tbEUlT_E_NS1_11comp_targetILNS1_3genE2ELNS1_11target_archE906ELNS1_3gpuE6ELNS1_3repE0EEENS1_30default_config_static_selectorELNS0_4arch9wavefront6targetE1EEEvT1_ ; -- Begin function _ZN7rocprim17ROCPRIM_400000_NS6detail17trampoline_kernelINS0_14default_configENS1_35adjacent_difference_config_selectorILb0EdEEZNS1_24adjacent_difference_implIS3_Lb0ELb0EPKdPdN6thrust23THRUST_200600_302600_NS4plusIdEEEE10hipError_tPvRmT2_T3_mT4_P12ihipStream_tbEUlT_E_NS1_11comp_targetILNS1_3genE2ELNS1_11target_archE906ELNS1_3gpuE6ELNS1_3repE0EEENS1_30default_config_static_selectorELNS0_4arch9wavefront6targetE1EEEvT1_
	.globl	_ZN7rocprim17ROCPRIM_400000_NS6detail17trampoline_kernelINS0_14default_configENS1_35adjacent_difference_config_selectorILb0EdEEZNS1_24adjacent_difference_implIS3_Lb0ELb0EPKdPdN6thrust23THRUST_200600_302600_NS4plusIdEEEE10hipError_tPvRmT2_T3_mT4_P12ihipStream_tbEUlT_E_NS1_11comp_targetILNS1_3genE2ELNS1_11target_archE906ELNS1_3gpuE6ELNS1_3repE0EEENS1_30default_config_static_selectorELNS0_4arch9wavefront6targetE1EEEvT1_
	.p2align	8
	.type	_ZN7rocprim17ROCPRIM_400000_NS6detail17trampoline_kernelINS0_14default_configENS1_35adjacent_difference_config_selectorILb0EdEEZNS1_24adjacent_difference_implIS3_Lb0ELb0EPKdPdN6thrust23THRUST_200600_302600_NS4plusIdEEEE10hipError_tPvRmT2_T3_mT4_P12ihipStream_tbEUlT_E_NS1_11comp_targetILNS1_3genE2ELNS1_11target_archE906ELNS1_3gpuE6ELNS1_3repE0EEENS1_30default_config_static_selectorELNS0_4arch9wavefront6targetE1EEEvT1_,@function
_ZN7rocprim17ROCPRIM_400000_NS6detail17trampoline_kernelINS0_14default_configENS1_35adjacent_difference_config_selectorILb0EdEEZNS1_24adjacent_difference_implIS3_Lb0ELb0EPKdPdN6thrust23THRUST_200600_302600_NS4plusIdEEEE10hipError_tPvRmT2_T3_mT4_P12ihipStream_tbEUlT_E_NS1_11comp_targetILNS1_3genE2ELNS1_11target_archE906ELNS1_3gpuE6ELNS1_3repE0EEENS1_30default_config_static_selectorELNS0_4arch9wavefront6targetE1EEEvT1_: ; @_ZN7rocprim17ROCPRIM_400000_NS6detail17trampoline_kernelINS0_14default_configENS1_35adjacent_difference_config_selectorILb0EdEEZNS1_24adjacent_difference_implIS3_Lb0ELb0EPKdPdN6thrust23THRUST_200600_302600_NS4plusIdEEEE10hipError_tPvRmT2_T3_mT4_P12ihipStream_tbEUlT_E_NS1_11comp_targetILNS1_3genE2ELNS1_11target_archE906ELNS1_3gpuE6ELNS1_3repE0EEENS1_30default_config_static_selectorELNS0_4arch9wavefront6targetE1EEEvT1_
; %bb.0:
	.section	.rodata,"a",@progbits
	.p2align	6, 0x0
	.amdhsa_kernel _ZN7rocprim17ROCPRIM_400000_NS6detail17trampoline_kernelINS0_14default_configENS1_35adjacent_difference_config_selectorILb0EdEEZNS1_24adjacent_difference_implIS3_Lb0ELb0EPKdPdN6thrust23THRUST_200600_302600_NS4plusIdEEEE10hipError_tPvRmT2_T3_mT4_P12ihipStream_tbEUlT_E_NS1_11comp_targetILNS1_3genE2ELNS1_11target_archE906ELNS1_3gpuE6ELNS1_3repE0EEENS1_30default_config_static_selectorELNS0_4arch9wavefront6targetE1EEEvT1_
		.amdhsa_group_segment_fixed_size 0
		.amdhsa_private_segment_fixed_size 0
		.amdhsa_kernarg_size 56
		.amdhsa_user_sgpr_count 2
		.amdhsa_user_sgpr_dispatch_ptr 0
		.amdhsa_user_sgpr_queue_ptr 0
		.amdhsa_user_sgpr_kernarg_segment_ptr 1
		.amdhsa_user_sgpr_dispatch_id 0
		.amdhsa_user_sgpr_kernarg_preload_length 0
		.amdhsa_user_sgpr_kernarg_preload_offset 0
		.amdhsa_user_sgpr_private_segment_size 0
		.amdhsa_uses_dynamic_stack 0
		.amdhsa_enable_private_segment 0
		.amdhsa_system_sgpr_workgroup_id_x 1
		.amdhsa_system_sgpr_workgroup_id_y 0
		.amdhsa_system_sgpr_workgroup_id_z 0
		.amdhsa_system_sgpr_workgroup_info 0
		.amdhsa_system_vgpr_workitem_id 0
		.amdhsa_next_free_vgpr 1
		.amdhsa_next_free_sgpr 0
		.amdhsa_accum_offset 4
		.amdhsa_reserve_vcc 0
		.amdhsa_float_round_mode_32 0
		.amdhsa_float_round_mode_16_64 0
		.amdhsa_float_denorm_mode_32 3
		.amdhsa_float_denorm_mode_16_64 3
		.amdhsa_dx10_clamp 1
		.amdhsa_ieee_mode 1
		.amdhsa_fp16_overflow 0
		.amdhsa_tg_split 0
		.amdhsa_exception_fp_ieee_invalid_op 0
		.amdhsa_exception_fp_denorm_src 0
		.amdhsa_exception_fp_ieee_div_zero 0
		.amdhsa_exception_fp_ieee_overflow 0
		.amdhsa_exception_fp_ieee_underflow 0
		.amdhsa_exception_fp_ieee_inexact 0
		.amdhsa_exception_int_div_zero 0
	.end_amdhsa_kernel
	.section	.text._ZN7rocprim17ROCPRIM_400000_NS6detail17trampoline_kernelINS0_14default_configENS1_35adjacent_difference_config_selectorILb0EdEEZNS1_24adjacent_difference_implIS3_Lb0ELb0EPKdPdN6thrust23THRUST_200600_302600_NS4plusIdEEEE10hipError_tPvRmT2_T3_mT4_P12ihipStream_tbEUlT_E_NS1_11comp_targetILNS1_3genE2ELNS1_11target_archE906ELNS1_3gpuE6ELNS1_3repE0EEENS1_30default_config_static_selectorELNS0_4arch9wavefront6targetE1EEEvT1_,"axG",@progbits,_ZN7rocprim17ROCPRIM_400000_NS6detail17trampoline_kernelINS0_14default_configENS1_35adjacent_difference_config_selectorILb0EdEEZNS1_24adjacent_difference_implIS3_Lb0ELb0EPKdPdN6thrust23THRUST_200600_302600_NS4plusIdEEEE10hipError_tPvRmT2_T3_mT4_P12ihipStream_tbEUlT_E_NS1_11comp_targetILNS1_3genE2ELNS1_11target_archE906ELNS1_3gpuE6ELNS1_3repE0EEENS1_30default_config_static_selectorELNS0_4arch9wavefront6targetE1EEEvT1_,comdat
.Lfunc_end646:
	.size	_ZN7rocprim17ROCPRIM_400000_NS6detail17trampoline_kernelINS0_14default_configENS1_35adjacent_difference_config_selectorILb0EdEEZNS1_24adjacent_difference_implIS3_Lb0ELb0EPKdPdN6thrust23THRUST_200600_302600_NS4plusIdEEEE10hipError_tPvRmT2_T3_mT4_P12ihipStream_tbEUlT_E_NS1_11comp_targetILNS1_3genE2ELNS1_11target_archE906ELNS1_3gpuE6ELNS1_3repE0EEENS1_30default_config_static_selectorELNS0_4arch9wavefront6targetE1EEEvT1_, .Lfunc_end646-_ZN7rocprim17ROCPRIM_400000_NS6detail17trampoline_kernelINS0_14default_configENS1_35adjacent_difference_config_selectorILb0EdEEZNS1_24adjacent_difference_implIS3_Lb0ELb0EPKdPdN6thrust23THRUST_200600_302600_NS4plusIdEEEE10hipError_tPvRmT2_T3_mT4_P12ihipStream_tbEUlT_E_NS1_11comp_targetILNS1_3genE2ELNS1_11target_archE906ELNS1_3gpuE6ELNS1_3repE0EEENS1_30default_config_static_selectorELNS0_4arch9wavefront6targetE1EEEvT1_
                                        ; -- End function
	.section	.AMDGPU.csdata,"",@progbits
; Kernel info:
; codeLenInByte = 0
; NumSgprs: 6
; NumVgprs: 0
; NumAgprs: 0
; TotalNumVgprs: 0
; ScratchSize: 0
; MemoryBound: 0
; FloatMode: 240
; IeeeMode: 1
; LDSByteSize: 0 bytes/workgroup (compile time only)
; SGPRBlocks: 0
; VGPRBlocks: 0
; NumSGPRsForWavesPerEU: 6
; NumVGPRsForWavesPerEU: 1
; AccumOffset: 4
; Occupancy: 8
; WaveLimiterHint : 0
; COMPUTE_PGM_RSRC2:SCRATCH_EN: 0
; COMPUTE_PGM_RSRC2:USER_SGPR: 2
; COMPUTE_PGM_RSRC2:TRAP_HANDLER: 0
; COMPUTE_PGM_RSRC2:TGID_X_EN: 1
; COMPUTE_PGM_RSRC2:TGID_Y_EN: 0
; COMPUTE_PGM_RSRC2:TGID_Z_EN: 0
; COMPUTE_PGM_RSRC2:TIDIG_COMP_CNT: 0
; COMPUTE_PGM_RSRC3_GFX90A:ACCUM_OFFSET: 0
; COMPUTE_PGM_RSRC3_GFX90A:TG_SPLIT: 0
	.section	.text._ZN7rocprim17ROCPRIM_400000_NS6detail17trampoline_kernelINS0_14default_configENS1_35adjacent_difference_config_selectorILb0EdEEZNS1_24adjacent_difference_implIS3_Lb0ELb0EPKdPdN6thrust23THRUST_200600_302600_NS4plusIdEEEE10hipError_tPvRmT2_T3_mT4_P12ihipStream_tbEUlT_E_NS1_11comp_targetILNS1_3genE9ELNS1_11target_archE1100ELNS1_3gpuE3ELNS1_3repE0EEENS1_30default_config_static_selectorELNS0_4arch9wavefront6targetE1EEEvT1_,"axG",@progbits,_ZN7rocprim17ROCPRIM_400000_NS6detail17trampoline_kernelINS0_14default_configENS1_35adjacent_difference_config_selectorILb0EdEEZNS1_24adjacent_difference_implIS3_Lb0ELb0EPKdPdN6thrust23THRUST_200600_302600_NS4plusIdEEEE10hipError_tPvRmT2_T3_mT4_P12ihipStream_tbEUlT_E_NS1_11comp_targetILNS1_3genE9ELNS1_11target_archE1100ELNS1_3gpuE3ELNS1_3repE0EEENS1_30default_config_static_selectorELNS0_4arch9wavefront6targetE1EEEvT1_,comdat
	.protected	_ZN7rocprim17ROCPRIM_400000_NS6detail17trampoline_kernelINS0_14default_configENS1_35adjacent_difference_config_selectorILb0EdEEZNS1_24adjacent_difference_implIS3_Lb0ELb0EPKdPdN6thrust23THRUST_200600_302600_NS4plusIdEEEE10hipError_tPvRmT2_T3_mT4_P12ihipStream_tbEUlT_E_NS1_11comp_targetILNS1_3genE9ELNS1_11target_archE1100ELNS1_3gpuE3ELNS1_3repE0EEENS1_30default_config_static_selectorELNS0_4arch9wavefront6targetE1EEEvT1_ ; -- Begin function _ZN7rocprim17ROCPRIM_400000_NS6detail17trampoline_kernelINS0_14default_configENS1_35adjacent_difference_config_selectorILb0EdEEZNS1_24adjacent_difference_implIS3_Lb0ELb0EPKdPdN6thrust23THRUST_200600_302600_NS4plusIdEEEE10hipError_tPvRmT2_T3_mT4_P12ihipStream_tbEUlT_E_NS1_11comp_targetILNS1_3genE9ELNS1_11target_archE1100ELNS1_3gpuE3ELNS1_3repE0EEENS1_30default_config_static_selectorELNS0_4arch9wavefront6targetE1EEEvT1_
	.globl	_ZN7rocprim17ROCPRIM_400000_NS6detail17trampoline_kernelINS0_14default_configENS1_35adjacent_difference_config_selectorILb0EdEEZNS1_24adjacent_difference_implIS3_Lb0ELb0EPKdPdN6thrust23THRUST_200600_302600_NS4plusIdEEEE10hipError_tPvRmT2_T3_mT4_P12ihipStream_tbEUlT_E_NS1_11comp_targetILNS1_3genE9ELNS1_11target_archE1100ELNS1_3gpuE3ELNS1_3repE0EEENS1_30default_config_static_selectorELNS0_4arch9wavefront6targetE1EEEvT1_
	.p2align	8
	.type	_ZN7rocprim17ROCPRIM_400000_NS6detail17trampoline_kernelINS0_14default_configENS1_35adjacent_difference_config_selectorILb0EdEEZNS1_24adjacent_difference_implIS3_Lb0ELb0EPKdPdN6thrust23THRUST_200600_302600_NS4plusIdEEEE10hipError_tPvRmT2_T3_mT4_P12ihipStream_tbEUlT_E_NS1_11comp_targetILNS1_3genE9ELNS1_11target_archE1100ELNS1_3gpuE3ELNS1_3repE0EEENS1_30default_config_static_selectorELNS0_4arch9wavefront6targetE1EEEvT1_,@function
_ZN7rocprim17ROCPRIM_400000_NS6detail17trampoline_kernelINS0_14default_configENS1_35adjacent_difference_config_selectorILb0EdEEZNS1_24adjacent_difference_implIS3_Lb0ELb0EPKdPdN6thrust23THRUST_200600_302600_NS4plusIdEEEE10hipError_tPvRmT2_T3_mT4_P12ihipStream_tbEUlT_E_NS1_11comp_targetILNS1_3genE9ELNS1_11target_archE1100ELNS1_3gpuE3ELNS1_3repE0EEENS1_30default_config_static_selectorELNS0_4arch9wavefront6targetE1EEEvT1_: ; @_ZN7rocprim17ROCPRIM_400000_NS6detail17trampoline_kernelINS0_14default_configENS1_35adjacent_difference_config_selectorILb0EdEEZNS1_24adjacent_difference_implIS3_Lb0ELb0EPKdPdN6thrust23THRUST_200600_302600_NS4plusIdEEEE10hipError_tPvRmT2_T3_mT4_P12ihipStream_tbEUlT_E_NS1_11comp_targetILNS1_3genE9ELNS1_11target_archE1100ELNS1_3gpuE3ELNS1_3repE0EEENS1_30default_config_static_selectorELNS0_4arch9wavefront6targetE1EEEvT1_
; %bb.0:
	.section	.rodata,"a",@progbits
	.p2align	6, 0x0
	.amdhsa_kernel _ZN7rocprim17ROCPRIM_400000_NS6detail17trampoline_kernelINS0_14default_configENS1_35adjacent_difference_config_selectorILb0EdEEZNS1_24adjacent_difference_implIS3_Lb0ELb0EPKdPdN6thrust23THRUST_200600_302600_NS4plusIdEEEE10hipError_tPvRmT2_T3_mT4_P12ihipStream_tbEUlT_E_NS1_11comp_targetILNS1_3genE9ELNS1_11target_archE1100ELNS1_3gpuE3ELNS1_3repE0EEENS1_30default_config_static_selectorELNS0_4arch9wavefront6targetE1EEEvT1_
		.amdhsa_group_segment_fixed_size 0
		.amdhsa_private_segment_fixed_size 0
		.amdhsa_kernarg_size 56
		.amdhsa_user_sgpr_count 2
		.amdhsa_user_sgpr_dispatch_ptr 0
		.amdhsa_user_sgpr_queue_ptr 0
		.amdhsa_user_sgpr_kernarg_segment_ptr 1
		.amdhsa_user_sgpr_dispatch_id 0
		.amdhsa_user_sgpr_kernarg_preload_length 0
		.amdhsa_user_sgpr_kernarg_preload_offset 0
		.amdhsa_user_sgpr_private_segment_size 0
		.amdhsa_uses_dynamic_stack 0
		.amdhsa_enable_private_segment 0
		.amdhsa_system_sgpr_workgroup_id_x 1
		.amdhsa_system_sgpr_workgroup_id_y 0
		.amdhsa_system_sgpr_workgroup_id_z 0
		.amdhsa_system_sgpr_workgroup_info 0
		.amdhsa_system_vgpr_workitem_id 0
		.amdhsa_next_free_vgpr 1
		.amdhsa_next_free_sgpr 0
		.amdhsa_accum_offset 4
		.amdhsa_reserve_vcc 0
		.amdhsa_float_round_mode_32 0
		.amdhsa_float_round_mode_16_64 0
		.amdhsa_float_denorm_mode_32 3
		.amdhsa_float_denorm_mode_16_64 3
		.amdhsa_dx10_clamp 1
		.amdhsa_ieee_mode 1
		.amdhsa_fp16_overflow 0
		.amdhsa_tg_split 0
		.amdhsa_exception_fp_ieee_invalid_op 0
		.amdhsa_exception_fp_denorm_src 0
		.amdhsa_exception_fp_ieee_div_zero 0
		.amdhsa_exception_fp_ieee_overflow 0
		.amdhsa_exception_fp_ieee_underflow 0
		.amdhsa_exception_fp_ieee_inexact 0
		.amdhsa_exception_int_div_zero 0
	.end_amdhsa_kernel
	.section	.text._ZN7rocprim17ROCPRIM_400000_NS6detail17trampoline_kernelINS0_14default_configENS1_35adjacent_difference_config_selectorILb0EdEEZNS1_24adjacent_difference_implIS3_Lb0ELb0EPKdPdN6thrust23THRUST_200600_302600_NS4plusIdEEEE10hipError_tPvRmT2_T3_mT4_P12ihipStream_tbEUlT_E_NS1_11comp_targetILNS1_3genE9ELNS1_11target_archE1100ELNS1_3gpuE3ELNS1_3repE0EEENS1_30default_config_static_selectorELNS0_4arch9wavefront6targetE1EEEvT1_,"axG",@progbits,_ZN7rocprim17ROCPRIM_400000_NS6detail17trampoline_kernelINS0_14default_configENS1_35adjacent_difference_config_selectorILb0EdEEZNS1_24adjacent_difference_implIS3_Lb0ELb0EPKdPdN6thrust23THRUST_200600_302600_NS4plusIdEEEE10hipError_tPvRmT2_T3_mT4_P12ihipStream_tbEUlT_E_NS1_11comp_targetILNS1_3genE9ELNS1_11target_archE1100ELNS1_3gpuE3ELNS1_3repE0EEENS1_30default_config_static_selectorELNS0_4arch9wavefront6targetE1EEEvT1_,comdat
.Lfunc_end647:
	.size	_ZN7rocprim17ROCPRIM_400000_NS6detail17trampoline_kernelINS0_14default_configENS1_35adjacent_difference_config_selectorILb0EdEEZNS1_24adjacent_difference_implIS3_Lb0ELb0EPKdPdN6thrust23THRUST_200600_302600_NS4plusIdEEEE10hipError_tPvRmT2_T3_mT4_P12ihipStream_tbEUlT_E_NS1_11comp_targetILNS1_3genE9ELNS1_11target_archE1100ELNS1_3gpuE3ELNS1_3repE0EEENS1_30default_config_static_selectorELNS0_4arch9wavefront6targetE1EEEvT1_, .Lfunc_end647-_ZN7rocprim17ROCPRIM_400000_NS6detail17trampoline_kernelINS0_14default_configENS1_35adjacent_difference_config_selectorILb0EdEEZNS1_24adjacent_difference_implIS3_Lb0ELb0EPKdPdN6thrust23THRUST_200600_302600_NS4plusIdEEEE10hipError_tPvRmT2_T3_mT4_P12ihipStream_tbEUlT_E_NS1_11comp_targetILNS1_3genE9ELNS1_11target_archE1100ELNS1_3gpuE3ELNS1_3repE0EEENS1_30default_config_static_selectorELNS0_4arch9wavefront6targetE1EEEvT1_
                                        ; -- End function
	.section	.AMDGPU.csdata,"",@progbits
; Kernel info:
; codeLenInByte = 0
; NumSgprs: 6
; NumVgprs: 0
; NumAgprs: 0
; TotalNumVgprs: 0
; ScratchSize: 0
; MemoryBound: 0
; FloatMode: 240
; IeeeMode: 1
; LDSByteSize: 0 bytes/workgroup (compile time only)
; SGPRBlocks: 0
; VGPRBlocks: 0
; NumSGPRsForWavesPerEU: 6
; NumVGPRsForWavesPerEU: 1
; AccumOffset: 4
; Occupancy: 8
; WaveLimiterHint : 0
; COMPUTE_PGM_RSRC2:SCRATCH_EN: 0
; COMPUTE_PGM_RSRC2:USER_SGPR: 2
; COMPUTE_PGM_RSRC2:TRAP_HANDLER: 0
; COMPUTE_PGM_RSRC2:TGID_X_EN: 1
; COMPUTE_PGM_RSRC2:TGID_Y_EN: 0
; COMPUTE_PGM_RSRC2:TGID_Z_EN: 0
; COMPUTE_PGM_RSRC2:TIDIG_COMP_CNT: 0
; COMPUTE_PGM_RSRC3_GFX90A:ACCUM_OFFSET: 0
; COMPUTE_PGM_RSRC3_GFX90A:TG_SPLIT: 0
	.section	.text._ZN7rocprim17ROCPRIM_400000_NS6detail17trampoline_kernelINS0_14default_configENS1_35adjacent_difference_config_selectorILb0EdEEZNS1_24adjacent_difference_implIS3_Lb0ELb0EPKdPdN6thrust23THRUST_200600_302600_NS4plusIdEEEE10hipError_tPvRmT2_T3_mT4_P12ihipStream_tbEUlT_E_NS1_11comp_targetILNS1_3genE8ELNS1_11target_archE1030ELNS1_3gpuE2ELNS1_3repE0EEENS1_30default_config_static_selectorELNS0_4arch9wavefront6targetE1EEEvT1_,"axG",@progbits,_ZN7rocprim17ROCPRIM_400000_NS6detail17trampoline_kernelINS0_14default_configENS1_35adjacent_difference_config_selectorILb0EdEEZNS1_24adjacent_difference_implIS3_Lb0ELb0EPKdPdN6thrust23THRUST_200600_302600_NS4plusIdEEEE10hipError_tPvRmT2_T3_mT4_P12ihipStream_tbEUlT_E_NS1_11comp_targetILNS1_3genE8ELNS1_11target_archE1030ELNS1_3gpuE2ELNS1_3repE0EEENS1_30default_config_static_selectorELNS0_4arch9wavefront6targetE1EEEvT1_,comdat
	.protected	_ZN7rocprim17ROCPRIM_400000_NS6detail17trampoline_kernelINS0_14default_configENS1_35adjacent_difference_config_selectorILb0EdEEZNS1_24adjacent_difference_implIS3_Lb0ELb0EPKdPdN6thrust23THRUST_200600_302600_NS4plusIdEEEE10hipError_tPvRmT2_T3_mT4_P12ihipStream_tbEUlT_E_NS1_11comp_targetILNS1_3genE8ELNS1_11target_archE1030ELNS1_3gpuE2ELNS1_3repE0EEENS1_30default_config_static_selectorELNS0_4arch9wavefront6targetE1EEEvT1_ ; -- Begin function _ZN7rocprim17ROCPRIM_400000_NS6detail17trampoline_kernelINS0_14default_configENS1_35adjacent_difference_config_selectorILb0EdEEZNS1_24adjacent_difference_implIS3_Lb0ELb0EPKdPdN6thrust23THRUST_200600_302600_NS4plusIdEEEE10hipError_tPvRmT2_T3_mT4_P12ihipStream_tbEUlT_E_NS1_11comp_targetILNS1_3genE8ELNS1_11target_archE1030ELNS1_3gpuE2ELNS1_3repE0EEENS1_30default_config_static_selectorELNS0_4arch9wavefront6targetE1EEEvT1_
	.globl	_ZN7rocprim17ROCPRIM_400000_NS6detail17trampoline_kernelINS0_14default_configENS1_35adjacent_difference_config_selectorILb0EdEEZNS1_24adjacent_difference_implIS3_Lb0ELb0EPKdPdN6thrust23THRUST_200600_302600_NS4plusIdEEEE10hipError_tPvRmT2_T3_mT4_P12ihipStream_tbEUlT_E_NS1_11comp_targetILNS1_3genE8ELNS1_11target_archE1030ELNS1_3gpuE2ELNS1_3repE0EEENS1_30default_config_static_selectorELNS0_4arch9wavefront6targetE1EEEvT1_
	.p2align	8
	.type	_ZN7rocprim17ROCPRIM_400000_NS6detail17trampoline_kernelINS0_14default_configENS1_35adjacent_difference_config_selectorILb0EdEEZNS1_24adjacent_difference_implIS3_Lb0ELb0EPKdPdN6thrust23THRUST_200600_302600_NS4plusIdEEEE10hipError_tPvRmT2_T3_mT4_P12ihipStream_tbEUlT_E_NS1_11comp_targetILNS1_3genE8ELNS1_11target_archE1030ELNS1_3gpuE2ELNS1_3repE0EEENS1_30default_config_static_selectorELNS0_4arch9wavefront6targetE1EEEvT1_,@function
_ZN7rocprim17ROCPRIM_400000_NS6detail17trampoline_kernelINS0_14default_configENS1_35adjacent_difference_config_selectorILb0EdEEZNS1_24adjacent_difference_implIS3_Lb0ELb0EPKdPdN6thrust23THRUST_200600_302600_NS4plusIdEEEE10hipError_tPvRmT2_T3_mT4_P12ihipStream_tbEUlT_E_NS1_11comp_targetILNS1_3genE8ELNS1_11target_archE1030ELNS1_3gpuE2ELNS1_3repE0EEENS1_30default_config_static_selectorELNS0_4arch9wavefront6targetE1EEEvT1_: ; @_ZN7rocprim17ROCPRIM_400000_NS6detail17trampoline_kernelINS0_14default_configENS1_35adjacent_difference_config_selectorILb0EdEEZNS1_24adjacent_difference_implIS3_Lb0ELb0EPKdPdN6thrust23THRUST_200600_302600_NS4plusIdEEEE10hipError_tPvRmT2_T3_mT4_P12ihipStream_tbEUlT_E_NS1_11comp_targetILNS1_3genE8ELNS1_11target_archE1030ELNS1_3gpuE2ELNS1_3repE0EEENS1_30default_config_static_selectorELNS0_4arch9wavefront6targetE1EEEvT1_
; %bb.0:
	.section	.rodata,"a",@progbits
	.p2align	6, 0x0
	.amdhsa_kernel _ZN7rocprim17ROCPRIM_400000_NS6detail17trampoline_kernelINS0_14default_configENS1_35adjacent_difference_config_selectorILb0EdEEZNS1_24adjacent_difference_implIS3_Lb0ELb0EPKdPdN6thrust23THRUST_200600_302600_NS4plusIdEEEE10hipError_tPvRmT2_T3_mT4_P12ihipStream_tbEUlT_E_NS1_11comp_targetILNS1_3genE8ELNS1_11target_archE1030ELNS1_3gpuE2ELNS1_3repE0EEENS1_30default_config_static_selectorELNS0_4arch9wavefront6targetE1EEEvT1_
		.amdhsa_group_segment_fixed_size 0
		.amdhsa_private_segment_fixed_size 0
		.amdhsa_kernarg_size 56
		.amdhsa_user_sgpr_count 2
		.amdhsa_user_sgpr_dispatch_ptr 0
		.amdhsa_user_sgpr_queue_ptr 0
		.amdhsa_user_sgpr_kernarg_segment_ptr 1
		.amdhsa_user_sgpr_dispatch_id 0
		.amdhsa_user_sgpr_kernarg_preload_length 0
		.amdhsa_user_sgpr_kernarg_preload_offset 0
		.amdhsa_user_sgpr_private_segment_size 0
		.amdhsa_uses_dynamic_stack 0
		.amdhsa_enable_private_segment 0
		.amdhsa_system_sgpr_workgroup_id_x 1
		.amdhsa_system_sgpr_workgroup_id_y 0
		.amdhsa_system_sgpr_workgroup_id_z 0
		.amdhsa_system_sgpr_workgroup_info 0
		.amdhsa_system_vgpr_workitem_id 0
		.amdhsa_next_free_vgpr 1
		.amdhsa_next_free_sgpr 0
		.amdhsa_accum_offset 4
		.amdhsa_reserve_vcc 0
		.amdhsa_float_round_mode_32 0
		.amdhsa_float_round_mode_16_64 0
		.amdhsa_float_denorm_mode_32 3
		.amdhsa_float_denorm_mode_16_64 3
		.amdhsa_dx10_clamp 1
		.amdhsa_ieee_mode 1
		.amdhsa_fp16_overflow 0
		.amdhsa_tg_split 0
		.amdhsa_exception_fp_ieee_invalid_op 0
		.amdhsa_exception_fp_denorm_src 0
		.amdhsa_exception_fp_ieee_div_zero 0
		.amdhsa_exception_fp_ieee_overflow 0
		.amdhsa_exception_fp_ieee_underflow 0
		.amdhsa_exception_fp_ieee_inexact 0
		.amdhsa_exception_int_div_zero 0
	.end_amdhsa_kernel
	.section	.text._ZN7rocprim17ROCPRIM_400000_NS6detail17trampoline_kernelINS0_14default_configENS1_35adjacent_difference_config_selectorILb0EdEEZNS1_24adjacent_difference_implIS3_Lb0ELb0EPKdPdN6thrust23THRUST_200600_302600_NS4plusIdEEEE10hipError_tPvRmT2_T3_mT4_P12ihipStream_tbEUlT_E_NS1_11comp_targetILNS1_3genE8ELNS1_11target_archE1030ELNS1_3gpuE2ELNS1_3repE0EEENS1_30default_config_static_selectorELNS0_4arch9wavefront6targetE1EEEvT1_,"axG",@progbits,_ZN7rocprim17ROCPRIM_400000_NS6detail17trampoline_kernelINS0_14default_configENS1_35adjacent_difference_config_selectorILb0EdEEZNS1_24adjacent_difference_implIS3_Lb0ELb0EPKdPdN6thrust23THRUST_200600_302600_NS4plusIdEEEE10hipError_tPvRmT2_T3_mT4_P12ihipStream_tbEUlT_E_NS1_11comp_targetILNS1_3genE8ELNS1_11target_archE1030ELNS1_3gpuE2ELNS1_3repE0EEENS1_30default_config_static_selectorELNS0_4arch9wavefront6targetE1EEEvT1_,comdat
.Lfunc_end648:
	.size	_ZN7rocprim17ROCPRIM_400000_NS6detail17trampoline_kernelINS0_14default_configENS1_35adjacent_difference_config_selectorILb0EdEEZNS1_24adjacent_difference_implIS3_Lb0ELb0EPKdPdN6thrust23THRUST_200600_302600_NS4plusIdEEEE10hipError_tPvRmT2_T3_mT4_P12ihipStream_tbEUlT_E_NS1_11comp_targetILNS1_3genE8ELNS1_11target_archE1030ELNS1_3gpuE2ELNS1_3repE0EEENS1_30default_config_static_selectorELNS0_4arch9wavefront6targetE1EEEvT1_, .Lfunc_end648-_ZN7rocprim17ROCPRIM_400000_NS6detail17trampoline_kernelINS0_14default_configENS1_35adjacent_difference_config_selectorILb0EdEEZNS1_24adjacent_difference_implIS3_Lb0ELb0EPKdPdN6thrust23THRUST_200600_302600_NS4plusIdEEEE10hipError_tPvRmT2_T3_mT4_P12ihipStream_tbEUlT_E_NS1_11comp_targetILNS1_3genE8ELNS1_11target_archE1030ELNS1_3gpuE2ELNS1_3repE0EEENS1_30default_config_static_selectorELNS0_4arch9wavefront6targetE1EEEvT1_
                                        ; -- End function
	.section	.AMDGPU.csdata,"",@progbits
; Kernel info:
; codeLenInByte = 0
; NumSgprs: 6
; NumVgprs: 0
; NumAgprs: 0
; TotalNumVgprs: 0
; ScratchSize: 0
; MemoryBound: 0
; FloatMode: 240
; IeeeMode: 1
; LDSByteSize: 0 bytes/workgroup (compile time only)
; SGPRBlocks: 0
; VGPRBlocks: 0
; NumSGPRsForWavesPerEU: 6
; NumVGPRsForWavesPerEU: 1
; AccumOffset: 4
; Occupancy: 8
; WaveLimiterHint : 0
; COMPUTE_PGM_RSRC2:SCRATCH_EN: 0
; COMPUTE_PGM_RSRC2:USER_SGPR: 2
; COMPUTE_PGM_RSRC2:TRAP_HANDLER: 0
; COMPUTE_PGM_RSRC2:TGID_X_EN: 1
; COMPUTE_PGM_RSRC2:TGID_Y_EN: 0
; COMPUTE_PGM_RSRC2:TGID_Z_EN: 0
; COMPUTE_PGM_RSRC2:TIDIG_COMP_CNT: 0
; COMPUTE_PGM_RSRC3_GFX90A:ACCUM_OFFSET: 0
; COMPUTE_PGM_RSRC3_GFX90A:TG_SPLIT: 0
	.section	.text._ZN7rocprim17ROCPRIM_400000_NS6detail17trampoline_kernelINS0_14default_configENS1_25transform_config_selectorIdLb0EEEZNS1_14transform_implILb0ES3_S5_NS0_18transform_iteratorINS0_17counting_iteratorImlEEZNS1_24adjacent_difference_implIS3_Lb1ELb0EPKdPdN6thrust23THRUST_200600_302600_NS4plusIdEEEE10hipError_tPvRmT2_T3_mT4_P12ihipStream_tbEUlmE_dEESD_NS0_8identityIvEEEESI_SL_SM_mSN_SP_bEUlT_E_NS1_11comp_targetILNS1_3genE0ELNS1_11target_archE4294967295ELNS1_3gpuE0ELNS1_3repE0EEENS1_30default_config_static_selectorELNS0_4arch9wavefront6targetE1EEEvT1_,"axG",@progbits,_ZN7rocprim17ROCPRIM_400000_NS6detail17trampoline_kernelINS0_14default_configENS1_25transform_config_selectorIdLb0EEEZNS1_14transform_implILb0ES3_S5_NS0_18transform_iteratorINS0_17counting_iteratorImlEEZNS1_24adjacent_difference_implIS3_Lb1ELb0EPKdPdN6thrust23THRUST_200600_302600_NS4plusIdEEEE10hipError_tPvRmT2_T3_mT4_P12ihipStream_tbEUlmE_dEESD_NS0_8identityIvEEEESI_SL_SM_mSN_SP_bEUlT_E_NS1_11comp_targetILNS1_3genE0ELNS1_11target_archE4294967295ELNS1_3gpuE0ELNS1_3repE0EEENS1_30default_config_static_selectorELNS0_4arch9wavefront6targetE1EEEvT1_,comdat
	.protected	_ZN7rocprim17ROCPRIM_400000_NS6detail17trampoline_kernelINS0_14default_configENS1_25transform_config_selectorIdLb0EEEZNS1_14transform_implILb0ES3_S5_NS0_18transform_iteratorINS0_17counting_iteratorImlEEZNS1_24adjacent_difference_implIS3_Lb1ELb0EPKdPdN6thrust23THRUST_200600_302600_NS4plusIdEEEE10hipError_tPvRmT2_T3_mT4_P12ihipStream_tbEUlmE_dEESD_NS0_8identityIvEEEESI_SL_SM_mSN_SP_bEUlT_E_NS1_11comp_targetILNS1_3genE0ELNS1_11target_archE4294967295ELNS1_3gpuE0ELNS1_3repE0EEENS1_30default_config_static_selectorELNS0_4arch9wavefront6targetE1EEEvT1_ ; -- Begin function _ZN7rocprim17ROCPRIM_400000_NS6detail17trampoline_kernelINS0_14default_configENS1_25transform_config_selectorIdLb0EEEZNS1_14transform_implILb0ES3_S5_NS0_18transform_iteratorINS0_17counting_iteratorImlEEZNS1_24adjacent_difference_implIS3_Lb1ELb0EPKdPdN6thrust23THRUST_200600_302600_NS4plusIdEEEE10hipError_tPvRmT2_T3_mT4_P12ihipStream_tbEUlmE_dEESD_NS0_8identityIvEEEESI_SL_SM_mSN_SP_bEUlT_E_NS1_11comp_targetILNS1_3genE0ELNS1_11target_archE4294967295ELNS1_3gpuE0ELNS1_3repE0EEENS1_30default_config_static_selectorELNS0_4arch9wavefront6targetE1EEEvT1_
	.globl	_ZN7rocprim17ROCPRIM_400000_NS6detail17trampoline_kernelINS0_14default_configENS1_25transform_config_selectorIdLb0EEEZNS1_14transform_implILb0ES3_S5_NS0_18transform_iteratorINS0_17counting_iteratorImlEEZNS1_24adjacent_difference_implIS3_Lb1ELb0EPKdPdN6thrust23THRUST_200600_302600_NS4plusIdEEEE10hipError_tPvRmT2_T3_mT4_P12ihipStream_tbEUlmE_dEESD_NS0_8identityIvEEEESI_SL_SM_mSN_SP_bEUlT_E_NS1_11comp_targetILNS1_3genE0ELNS1_11target_archE4294967295ELNS1_3gpuE0ELNS1_3repE0EEENS1_30default_config_static_selectorELNS0_4arch9wavefront6targetE1EEEvT1_
	.p2align	8
	.type	_ZN7rocprim17ROCPRIM_400000_NS6detail17trampoline_kernelINS0_14default_configENS1_25transform_config_selectorIdLb0EEEZNS1_14transform_implILb0ES3_S5_NS0_18transform_iteratorINS0_17counting_iteratorImlEEZNS1_24adjacent_difference_implIS3_Lb1ELb0EPKdPdN6thrust23THRUST_200600_302600_NS4plusIdEEEE10hipError_tPvRmT2_T3_mT4_P12ihipStream_tbEUlmE_dEESD_NS0_8identityIvEEEESI_SL_SM_mSN_SP_bEUlT_E_NS1_11comp_targetILNS1_3genE0ELNS1_11target_archE4294967295ELNS1_3gpuE0ELNS1_3repE0EEENS1_30default_config_static_selectorELNS0_4arch9wavefront6targetE1EEEvT1_,@function
_ZN7rocprim17ROCPRIM_400000_NS6detail17trampoline_kernelINS0_14default_configENS1_25transform_config_selectorIdLb0EEEZNS1_14transform_implILb0ES3_S5_NS0_18transform_iteratorINS0_17counting_iteratorImlEEZNS1_24adjacent_difference_implIS3_Lb1ELb0EPKdPdN6thrust23THRUST_200600_302600_NS4plusIdEEEE10hipError_tPvRmT2_T3_mT4_P12ihipStream_tbEUlmE_dEESD_NS0_8identityIvEEEESI_SL_SM_mSN_SP_bEUlT_E_NS1_11comp_targetILNS1_3genE0ELNS1_11target_archE4294967295ELNS1_3gpuE0ELNS1_3repE0EEENS1_30default_config_static_selectorELNS0_4arch9wavefront6targetE1EEEvT1_: ; @_ZN7rocprim17ROCPRIM_400000_NS6detail17trampoline_kernelINS0_14default_configENS1_25transform_config_selectorIdLb0EEEZNS1_14transform_implILb0ES3_S5_NS0_18transform_iteratorINS0_17counting_iteratorImlEEZNS1_24adjacent_difference_implIS3_Lb1ELb0EPKdPdN6thrust23THRUST_200600_302600_NS4plusIdEEEE10hipError_tPvRmT2_T3_mT4_P12ihipStream_tbEUlmE_dEESD_NS0_8identityIvEEEESI_SL_SM_mSN_SP_bEUlT_E_NS1_11comp_targetILNS1_3genE0ELNS1_11target_archE4294967295ELNS1_3gpuE0ELNS1_3repE0EEENS1_30default_config_static_selectorELNS0_4arch9wavefront6targetE1EEEvT1_
; %bb.0:
	.section	.rodata,"a",@progbits
	.p2align	6, 0x0
	.amdhsa_kernel _ZN7rocprim17ROCPRIM_400000_NS6detail17trampoline_kernelINS0_14default_configENS1_25transform_config_selectorIdLb0EEEZNS1_14transform_implILb0ES3_S5_NS0_18transform_iteratorINS0_17counting_iteratorImlEEZNS1_24adjacent_difference_implIS3_Lb1ELb0EPKdPdN6thrust23THRUST_200600_302600_NS4plusIdEEEE10hipError_tPvRmT2_T3_mT4_P12ihipStream_tbEUlmE_dEESD_NS0_8identityIvEEEESI_SL_SM_mSN_SP_bEUlT_E_NS1_11comp_targetILNS1_3genE0ELNS1_11target_archE4294967295ELNS1_3gpuE0ELNS1_3repE0EEENS1_30default_config_static_selectorELNS0_4arch9wavefront6targetE1EEEvT1_
		.amdhsa_group_segment_fixed_size 0
		.amdhsa_private_segment_fixed_size 0
		.amdhsa_kernarg_size 56
		.amdhsa_user_sgpr_count 2
		.amdhsa_user_sgpr_dispatch_ptr 0
		.amdhsa_user_sgpr_queue_ptr 0
		.amdhsa_user_sgpr_kernarg_segment_ptr 1
		.amdhsa_user_sgpr_dispatch_id 0
		.amdhsa_user_sgpr_kernarg_preload_length 0
		.amdhsa_user_sgpr_kernarg_preload_offset 0
		.amdhsa_user_sgpr_private_segment_size 0
		.amdhsa_uses_dynamic_stack 0
		.amdhsa_enable_private_segment 0
		.amdhsa_system_sgpr_workgroup_id_x 1
		.amdhsa_system_sgpr_workgroup_id_y 0
		.amdhsa_system_sgpr_workgroup_id_z 0
		.amdhsa_system_sgpr_workgroup_info 0
		.amdhsa_system_vgpr_workitem_id 0
		.amdhsa_next_free_vgpr 1
		.amdhsa_next_free_sgpr 0
		.amdhsa_accum_offset 4
		.amdhsa_reserve_vcc 0
		.amdhsa_float_round_mode_32 0
		.amdhsa_float_round_mode_16_64 0
		.amdhsa_float_denorm_mode_32 3
		.amdhsa_float_denorm_mode_16_64 3
		.amdhsa_dx10_clamp 1
		.amdhsa_ieee_mode 1
		.amdhsa_fp16_overflow 0
		.amdhsa_tg_split 0
		.amdhsa_exception_fp_ieee_invalid_op 0
		.amdhsa_exception_fp_denorm_src 0
		.amdhsa_exception_fp_ieee_div_zero 0
		.amdhsa_exception_fp_ieee_overflow 0
		.amdhsa_exception_fp_ieee_underflow 0
		.amdhsa_exception_fp_ieee_inexact 0
		.amdhsa_exception_int_div_zero 0
	.end_amdhsa_kernel
	.section	.text._ZN7rocprim17ROCPRIM_400000_NS6detail17trampoline_kernelINS0_14default_configENS1_25transform_config_selectorIdLb0EEEZNS1_14transform_implILb0ES3_S5_NS0_18transform_iteratorINS0_17counting_iteratorImlEEZNS1_24adjacent_difference_implIS3_Lb1ELb0EPKdPdN6thrust23THRUST_200600_302600_NS4plusIdEEEE10hipError_tPvRmT2_T3_mT4_P12ihipStream_tbEUlmE_dEESD_NS0_8identityIvEEEESI_SL_SM_mSN_SP_bEUlT_E_NS1_11comp_targetILNS1_3genE0ELNS1_11target_archE4294967295ELNS1_3gpuE0ELNS1_3repE0EEENS1_30default_config_static_selectorELNS0_4arch9wavefront6targetE1EEEvT1_,"axG",@progbits,_ZN7rocprim17ROCPRIM_400000_NS6detail17trampoline_kernelINS0_14default_configENS1_25transform_config_selectorIdLb0EEEZNS1_14transform_implILb0ES3_S5_NS0_18transform_iteratorINS0_17counting_iteratorImlEEZNS1_24adjacent_difference_implIS3_Lb1ELb0EPKdPdN6thrust23THRUST_200600_302600_NS4plusIdEEEE10hipError_tPvRmT2_T3_mT4_P12ihipStream_tbEUlmE_dEESD_NS0_8identityIvEEEESI_SL_SM_mSN_SP_bEUlT_E_NS1_11comp_targetILNS1_3genE0ELNS1_11target_archE4294967295ELNS1_3gpuE0ELNS1_3repE0EEENS1_30default_config_static_selectorELNS0_4arch9wavefront6targetE1EEEvT1_,comdat
.Lfunc_end649:
	.size	_ZN7rocprim17ROCPRIM_400000_NS6detail17trampoline_kernelINS0_14default_configENS1_25transform_config_selectorIdLb0EEEZNS1_14transform_implILb0ES3_S5_NS0_18transform_iteratorINS0_17counting_iteratorImlEEZNS1_24adjacent_difference_implIS3_Lb1ELb0EPKdPdN6thrust23THRUST_200600_302600_NS4plusIdEEEE10hipError_tPvRmT2_T3_mT4_P12ihipStream_tbEUlmE_dEESD_NS0_8identityIvEEEESI_SL_SM_mSN_SP_bEUlT_E_NS1_11comp_targetILNS1_3genE0ELNS1_11target_archE4294967295ELNS1_3gpuE0ELNS1_3repE0EEENS1_30default_config_static_selectorELNS0_4arch9wavefront6targetE1EEEvT1_, .Lfunc_end649-_ZN7rocprim17ROCPRIM_400000_NS6detail17trampoline_kernelINS0_14default_configENS1_25transform_config_selectorIdLb0EEEZNS1_14transform_implILb0ES3_S5_NS0_18transform_iteratorINS0_17counting_iteratorImlEEZNS1_24adjacent_difference_implIS3_Lb1ELb0EPKdPdN6thrust23THRUST_200600_302600_NS4plusIdEEEE10hipError_tPvRmT2_T3_mT4_P12ihipStream_tbEUlmE_dEESD_NS0_8identityIvEEEESI_SL_SM_mSN_SP_bEUlT_E_NS1_11comp_targetILNS1_3genE0ELNS1_11target_archE4294967295ELNS1_3gpuE0ELNS1_3repE0EEENS1_30default_config_static_selectorELNS0_4arch9wavefront6targetE1EEEvT1_
                                        ; -- End function
	.section	.AMDGPU.csdata,"",@progbits
; Kernel info:
; codeLenInByte = 0
; NumSgprs: 6
; NumVgprs: 0
; NumAgprs: 0
; TotalNumVgprs: 0
; ScratchSize: 0
; MemoryBound: 0
; FloatMode: 240
; IeeeMode: 1
; LDSByteSize: 0 bytes/workgroup (compile time only)
; SGPRBlocks: 0
; VGPRBlocks: 0
; NumSGPRsForWavesPerEU: 6
; NumVGPRsForWavesPerEU: 1
; AccumOffset: 4
; Occupancy: 8
; WaveLimiterHint : 0
; COMPUTE_PGM_RSRC2:SCRATCH_EN: 0
; COMPUTE_PGM_RSRC2:USER_SGPR: 2
; COMPUTE_PGM_RSRC2:TRAP_HANDLER: 0
; COMPUTE_PGM_RSRC2:TGID_X_EN: 1
; COMPUTE_PGM_RSRC2:TGID_Y_EN: 0
; COMPUTE_PGM_RSRC2:TGID_Z_EN: 0
; COMPUTE_PGM_RSRC2:TIDIG_COMP_CNT: 0
; COMPUTE_PGM_RSRC3_GFX90A:ACCUM_OFFSET: 0
; COMPUTE_PGM_RSRC3_GFX90A:TG_SPLIT: 0
	.section	.text._ZN7rocprim17ROCPRIM_400000_NS6detail17trampoline_kernelINS0_14default_configENS1_25transform_config_selectorIdLb0EEEZNS1_14transform_implILb0ES3_S5_NS0_18transform_iteratorINS0_17counting_iteratorImlEEZNS1_24adjacent_difference_implIS3_Lb1ELb0EPKdPdN6thrust23THRUST_200600_302600_NS4plusIdEEEE10hipError_tPvRmT2_T3_mT4_P12ihipStream_tbEUlmE_dEESD_NS0_8identityIvEEEESI_SL_SM_mSN_SP_bEUlT_E_NS1_11comp_targetILNS1_3genE5ELNS1_11target_archE942ELNS1_3gpuE9ELNS1_3repE0EEENS1_30default_config_static_selectorELNS0_4arch9wavefront6targetE1EEEvT1_,"axG",@progbits,_ZN7rocprim17ROCPRIM_400000_NS6detail17trampoline_kernelINS0_14default_configENS1_25transform_config_selectorIdLb0EEEZNS1_14transform_implILb0ES3_S5_NS0_18transform_iteratorINS0_17counting_iteratorImlEEZNS1_24adjacent_difference_implIS3_Lb1ELb0EPKdPdN6thrust23THRUST_200600_302600_NS4plusIdEEEE10hipError_tPvRmT2_T3_mT4_P12ihipStream_tbEUlmE_dEESD_NS0_8identityIvEEEESI_SL_SM_mSN_SP_bEUlT_E_NS1_11comp_targetILNS1_3genE5ELNS1_11target_archE942ELNS1_3gpuE9ELNS1_3repE0EEENS1_30default_config_static_selectorELNS0_4arch9wavefront6targetE1EEEvT1_,comdat
	.protected	_ZN7rocprim17ROCPRIM_400000_NS6detail17trampoline_kernelINS0_14default_configENS1_25transform_config_selectorIdLb0EEEZNS1_14transform_implILb0ES3_S5_NS0_18transform_iteratorINS0_17counting_iteratorImlEEZNS1_24adjacent_difference_implIS3_Lb1ELb0EPKdPdN6thrust23THRUST_200600_302600_NS4plusIdEEEE10hipError_tPvRmT2_T3_mT4_P12ihipStream_tbEUlmE_dEESD_NS0_8identityIvEEEESI_SL_SM_mSN_SP_bEUlT_E_NS1_11comp_targetILNS1_3genE5ELNS1_11target_archE942ELNS1_3gpuE9ELNS1_3repE0EEENS1_30default_config_static_selectorELNS0_4arch9wavefront6targetE1EEEvT1_ ; -- Begin function _ZN7rocprim17ROCPRIM_400000_NS6detail17trampoline_kernelINS0_14default_configENS1_25transform_config_selectorIdLb0EEEZNS1_14transform_implILb0ES3_S5_NS0_18transform_iteratorINS0_17counting_iteratorImlEEZNS1_24adjacent_difference_implIS3_Lb1ELb0EPKdPdN6thrust23THRUST_200600_302600_NS4plusIdEEEE10hipError_tPvRmT2_T3_mT4_P12ihipStream_tbEUlmE_dEESD_NS0_8identityIvEEEESI_SL_SM_mSN_SP_bEUlT_E_NS1_11comp_targetILNS1_3genE5ELNS1_11target_archE942ELNS1_3gpuE9ELNS1_3repE0EEENS1_30default_config_static_selectorELNS0_4arch9wavefront6targetE1EEEvT1_
	.globl	_ZN7rocprim17ROCPRIM_400000_NS6detail17trampoline_kernelINS0_14default_configENS1_25transform_config_selectorIdLb0EEEZNS1_14transform_implILb0ES3_S5_NS0_18transform_iteratorINS0_17counting_iteratorImlEEZNS1_24adjacent_difference_implIS3_Lb1ELb0EPKdPdN6thrust23THRUST_200600_302600_NS4plusIdEEEE10hipError_tPvRmT2_T3_mT4_P12ihipStream_tbEUlmE_dEESD_NS0_8identityIvEEEESI_SL_SM_mSN_SP_bEUlT_E_NS1_11comp_targetILNS1_3genE5ELNS1_11target_archE942ELNS1_3gpuE9ELNS1_3repE0EEENS1_30default_config_static_selectorELNS0_4arch9wavefront6targetE1EEEvT1_
	.p2align	8
	.type	_ZN7rocprim17ROCPRIM_400000_NS6detail17trampoline_kernelINS0_14default_configENS1_25transform_config_selectorIdLb0EEEZNS1_14transform_implILb0ES3_S5_NS0_18transform_iteratorINS0_17counting_iteratorImlEEZNS1_24adjacent_difference_implIS3_Lb1ELb0EPKdPdN6thrust23THRUST_200600_302600_NS4plusIdEEEE10hipError_tPvRmT2_T3_mT4_P12ihipStream_tbEUlmE_dEESD_NS0_8identityIvEEEESI_SL_SM_mSN_SP_bEUlT_E_NS1_11comp_targetILNS1_3genE5ELNS1_11target_archE942ELNS1_3gpuE9ELNS1_3repE0EEENS1_30default_config_static_selectorELNS0_4arch9wavefront6targetE1EEEvT1_,@function
_ZN7rocprim17ROCPRIM_400000_NS6detail17trampoline_kernelINS0_14default_configENS1_25transform_config_selectorIdLb0EEEZNS1_14transform_implILb0ES3_S5_NS0_18transform_iteratorINS0_17counting_iteratorImlEEZNS1_24adjacent_difference_implIS3_Lb1ELb0EPKdPdN6thrust23THRUST_200600_302600_NS4plusIdEEEE10hipError_tPvRmT2_T3_mT4_P12ihipStream_tbEUlmE_dEESD_NS0_8identityIvEEEESI_SL_SM_mSN_SP_bEUlT_E_NS1_11comp_targetILNS1_3genE5ELNS1_11target_archE942ELNS1_3gpuE9ELNS1_3repE0EEENS1_30default_config_static_selectorELNS0_4arch9wavefront6targetE1EEEvT1_: ; @_ZN7rocprim17ROCPRIM_400000_NS6detail17trampoline_kernelINS0_14default_configENS1_25transform_config_selectorIdLb0EEEZNS1_14transform_implILb0ES3_S5_NS0_18transform_iteratorINS0_17counting_iteratorImlEEZNS1_24adjacent_difference_implIS3_Lb1ELb0EPKdPdN6thrust23THRUST_200600_302600_NS4plusIdEEEE10hipError_tPvRmT2_T3_mT4_P12ihipStream_tbEUlmE_dEESD_NS0_8identityIvEEEESI_SL_SM_mSN_SP_bEUlT_E_NS1_11comp_targetILNS1_3genE5ELNS1_11target_archE942ELNS1_3gpuE9ELNS1_3repE0EEENS1_30default_config_static_selectorELNS0_4arch9wavefront6targetE1EEEvT1_
; %bb.0:
	s_load_dwordx4 s[8:11], s[0:1], 0x18
	s_load_dwordx2 s[14:15], s[0:1], 0x28
	s_load_dwordx4 s[4:7], s[0:1], 0x0
	s_load_dword s12, s[0:1], 0x10
	s_load_dword s3, s[0:1], 0x38
	s_waitcnt lgkmcnt(0)
	s_lshl_b64 s[0:1], s[8:9], 3
	s_add_u32 s16, s14, s0
	s_addc_u32 s17, s15, s1
	s_lshl_b32 s14, s2, 11
	s_add_i32 s3, s3, -1
	s_add_u32 s0, s4, s14
	s_addc_u32 s1, s5, 0
	s_add_u32 s4, s0, s8
	s_addc_u32 s5, s1, s9
	s_mov_b32 s15, 0
	s_cmp_lg_u32 s2, s3
	v_lshlrev_b32_e32 v10, 3, v0
	s_cbranch_scc0 .LBB650_2
; %bb.1:
	v_mov_b32_e32 v1, 0
	v_lshl_add_u64 v[2:3], s[4:5], 0, v[0:1]
	v_mad_u64_u32 v[4:5], s[0:1], v2, s12, 0
	v_mov_b32_e32 v2, v5
	v_mad_u64_u32 v[2:3], s[0:1], v3, s12, v[2:3]
	s_mov_b32 s13, s15
	v_mov_b32_e32 v5, v2
	v_lshl_add_u64 v[2:3], v[4:5], 3, s[6:7]
	s_lshl_b64 s[0:1], s[12:13], 12
	v_lshl_add_u64 v[4:5], v[2:3], 0, s[0:1]
	v_lshl_add_u64 v[6:7], v[4:5], 0, s[0:1]
	global_load_dwordx2 v[14:15], v[2:3], off
	global_load_dwordx2 v[16:17], v[4:5], off
	;; [unrolled: 1-line block ×3, first 2 shown]
	v_lshl_add_u64 v[2:3], v[6:7], 0, s[0:1]
	global_load_dwordx2 v[8:9], v[2:3], off
	s_lshl_b64 s[2:3], s[14:15], 3
	s_add_u32 s2, s16, s2
	v_mov_b32_e32 v11, v1
	s_addc_u32 s3, s17, s3
	v_lshl_add_u64 v[12:13], s[2:3], 0, v[10:11]
	v_add_co_u32_e32 v2, vcc, 0x1000, v12
	s_nop 1
	v_addc_co_u32_e32 v3, vcc, 0, v13, vcc
	v_add_co_u32_e32 v4, vcc, 0x2000, v12
	s_mov_b64 s[8:9], -1
	s_nop 0
	v_addc_co_u32_e32 v5, vcc, 0, v13, vcc
	s_waitcnt vmcnt(3)
	global_store_dwordx2 v10, v[14:15], s[2:3]
	s_waitcnt vmcnt(3)
	global_store_dwordx2 v[2:3], v[16:17], off
	s_waitcnt vmcnt(3)
	global_store_dwordx2 v[4:5], v[18:19], off
	s_cbranch_execz .LBB650_3
	s_branch .LBB650_16
.LBB650_2:
	s_mov_b64 s[8:9], 0
                                        ; implicit-def: $vgpr8_vgpr9
                                        ; implicit-def: $vgpr12_vgpr13
.LBB650_3:
	s_sub_i32 s10, s10, s14
	v_cmp_gt_u32_e32 vcc, s10, v0
                                        ; implicit-def: $vgpr2_vgpr3_vgpr4_vgpr5_vgpr6_vgpr7_vgpr8_vgpr9
	s_and_saveexec_b64 s[0:1], vcc
	s_cbranch_execz .LBB650_5
; %bb.4:
	v_mov_b32_e32 v1, 0
	v_lshl_add_u64 v[2:3], s[4:5], 0, v[0:1]
	v_mad_u64_u32 v[4:5], s[2:3], v2, s12, 0
	v_mov_b32_e32 v2, v5
	v_mad_u64_u32 v[2:3], s[2:3], v3, s12, v[2:3]
	v_mov_b32_e32 v5, v2
	v_lshl_add_u64 v[2:3], v[4:5], 3, s[6:7]
	global_load_dwordx2 v[2:3], v[2:3], off
.LBB650_5:
	s_or_b64 exec, exec, s[0:1]
	v_or_b32_e32 v12, 0x200, v0
	v_cmp_gt_u32_e64 s[0:1], s10, v12
	s_and_saveexec_b64 s[2:3], s[0:1]
	s_cbranch_execz .LBB650_7
; %bb.6:
	v_mov_b32_e32 v13, 0
	v_lshl_add_u64 v[4:5], s[4:5], 0, v[12:13]
	v_mad_u64_u32 v[12:13], s[8:9], v4, s12, 0
	v_mov_b32_e32 v4, v13
	v_mad_u64_u32 v[4:5], s[8:9], v5, s12, v[4:5]
	v_mov_b32_e32 v13, v4
	v_lshl_add_u64 v[4:5], v[12:13], 3, s[6:7]
	global_load_dwordx2 v[4:5], v[4:5], off
.LBB650_7:
	s_or_b64 exec, exec, s[2:3]
	v_or_b32_e32 v12, 0x400, v0
	v_cmp_gt_u32_e64 s[2:3], s10, v12
	s_and_saveexec_b64 s[8:9], s[2:3]
	;; [unrolled: 15-line block ×3, first 2 shown]
	s_cbranch_execz .LBB650_11
; %bb.10:
	v_mov_b32_e32 v1, 0
	v_lshl_add_u64 v[0:1], s[4:5], 0, v[0:1]
	s_waitcnt vmcnt(3)
	v_mad_u64_u32 v[8:9], s[4:5], v0, s12, 0
	v_mov_b32_e32 v0, v9
	v_mad_u64_u32 v[0:1], s[4:5], v1, s12, v[0:1]
	v_mov_b32_e32 v9, v0
	v_lshl_add_u64 v[0:1], v[8:9], 3, s[6:7]
	global_load_dwordx2 v[8:9], v[0:1], off
.LBB650_11:
	s_or_b64 exec, exec, s[10:11]
	s_lshl_b64 s[4:5], s[14:15], 3
	s_add_u32 s4, s16, s4
	s_addc_u32 s5, s17, s5
	v_mov_b32_e32 v11, 0
	v_lshl_add_u64 v[12:13], s[4:5], 0, v[10:11]
	s_and_saveexec_b64 s[4:5], vcc
	s_cbranch_execnz .LBB650_19
; %bb.12:
	s_or_b64 exec, exec, s[4:5]
	s_and_saveexec_b64 s[4:5], s[0:1]
	s_cbranch_execnz .LBB650_20
.LBB650_13:
	s_or_b64 exec, exec, s[4:5]
	s_and_saveexec_b64 s[0:1], s[2:3]
	s_cbranch_execz .LBB650_15
.LBB650_14:
	v_add_co_u32_e32 v0, vcc, 0x2000, v12
	s_nop 1
	v_addc_co_u32_e32 v1, vcc, 0, v13, vcc
	s_waitcnt vmcnt(0)
	global_store_dwordx2 v[0:1], v[6:7], off
.LBB650_15:
	s_or_b64 exec, exec, s[0:1]
.LBB650_16:
	s_and_saveexec_b64 s[0:1], s[8:9]
	s_cbranch_execnz .LBB650_18
; %bb.17:
	s_endpgm
.LBB650_18:
	v_add_co_u32_e32 v0, vcc, 0x3000, v12
	s_nop 1
	v_addc_co_u32_e32 v1, vcc, 0, v13, vcc
	s_waitcnt vmcnt(0)
	global_store_dwordx2 v[0:1], v[8:9], off
	s_endpgm
.LBB650_19:
	s_waitcnt vmcnt(0)
	global_store_dwordx2 v[12:13], v[2:3], off
	s_or_b64 exec, exec, s[4:5]
	s_and_saveexec_b64 s[4:5], s[0:1]
	s_cbranch_execz .LBB650_13
.LBB650_20:
	v_add_co_u32_e32 v0, vcc, 0x1000, v12
	s_nop 1
	v_addc_co_u32_e32 v1, vcc, 0, v13, vcc
	s_waitcnt vmcnt(0)
	global_store_dwordx2 v[0:1], v[4:5], off
	s_or_b64 exec, exec, s[4:5]
	s_and_saveexec_b64 s[0:1], s[2:3]
	s_cbranch_execnz .LBB650_14
	s_branch .LBB650_15
	.section	.rodata,"a",@progbits
	.p2align	6, 0x0
	.amdhsa_kernel _ZN7rocprim17ROCPRIM_400000_NS6detail17trampoline_kernelINS0_14default_configENS1_25transform_config_selectorIdLb0EEEZNS1_14transform_implILb0ES3_S5_NS0_18transform_iteratorINS0_17counting_iteratorImlEEZNS1_24adjacent_difference_implIS3_Lb1ELb0EPKdPdN6thrust23THRUST_200600_302600_NS4plusIdEEEE10hipError_tPvRmT2_T3_mT4_P12ihipStream_tbEUlmE_dEESD_NS0_8identityIvEEEESI_SL_SM_mSN_SP_bEUlT_E_NS1_11comp_targetILNS1_3genE5ELNS1_11target_archE942ELNS1_3gpuE9ELNS1_3repE0EEENS1_30default_config_static_selectorELNS0_4arch9wavefront6targetE1EEEvT1_
		.amdhsa_group_segment_fixed_size 0
		.amdhsa_private_segment_fixed_size 0
		.amdhsa_kernarg_size 312
		.amdhsa_user_sgpr_count 2
		.amdhsa_user_sgpr_dispatch_ptr 0
		.amdhsa_user_sgpr_queue_ptr 0
		.amdhsa_user_sgpr_kernarg_segment_ptr 1
		.amdhsa_user_sgpr_dispatch_id 0
		.amdhsa_user_sgpr_kernarg_preload_length 0
		.amdhsa_user_sgpr_kernarg_preload_offset 0
		.amdhsa_user_sgpr_private_segment_size 0
		.amdhsa_uses_dynamic_stack 0
		.amdhsa_enable_private_segment 0
		.amdhsa_system_sgpr_workgroup_id_x 1
		.amdhsa_system_sgpr_workgroup_id_y 0
		.amdhsa_system_sgpr_workgroup_id_z 0
		.amdhsa_system_sgpr_workgroup_info 0
		.amdhsa_system_vgpr_workitem_id 0
		.amdhsa_next_free_vgpr 20
		.amdhsa_next_free_sgpr 20
		.amdhsa_accum_offset 20
		.amdhsa_reserve_vcc 1
		.amdhsa_float_round_mode_32 0
		.amdhsa_float_round_mode_16_64 0
		.amdhsa_float_denorm_mode_32 3
		.amdhsa_float_denorm_mode_16_64 3
		.amdhsa_dx10_clamp 1
		.amdhsa_ieee_mode 1
		.amdhsa_fp16_overflow 0
		.amdhsa_tg_split 0
		.amdhsa_exception_fp_ieee_invalid_op 0
		.amdhsa_exception_fp_denorm_src 0
		.amdhsa_exception_fp_ieee_div_zero 0
		.amdhsa_exception_fp_ieee_overflow 0
		.amdhsa_exception_fp_ieee_underflow 0
		.amdhsa_exception_fp_ieee_inexact 0
		.amdhsa_exception_int_div_zero 0
	.end_amdhsa_kernel
	.section	.text._ZN7rocprim17ROCPRIM_400000_NS6detail17trampoline_kernelINS0_14default_configENS1_25transform_config_selectorIdLb0EEEZNS1_14transform_implILb0ES3_S5_NS0_18transform_iteratorINS0_17counting_iteratorImlEEZNS1_24adjacent_difference_implIS3_Lb1ELb0EPKdPdN6thrust23THRUST_200600_302600_NS4plusIdEEEE10hipError_tPvRmT2_T3_mT4_P12ihipStream_tbEUlmE_dEESD_NS0_8identityIvEEEESI_SL_SM_mSN_SP_bEUlT_E_NS1_11comp_targetILNS1_3genE5ELNS1_11target_archE942ELNS1_3gpuE9ELNS1_3repE0EEENS1_30default_config_static_selectorELNS0_4arch9wavefront6targetE1EEEvT1_,"axG",@progbits,_ZN7rocprim17ROCPRIM_400000_NS6detail17trampoline_kernelINS0_14default_configENS1_25transform_config_selectorIdLb0EEEZNS1_14transform_implILb0ES3_S5_NS0_18transform_iteratorINS0_17counting_iteratorImlEEZNS1_24adjacent_difference_implIS3_Lb1ELb0EPKdPdN6thrust23THRUST_200600_302600_NS4plusIdEEEE10hipError_tPvRmT2_T3_mT4_P12ihipStream_tbEUlmE_dEESD_NS0_8identityIvEEEESI_SL_SM_mSN_SP_bEUlT_E_NS1_11comp_targetILNS1_3genE5ELNS1_11target_archE942ELNS1_3gpuE9ELNS1_3repE0EEENS1_30default_config_static_selectorELNS0_4arch9wavefront6targetE1EEEvT1_,comdat
.Lfunc_end650:
	.size	_ZN7rocprim17ROCPRIM_400000_NS6detail17trampoline_kernelINS0_14default_configENS1_25transform_config_selectorIdLb0EEEZNS1_14transform_implILb0ES3_S5_NS0_18transform_iteratorINS0_17counting_iteratorImlEEZNS1_24adjacent_difference_implIS3_Lb1ELb0EPKdPdN6thrust23THRUST_200600_302600_NS4plusIdEEEE10hipError_tPvRmT2_T3_mT4_P12ihipStream_tbEUlmE_dEESD_NS0_8identityIvEEEESI_SL_SM_mSN_SP_bEUlT_E_NS1_11comp_targetILNS1_3genE5ELNS1_11target_archE942ELNS1_3gpuE9ELNS1_3repE0EEENS1_30default_config_static_selectorELNS0_4arch9wavefront6targetE1EEEvT1_, .Lfunc_end650-_ZN7rocprim17ROCPRIM_400000_NS6detail17trampoline_kernelINS0_14default_configENS1_25transform_config_selectorIdLb0EEEZNS1_14transform_implILb0ES3_S5_NS0_18transform_iteratorINS0_17counting_iteratorImlEEZNS1_24adjacent_difference_implIS3_Lb1ELb0EPKdPdN6thrust23THRUST_200600_302600_NS4plusIdEEEE10hipError_tPvRmT2_T3_mT4_P12ihipStream_tbEUlmE_dEESD_NS0_8identityIvEEEESI_SL_SM_mSN_SP_bEUlT_E_NS1_11comp_targetILNS1_3genE5ELNS1_11target_archE942ELNS1_3gpuE9ELNS1_3repE0EEENS1_30default_config_static_selectorELNS0_4arch9wavefront6targetE1EEEvT1_
                                        ; -- End function
	.section	.AMDGPU.csdata,"",@progbits
; Kernel info:
; codeLenInByte = 828
; NumSgprs: 26
; NumVgprs: 20
; NumAgprs: 0
; TotalNumVgprs: 20
; ScratchSize: 0
; MemoryBound: 0
; FloatMode: 240
; IeeeMode: 1
; LDSByteSize: 0 bytes/workgroup (compile time only)
; SGPRBlocks: 3
; VGPRBlocks: 2
; NumSGPRsForWavesPerEU: 26
; NumVGPRsForWavesPerEU: 20
; AccumOffset: 20
; Occupancy: 8
; WaveLimiterHint : 1
; COMPUTE_PGM_RSRC2:SCRATCH_EN: 0
; COMPUTE_PGM_RSRC2:USER_SGPR: 2
; COMPUTE_PGM_RSRC2:TRAP_HANDLER: 0
; COMPUTE_PGM_RSRC2:TGID_X_EN: 1
; COMPUTE_PGM_RSRC2:TGID_Y_EN: 0
; COMPUTE_PGM_RSRC2:TGID_Z_EN: 0
; COMPUTE_PGM_RSRC2:TIDIG_COMP_CNT: 0
; COMPUTE_PGM_RSRC3_GFX90A:ACCUM_OFFSET: 4
; COMPUTE_PGM_RSRC3_GFX90A:TG_SPLIT: 0
	.section	.text._ZN7rocprim17ROCPRIM_400000_NS6detail17trampoline_kernelINS0_14default_configENS1_25transform_config_selectorIdLb0EEEZNS1_14transform_implILb0ES3_S5_NS0_18transform_iteratorINS0_17counting_iteratorImlEEZNS1_24adjacent_difference_implIS3_Lb1ELb0EPKdPdN6thrust23THRUST_200600_302600_NS4plusIdEEEE10hipError_tPvRmT2_T3_mT4_P12ihipStream_tbEUlmE_dEESD_NS0_8identityIvEEEESI_SL_SM_mSN_SP_bEUlT_E_NS1_11comp_targetILNS1_3genE4ELNS1_11target_archE910ELNS1_3gpuE8ELNS1_3repE0EEENS1_30default_config_static_selectorELNS0_4arch9wavefront6targetE1EEEvT1_,"axG",@progbits,_ZN7rocprim17ROCPRIM_400000_NS6detail17trampoline_kernelINS0_14default_configENS1_25transform_config_selectorIdLb0EEEZNS1_14transform_implILb0ES3_S5_NS0_18transform_iteratorINS0_17counting_iteratorImlEEZNS1_24adjacent_difference_implIS3_Lb1ELb0EPKdPdN6thrust23THRUST_200600_302600_NS4plusIdEEEE10hipError_tPvRmT2_T3_mT4_P12ihipStream_tbEUlmE_dEESD_NS0_8identityIvEEEESI_SL_SM_mSN_SP_bEUlT_E_NS1_11comp_targetILNS1_3genE4ELNS1_11target_archE910ELNS1_3gpuE8ELNS1_3repE0EEENS1_30default_config_static_selectorELNS0_4arch9wavefront6targetE1EEEvT1_,comdat
	.protected	_ZN7rocprim17ROCPRIM_400000_NS6detail17trampoline_kernelINS0_14default_configENS1_25transform_config_selectorIdLb0EEEZNS1_14transform_implILb0ES3_S5_NS0_18transform_iteratorINS0_17counting_iteratorImlEEZNS1_24adjacent_difference_implIS3_Lb1ELb0EPKdPdN6thrust23THRUST_200600_302600_NS4plusIdEEEE10hipError_tPvRmT2_T3_mT4_P12ihipStream_tbEUlmE_dEESD_NS0_8identityIvEEEESI_SL_SM_mSN_SP_bEUlT_E_NS1_11comp_targetILNS1_3genE4ELNS1_11target_archE910ELNS1_3gpuE8ELNS1_3repE0EEENS1_30default_config_static_selectorELNS0_4arch9wavefront6targetE1EEEvT1_ ; -- Begin function _ZN7rocprim17ROCPRIM_400000_NS6detail17trampoline_kernelINS0_14default_configENS1_25transform_config_selectorIdLb0EEEZNS1_14transform_implILb0ES3_S5_NS0_18transform_iteratorINS0_17counting_iteratorImlEEZNS1_24adjacent_difference_implIS3_Lb1ELb0EPKdPdN6thrust23THRUST_200600_302600_NS4plusIdEEEE10hipError_tPvRmT2_T3_mT4_P12ihipStream_tbEUlmE_dEESD_NS0_8identityIvEEEESI_SL_SM_mSN_SP_bEUlT_E_NS1_11comp_targetILNS1_3genE4ELNS1_11target_archE910ELNS1_3gpuE8ELNS1_3repE0EEENS1_30default_config_static_selectorELNS0_4arch9wavefront6targetE1EEEvT1_
	.globl	_ZN7rocprim17ROCPRIM_400000_NS6detail17trampoline_kernelINS0_14default_configENS1_25transform_config_selectorIdLb0EEEZNS1_14transform_implILb0ES3_S5_NS0_18transform_iteratorINS0_17counting_iteratorImlEEZNS1_24adjacent_difference_implIS3_Lb1ELb0EPKdPdN6thrust23THRUST_200600_302600_NS4plusIdEEEE10hipError_tPvRmT2_T3_mT4_P12ihipStream_tbEUlmE_dEESD_NS0_8identityIvEEEESI_SL_SM_mSN_SP_bEUlT_E_NS1_11comp_targetILNS1_3genE4ELNS1_11target_archE910ELNS1_3gpuE8ELNS1_3repE0EEENS1_30default_config_static_selectorELNS0_4arch9wavefront6targetE1EEEvT1_
	.p2align	8
	.type	_ZN7rocprim17ROCPRIM_400000_NS6detail17trampoline_kernelINS0_14default_configENS1_25transform_config_selectorIdLb0EEEZNS1_14transform_implILb0ES3_S5_NS0_18transform_iteratorINS0_17counting_iteratorImlEEZNS1_24adjacent_difference_implIS3_Lb1ELb0EPKdPdN6thrust23THRUST_200600_302600_NS4plusIdEEEE10hipError_tPvRmT2_T3_mT4_P12ihipStream_tbEUlmE_dEESD_NS0_8identityIvEEEESI_SL_SM_mSN_SP_bEUlT_E_NS1_11comp_targetILNS1_3genE4ELNS1_11target_archE910ELNS1_3gpuE8ELNS1_3repE0EEENS1_30default_config_static_selectorELNS0_4arch9wavefront6targetE1EEEvT1_,@function
_ZN7rocprim17ROCPRIM_400000_NS6detail17trampoline_kernelINS0_14default_configENS1_25transform_config_selectorIdLb0EEEZNS1_14transform_implILb0ES3_S5_NS0_18transform_iteratorINS0_17counting_iteratorImlEEZNS1_24adjacent_difference_implIS3_Lb1ELb0EPKdPdN6thrust23THRUST_200600_302600_NS4plusIdEEEE10hipError_tPvRmT2_T3_mT4_P12ihipStream_tbEUlmE_dEESD_NS0_8identityIvEEEESI_SL_SM_mSN_SP_bEUlT_E_NS1_11comp_targetILNS1_3genE4ELNS1_11target_archE910ELNS1_3gpuE8ELNS1_3repE0EEENS1_30default_config_static_selectorELNS0_4arch9wavefront6targetE1EEEvT1_: ; @_ZN7rocprim17ROCPRIM_400000_NS6detail17trampoline_kernelINS0_14default_configENS1_25transform_config_selectorIdLb0EEEZNS1_14transform_implILb0ES3_S5_NS0_18transform_iteratorINS0_17counting_iteratorImlEEZNS1_24adjacent_difference_implIS3_Lb1ELb0EPKdPdN6thrust23THRUST_200600_302600_NS4plusIdEEEE10hipError_tPvRmT2_T3_mT4_P12ihipStream_tbEUlmE_dEESD_NS0_8identityIvEEEESI_SL_SM_mSN_SP_bEUlT_E_NS1_11comp_targetILNS1_3genE4ELNS1_11target_archE910ELNS1_3gpuE8ELNS1_3repE0EEENS1_30default_config_static_selectorELNS0_4arch9wavefront6targetE1EEEvT1_
; %bb.0:
	.section	.rodata,"a",@progbits
	.p2align	6, 0x0
	.amdhsa_kernel _ZN7rocprim17ROCPRIM_400000_NS6detail17trampoline_kernelINS0_14default_configENS1_25transform_config_selectorIdLb0EEEZNS1_14transform_implILb0ES3_S5_NS0_18transform_iteratorINS0_17counting_iteratorImlEEZNS1_24adjacent_difference_implIS3_Lb1ELb0EPKdPdN6thrust23THRUST_200600_302600_NS4plusIdEEEE10hipError_tPvRmT2_T3_mT4_P12ihipStream_tbEUlmE_dEESD_NS0_8identityIvEEEESI_SL_SM_mSN_SP_bEUlT_E_NS1_11comp_targetILNS1_3genE4ELNS1_11target_archE910ELNS1_3gpuE8ELNS1_3repE0EEENS1_30default_config_static_selectorELNS0_4arch9wavefront6targetE1EEEvT1_
		.amdhsa_group_segment_fixed_size 0
		.amdhsa_private_segment_fixed_size 0
		.amdhsa_kernarg_size 56
		.amdhsa_user_sgpr_count 2
		.amdhsa_user_sgpr_dispatch_ptr 0
		.amdhsa_user_sgpr_queue_ptr 0
		.amdhsa_user_sgpr_kernarg_segment_ptr 1
		.amdhsa_user_sgpr_dispatch_id 0
		.amdhsa_user_sgpr_kernarg_preload_length 0
		.amdhsa_user_sgpr_kernarg_preload_offset 0
		.amdhsa_user_sgpr_private_segment_size 0
		.amdhsa_uses_dynamic_stack 0
		.amdhsa_enable_private_segment 0
		.amdhsa_system_sgpr_workgroup_id_x 1
		.amdhsa_system_sgpr_workgroup_id_y 0
		.amdhsa_system_sgpr_workgroup_id_z 0
		.amdhsa_system_sgpr_workgroup_info 0
		.amdhsa_system_vgpr_workitem_id 0
		.amdhsa_next_free_vgpr 1
		.amdhsa_next_free_sgpr 0
		.amdhsa_accum_offset 4
		.amdhsa_reserve_vcc 0
		.amdhsa_float_round_mode_32 0
		.amdhsa_float_round_mode_16_64 0
		.amdhsa_float_denorm_mode_32 3
		.amdhsa_float_denorm_mode_16_64 3
		.amdhsa_dx10_clamp 1
		.amdhsa_ieee_mode 1
		.amdhsa_fp16_overflow 0
		.amdhsa_tg_split 0
		.amdhsa_exception_fp_ieee_invalid_op 0
		.amdhsa_exception_fp_denorm_src 0
		.amdhsa_exception_fp_ieee_div_zero 0
		.amdhsa_exception_fp_ieee_overflow 0
		.amdhsa_exception_fp_ieee_underflow 0
		.amdhsa_exception_fp_ieee_inexact 0
		.amdhsa_exception_int_div_zero 0
	.end_amdhsa_kernel
	.section	.text._ZN7rocprim17ROCPRIM_400000_NS6detail17trampoline_kernelINS0_14default_configENS1_25transform_config_selectorIdLb0EEEZNS1_14transform_implILb0ES3_S5_NS0_18transform_iteratorINS0_17counting_iteratorImlEEZNS1_24adjacent_difference_implIS3_Lb1ELb0EPKdPdN6thrust23THRUST_200600_302600_NS4plusIdEEEE10hipError_tPvRmT2_T3_mT4_P12ihipStream_tbEUlmE_dEESD_NS0_8identityIvEEEESI_SL_SM_mSN_SP_bEUlT_E_NS1_11comp_targetILNS1_3genE4ELNS1_11target_archE910ELNS1_3gpuE8ELNS1_3repE0EEENS1_30default_config_static_selectorELNS0_4arch9wavefront6targetE1EEEvT1_,"axG",@progbits,_ZN7rocprim17ROCPRIM_400000_NS6detail17trampoline_kernelINS0_14default_configENS1_25transform_config_selectorIdLb0EEEZNS1_14transform_implILb0ES3_S5_NS0_18transform_iteratorINS0_17counting_iteratorImlEEZNS1_24adjacent_difference_implIS3_Lb1ELb0EPKdPdN6thrust23THRUST_200600_302600_NS4plusIdEEEE10hipError_tPvRmT2_T3_mT4_P12ihipStream_tbEUlmE_dEESD_NS0_8identityIvEEEESI_SL_SM_mSN_SP_bEUlT_E_NS1_11comp_targetILNS1_3genE4ELNS1_11target_archE910ELNS1_3gpuE8ELNS1_3repE0EEENS1_30default_config_static_selectorELNS0_4arch9wavefront6targetE1EEEvT1_,comdat
.Lfunc_end651:
	.size	_ZN7rocprim17ROCPRIM_400000_NS6detail17trampoline_kernelINS0_14default_configENS1_25transform_config_selectorIdLb0EEEZNS1_14transform_implILb0ES3_S5_NS0_18transform_iteratorINS0_17counting_iteratorImlEEZNS1_24adjacent_difference_implIS3_Lb1ELb0EPKdPdN6thrust23THRUST_200600_302600_NS4plusIdEEEE10hipError_tPvRmT2_T3_mT4_P12ihipStream_tbEUlmE_dEESD_NS0_8identityIvEEEESI_SL_SM_mSN_SP_bEUlT_E_NS1_11comp_targetILNS1_3genE4ELNS1_11target_archE910ELNS1_3gpuE8ELNS1_3repE0EEENS1_30default_config_static_selectorELNS0_4arch9wavefront6targetE1EEEvT1_, .Lfunc_end651-_ZN7rocprim17ROCPRIM_400000_NS6detail17trampoline_kernelINS0_14default_configENS1_25transform_config_selectorIdLb0EEEZNS1_14transform_implILb0ES3_S5_NS0_18transform_iteratorINS0_17counting_iteratorImlEEZNS1_24adjacent_difference_implIS3_Lb1ELb0EPKdPdN6thrust23THRUST_200600_302600_NS4plusIdEEEE10hipError_tPvRmT2_T3_mT4_P12ihipStream_tbEUlmE_dEESD_NS0_8identityIvEEEESI_SL_SM_mSN_SP_bEUlT_E_NS1_11comp_targetILNS1_3genE4ELNS1_11target_archE910ELNS1_3gpuE8ELNS1_3repE0EEENS1_30default_config_static_selectorELNS0_4arch9wavefront6targetE1EEEvT1_
                                        ; -- End function
	.section	.AMDGPU.csdata,"",@progbits
; Kernel info:
; codeLenInByte = 0
; NumSgprs: 6
; NumVgprs: 0
; NumAgprs: 0
; TotalNumVgprs: 0
; ScratchSize: 0
; MemoryBound: 0
; FloatMode: 240
; IeeeMode: 1
; LDSByteSize: 0 bytes/workgroup (compile time only)
; SGPRBlocks: 0
; VGPRBlocks: 0
; NumSGPRsForWavesPerEU: 6
; NumVGPRsForWavesPerEU: 1
; AccumOffset: 4
; Occupancy: 8
; WaveLimiterHint : 0
; COMPUTE_PGM_RSRC2:SCRATCH_EN: 0
; COMPUTE_PGM_RSRC2:USER_SGPR: 2
; COMPUTE_PGM_RSRC2:TRAP_HANDLER: 0
; COMPUTE_PGM_RSRC2:TGID_X_EN: 1
; COMPUTE_PGM_RSRC2:TGID_Y_EN: 0
; COMPUTE_PGM_RSRC2:TGID_Z_EN: 0
; COMPUTE_PGM_RSRC2:TIDIG_COMP_CNT: 0
; COMPUTE_PGM_RSRC3_GFX90A:ACCUM_OFFSET: 0
; COMPUTE_PGM_RSRC3_GFX90A:TG_SPLIT: 0
	.section	.text._ZN7rocprim17ROCPRIM_400000_NS6detail17trampoline_kernelINS0_14default_configENS1_25transform_config_selectorIdLb0EEEZNS1_14transform_implILb0ES3_S5_NS0_18transform_iteratorINS0_17counting_iteratorImlEEZNS1_24adjacent_difference_implIS3_Lb1ELb0EPKdPdN6thrust23THRUST_200600_302600_NS4plusIdEEEE10hipError_tPvRmT2_T3_mT4_P12ihipStream_tbEUlmE_dEESD_NS0_8identityIvEEEESI_SL_SM_mSN_SP_bEUlT_E_NS1_11comp_targetILNS1_3genE3ELNS1_11target_archE908ELNS1_3gpuE7ELNS1_3repE0EEENS1_30default_config_static_selectorELNS0_4arch9wavefront6targetE1EEEvT1_,"axG",@progbits,_ZN7rocprim17ROCPRIM_400000_NS6detail17trampoline_kernelINS0_14default_configENS1_25transform_config_selectorIdLb0EEEZNS1_14transform_implILb0ES3_S5_NS0_18transform_iteratorINS0_17counting_iteratorImlEEZNS1_24adjacent_difference_implIS3_Lb1ELb0EPKdPdN6thrust23THRUST_200600_302600_NS4plusIdEEEE10hipError_tPvRmT2_T3_mT4_P12ihipStream_tbEUlmE_dEESD_NS0_8identityIvEEEESI_SL_SM_mSN_SP_bEUlT_E_NS1_11comp_targetILNS1_3genE3ELNS1_11target_archE908ELNS1_3gpuE7ELNS1_3repE0EEENS1_30default_config_static_selectorELNS0_4arch9wavefront6targetE1EEEvT1_,comdat
	.protected	_ZN7rocprim17ROCPRIM_400000_NS6detail17trampoline_kernelINS0_14default_configENS1_25transform_config_selectorIdLb0EEEZNS1_14transform_implILb0ES3_S5_NS0_18transform_iteratorINS0_17counting_iteratorImlEEZNS1_24adjacent_difference_implIS3_Lb1ELb0EPKdPdN6thrust23THRUST_200600_302600_NS4plusIdEEEE10hipError_tPvRmT2_T3_mT4_P12ihipStream_tbEUlmE_dEESD_NS0_8identityIvEEEESI_SL_SM_mSN_SP_bEUlT_E_NS1_11comp_targetILNS1_3genE3ELNS1_11target_archE908ELNS1_3gpuE7ELNS1_3repE0EEENS1_30default_config_static_selectorELNS0_4arch9wavefront6targetE1EEEvT1_ ; -- Begin function _ZN7rocprim17ROCPRIM_400000_NS6detail17trampoline_kernelINS0_14default_configENS1_25transform_config_selectorIdLb0EEEZNS1_14transform_implILb0ES3_S5_NS0_18transform_iteratorINS0_17counting_iteratorImlEEZNS1_24adjacent_difference_implIS3_Lb1ELb0EPKdPdN6thrust23THRUST_200600_302600_NS4plusIdEEEE10hipError_tPvRmT2_T3_mT4_P12ihipStream_tbEUlmE_dEESD_NS0_8identityIvEEEESI_SL_SM_mSN_SP_bEUlT_E_NS1_11comp_targetILNS1_3genE3ELNS1_11target_archE908ELNS1_3gpuE7ELNS1_3repE0EEENS1_30default_config_static_selectorELNS0_4arch9wavefront6targetE1EEEvT1_
	.globl	_ZN7rocprim17ROCPRIM_400000_NS6detail17trampoline_kernelINS0_14default_configENS1_25transform_config_selectorIdLb0EEEZNS1_14transform_implILb0ES3_S5_NS0_18transform_iteratorINS0_17counting_iteratorImlEEZNS1_24adjacent_difference_implIS3_Lb1ELb0EPKdPdN6thrust23THRUST_200600_302600_NS4plusIdEEEE10hipError_tPvRmT2_T3_mT4_P12ihipStream_tbEUlmE_dEESD_NS0_8identityIvEEEESI_SL_SM_mSN_SP_bEUlT_E_NS1_11comp_targetILNS1_3genE3ELNS1_11target_archE908ELNS1_3gpuE7ELNS1_3repE0EEENS1_30default_config_static_selectorELNS0_4arch9wavefront6targetE1EEEvT1_
	.p2align	8
	.type	_ZN7rocprim17ROCPRIM_400000_NS6detail17trampoline_kernelINS0_14default_configENS1_25transform_config_selectorIdLb0EEEZNS1_14transform_implILb0ES3_S5_NS0_18transform_iteratorINS0_17counting_iteratorImlEEZNS1_24adjacent_difference_implIS3_Lb1ELb0EPKdPdN6thrust23THRUST_200600_302600_NS4plusIdEEEE10hipError_tPvRmT2_T3_mT4_P12ihipStream_tbEUlmE_dEESD_NS0_8identityIvEEEESI_SL_SM_mSN_SP_bEUlT_E_NS1_11comp_targetILNS1_3genE3ELNS1_11target_archE908ELNS1_3gpuE7ELNS1_3repE0EEENS1_30default_config_static_selectorELNS0_4arch9wavefront6targetE1EEEvT1_,@function
_ZN7rocprim17ROCPRIM_400000_NS6detail17trampoline_kernelINS0_14default_configENS1_25transform_config_selectorIdLb0EEEZNS1_14transform_implILb0ES3_S5_NS0_18transform_iteratorINS0_17counting_iteratorImlEEZNS1_24adjacent_difference_implIS3_Lb1ELb0EPKdPdN6thrust23THRUST_200600_302600_NS4plusIdEEEE10hipError_tPvRmT2_T3_mT4_P12ihipStream_tbEUlmE_dEESD_NS0_8identityIvEEEESI_SL_SM_mSN_SP_bEUlT_E_NS1_11comp_targetILNS1_3genE3ELNS1_11target_archE908ELNS1_3gpuE7ELNS1_3repE0EEENS1_30default_config_static_selectorELNS0_4arch9wavefront6targetE1EEEvT1_: ; @_ZN7rocprim17ROCPRIM_400000_NS6detail17trampoline_kernelINS0_14default_configENS1_25transform_config_selectorIdLb0EEEZNS1_14transform_implILb0ES3_S5_NS0_18transform_iteratorINS0_17counting_iteratorImlEEZNS1_24adjacent_difference_implIS3_Lb1ELb0EPKdPdN6thrust23THRUST_200600_302600_NS4plusIdEEEE10hipError_tPvRmT2_T3_mT4_P12ihipStream_tbEUlmE_dEESD_NS0_8identityIvEEEESI_SL_SM_mSN_SP_bEUlT_E_NS1_11comp_targetILNS1_3genE3ELNS1_11target_archE908ELNS1_3gpuE7ELNS1_3repE0EEENS1_30default_config_static_selectorELNS0_4arch9wavefront6targetE1EEEvT1_
; %bb.0:
	.section	.rodata,"a",@progbits
	.p2align	6, 0x0
	.amdhsa_kernel _ZN7rocprim17ROCPRIM_400000_NS6detail17trampoline_kernelINS0_14default_configENS1_25transform_config_selectorIdLb0EEEZNS1_14transform_implILb0ES3_S5_NS0_18transform_iteratorINS0_17counting_iteratorImlEEZNS1_24adjacent_difference_implIS3_Lb1ELb0EPKdPdN6thrust23THRUST_200600_302600_NS4plusIdEEEE10hipError_tPvRmT2_T3_mT4_P12ihipStream_tbEUlmE_dEESD_NS0_8identityIvEEEESI_SL_SM_mSN_SP_bEUlT_E_NS1_11comp_targetILNS1_3genE3ELNS1_11target_archE908ELNS1_3gpuE7ELNS1_3repE0EEENS1_30default_config_static_selectorELNS0_4arch9wavefront6targetE1EEEvT1_
		.amdhsa_group_segment_fixed_size 0
		.amdhsa_private_segment_fixed_size 0
		.amdhsa_kernarg_size 56
		.amdhsa_user_sgpr_count 2
		.amdhsa_user_sgpr_dispatch_ptr 0
		.amdhsa_user_sgpr_queue_ptr 0
		.amdhsa_user_sgpr_kernarg_segment_ptr 1
		.amdhsa_user_sgpr_dispatch_id 0
		.amdhsa_user_sgpr_kernarg_preload_length 0
		.amdhsa_user_sgpr_kernarg_preload_offset 0
		.amdhsa_user_sgpr_private_segment_size 0
		.amdhsa_uses_dynamic_stack 0
		.amdhsa_enable_private_segment 0
		.amdhsa_system_sgpr_workgroup_id_x 1
		.amdhsa_system_sgpr_workgroup_id_y 0
		.amdhsa_system_sgpr_workgroup_id_z 0
		.amdhsa_system_sgpr_workgroup_info 0
		.amdhsa_system_vgpr_workitem_id 0
		.amdhsa_next_free_vgpr 1
		.amdhsa_next_free_sgpr 0
		.amdhsa_accum_offset 4
		.amdhsa_reserve_vcc 0
		.amdhsa_float_round_mode_32 0
		.amdhsa_float_round_mode_16_64 0
		.amdhsa_float_denorm_mode_32 3
		.amdhsa_float_denorm_mode_16_64 3
		.amdhsa_dx10_clamp 1
		.amdhsa_ieee_mode 1
		.amdhsa_fp16_overflow 0
		.amdhsa_tg_split 0
		.amdhsa_exception_fp_ieee_invalid_op 0
		.amdhsa_exception_fp_denorm_src 0
		.amdhsa_exception_fp_ieee_div_zero 0
		.amdhsa_exception_fp_ieee_overflow 0
		.amdhsa_exception_fp_ieee_underflow 0
		.amdhsa_exception_fp_ieee_inexact 0
		.amdhsa_exception_int_div_zero 0
	.end_amdhsa_kernel
	.section	.text._ZN7rocprim17ROCPRIM_400000_NS6detail17trampoline_kernelINS0_14default_configENS1_25transform_config_selectorIdLb0EEEZNS1_14transform_implILb0ES3_S5_NS0_18transform_iteratorINS0_17counting_iteratorImlEEZNS1_24adjacent_difference_implIS3_Lb1ELb0EPKdPdN6thrust23THRUST_200600_302600_NS4plusIdEEEE10hipError_tPvRmT2_T3_mT4_P12ihipStream_tbEUlmE_dEESD_NS0_8identityIvEEEESI_SL_SM_mSN_SP_bEUlT_E_NS1_11comp_targetILNS1_3genE3ELNS1_11target_archE908ELNS1_3gpuE7ELNS1_3repE0EEENS1_30default_config_static_selectorELNS0_4arch9wavefront6targetE1EEEvT1_,"axG",@progbits,_ZN7rocprim17ROCPRIM_400000_NS6detail17trampoline_kernelINS0_14default_configENS1_25transform_config_selectorIdLb0EEEZNS1_14transform_implILb0ES3_S5_NS0_18transform_iteratorINS0_17counting_iteratorImlEEZNS1_24adjacent_difference_implIS3_Lb1ELb0EPKdPdN6thrust23THRUST_200600_302600_NS4plusIdEEEE10hipError_tPvRmT2_T3_mT4_P12ihipStream_tbEUlmE_dEESD_NS0_8identityIvEEEESI_SL_SM_mSN_SP_bEUlT_E_NS1_11comp_targetILNS1_3genE3ELNS1_11target_archE908ELNS1_3gpuE7ELNS1_3repE0EEENS1_30default_config_static_selectorELNS0_4arch9wavefront6targetE1EEEvT1_,comdat
.Lfunc_end652:
	.size	_ZN7rocprim17ROCPRIM_400000_NS6detail17trampoline_kernelINS0_14default_configENS1_25transform_config_selectorIdLb0EEEZNS1_14transform_implILb0ES3_S5_NS0_18transform_iteratorINS0_17counting_iteratorImlEEZNS1_24adjacent_difference_implIS3_Lb1ELb0EPKdPdN6thrust23THRUST_200600_302600_NS4plusIdEEEE10hipError_tPvRmT2_T3_mT4_P12ihipStream_tbEUlmE_dEESD_NS0_8identityIvEEEESI_SL_SM_mSN_SP_bEUlT_E_NS1_11comp_targetILNS1_3genE3ELNS1_11target_archE908ELNS1_3gpuE7ELNS1_3repE0EEENS1_30default_config_static_selectorELNS0_4arch9wavefront6targetE1EEEvT1_, .Lfunc_end652-_ZN7rocprim17ROCPRIM_400000_NS6detail17trampoline_kernelINS0_14default_configENS1_25transform_config_selectorIdLb0EEEZNS1_14transform_implILb0ES3_S5_NS0_18transform_iteratorINS0_17counting_iteratorImlEEZNS1_24adjacent_difference_implIS3_Lb1ELb0EPKdPdN6thrust23THRUST_200600_302600_NS4plusIdEEEE10hipError_tPvRmT2_T3_mT4_P12ihipStream_tbEUlmE_dEESD_NS0_8identityIvEEEESI_SL_SM_mSN_SP_bEUlT_E_NS1_11comp_targetILNS1_3genE3ELNS1_11target_archE908ELNS1_3gpuE7ELNS1_3repE0EEENS1_30default_config_static_selectorELNS0_4arch9wavefront6targetE1EEEvT1_
                                        ; -- End function
	.section	.AMDGPU.csdata,"",@progbits
; Kernel info:
; codeLenInByte = 0
; NumSgprs: 6
; NumVgprs: 0
; NumAgprs: 0
; TotalNumVgprs: 0
; ScratchSize: 0
; MemoryBound: 0
; FloatMode: 240
; IeeeMode: 1
; LDSByteSize: 0 bytes/workgroup (compile time only)
; SGPRBlocks: 0
; VGPRBlocks: 0
; NumSGPRsForWavesPerEU: 6
; NumVGPRsForWavesPerEU: 1
; AccumOffset: 4
; Occupancy: 8
; WaveLimiterHint : 0
; COMPUTE_PGM_RSRC2:SCRATCH_EN: 0
; COMPUTE_PGM_RSRC2:USER_SGPR: 2
; COMPUTE_PGM_RSRC2:TRAP_HANDLER: 0
; COMPUTE_PGM_RSRC2:TGID_X_EN: 1
; COMPUTE_PGM_RSRC2:TGID_Y_EN: 0
; COMPUTE_PGM_RSRC2:TGID_Z_EN: 0
; COMPUTE_PGM_RSRC2:TIDIG_COMP_CNT: 0
; COMPUTE_PGM_RSRC3_GFX90A:ACCUM_OFFSET: 0
; COMPUTE_PGM_RSRC3_GFX90A:TG_SPLIT: 0
	.section	.text._ZN7rocprim17ROCPRIM_400000_NS6detail17trampoline_kernelINS0_14default_configENS1_25transform_config_selectorIdLb0EEEZNS1_14transform_implILb0ES3_S5_NS0_18transform_iteratorINS0_17counting_iteratorImlEEZNS1_24adjacent_difference_implIS3_Lb1ELb0EPKdPdN6thrust23THRUST_200600_302600_NS4plusIdEEEE10hipError_tPvRmT2_T3_mT4_P12ihipStream_tbEUlmE_dEESD_NS0_8identityIvEEEESI_SL_SM_mSN_SP_bEUlT_E_NS1_11comp_targetILNS1_3genE2ELNS1_11target_archE906ELNS1_3gpuE6ELNS1_3repE0EEENS1_30default_config_static_selectorELNS0_4arch9wavefront6targetE1EEEvT1_,"axG",@progbits,_ZN7rocprim17ROCPRIM_400000_NS6detail17trampoline_kernelINS0_14default_configENS1_25transform_config_selectorIdLb0EEEZNS1_14transform_implILb0ES3_S5_NS0_18transform_iteratorINS0_17counting_iteratorImlEEZNS1_24adjacent_difference_implIS3_Lb1ELb0EPKdPdN6thrust23THRUST_200600_302600_NS4plusIdEEEE10hipError_tPvRmT2_T3_mT4_P12ihipStream_tbEUlmE_dEESD_NS0_8identityIvEEEESI_SL_SM_mSN_SP_bEUlT_E_NS1_11comp_targetILNS1_3genE2ELNS1_11target_archE906ELNS1_3gpuE6ELNS1_3repE0EEENS1_30default_config_static_selectorELNS0_4arch9wavefront6targetE1EEEvT1_,comdat
	.protected	_ZN7rocprim17ROCPRIM_400000_NS6detail17trampoline_kernelINS0_14default_configENS1_25transform_config_selectorIdLb0EEEZNS1_14transform_implILb0ES3_S5_NS0_18transform_iteratorINS0_17counting_iteratorImlEEZNS1_24adjacent_difference_implIS3_Lb1ELb0EPKdPdN6thrust23THRUST_200600_302600_NS4plusIdEEEE10hipError_tPvRmT2_T3_mT4_P12ihipStream_tbEUlmE_dEESD_NS0_8identityIvEEEESI_SL_SM_mSN_SP_bEUlT_E_NS1_11comp_targetILNS1_3genE2ELNS1_11target_archE906ELNS1_3gpuE6ELNS1_3repE0EEENS1_30default_config_static_selectorELNS0_4arch9wavefront6targetE1EEEvT1_ ; -- Begin function _ZN7rocprim17ROCPRIM_400000_NS6detail17trampoline_kernelINS0_14default_configENS1_25transform_config_selectorIdLb0EEEZNS1_14transform_implILb0ES3_S5_NS0_18transform_iteratorINS0_17counting_iteratorImlEEZNS1_24adjacent_difference_implIS3_Lb1ELb0EPKdPdN6thrust23THRUST_200600_302600_NS4plusIdEEEE10hipError_tPvRmT2_T3_mT4_P12ihipStream_tbEUlmE_dEESD_NS0_8identityIvEEEESI_SL_SM_mSN_SP_bEUlT_E_NS1_11comp_targetILNS1_3genE2ELNS1_11target_archE906ELNS1_3gpuE6ELNS1_3repE0EEENS1_30default_config_static_selectorELNS0_4arch9wavefront6targetE1EEEvT1_
	.globl	_ZN7rocprim17ROCPRIM_400000_NS6detail17trampoline_kernelINS0_14default_configENS1_25transform_config_selectorIdLb0EEEZNS1_14transform_implILb0ES3_S5_NS0_18transform_iteratorINS0_17counting_iteratorImlEEZNS1_24adjacent_difference_implIS3_Lb1ELb0EPKdPdN6thrust23THRUST_200600_302600_NS4plusIdEEEE10hipError_tPvRmT2_T3_mT4_P12ihipStream_tbEUlmE_dEESD_NS0_8identityIvEEEESI_SL_SM_mSN_SP_bEUlT_E_NS1_11comp_targetILNS1_3genE2ELNS1_11target_archE906ELNS1_3gpuE6ELNS1_3repE0EEENS1_30default_config_static_selectorELNS0_4arch9wavefront6targetE1EEEvT1_
	.p2align	8
	.type	_ZN7rocprim17ROCPRIM_400000_NS6detail17trampoline_kernelINS0_14default_configENS1_25transform_config_selectorIdLb0EEEZNS1_14transform_implILb0ES3_S5_NS0_18transform_iteratorINS0_17counting_iteratorImlEEZNS1_24adjacent_difference_implIS3_Lb1ELb0EPKdPdN6thrust23THRUST_200600_302600_NS4plusIdEEEE10hipError_tPvRmT2_T3_mT4_P12ihipStream_tbEUlmE_dEESD_NS0_8identityIvEEEESI_SL_SM_mSN_SP_bEUlT_E_NS1_11comp_targetILNS1_3genE2ELNS1_11target_archE906ELNS1_3gpuE6ELNS1_3repE0EEENS1_30default_config_static_selectorELNS0_4arch9wavefront6targetE1EEEvT1_,@function
_ZN7rocprim17ROCPRIM_400000_NS6detail17trampoline_kernelINS0_14default_configENS1_25transform_config_selectorIdLb0EEEZNS1_14transform_implILb0ES3_S5_NS0_18transform_iteratorINS0_17counting_iteratorImlEEZNS1_24adjacent_difference_implIS3_Lb1ELb0EPKdPdN6thrust23THRUST_200600_302600_NS4plusIdEEEE10hipError_tPvRmT2_T3_mT4_P12ihipStream_tbEUlmE_dEESD_NS0_8identityIvEEEESI_SL_SM_mSN_SP_bEUlT_E_NS1_11comp_targetILNS1_3genE2ELNS1_11target_archE906ELNS1_3gpuE6ELNS1_3repE0EEENS1_30default_config_static_selectorELNS0_4arch9wavefront6targetE1EEEvT1_: ; @_ZN7rocprim17ROCPRIM_400000_NS6detail17trampoline_kernelINS0_14default_configENS1_25transform_config_selectorIdLb0EEEZNS1_14transform_implILb0ES3_S5_NS0_18transform_iteratorINS0_17counting_iteratorImlEEZNS1_24adjacent_difference_implIS3_Lb1ELb0EPKdPdN6thrust23THRUST_200600_302600_NS4plusIdEEEE10hipError_tPvRmT2_T3_mT4_P12ihipStream_tbEUlmE_dEESD_NS0_8identityIvEEEESI_SL_SM_mSN_SP_bEUlT_E_NS1_11comp_targetILNS1_3genE2ELNS1_11target_archE906ELNS1_3gpuE6ELNS1_3repE0EEENS1_30default_config_static_selectorELNS0_4arch9wavefront6targetE1EEEvT1_
; %bb.0:
	.section	.rodata,"a",@progbits
	.p2align	6, 0x0
	.amdhsa_kernel _ZN7rocprim17ROCPRIM_400000_NS6detail17trampoline_kernelINS0_14default_configENS1_25transform_config_selectorIdLb0EEEZNS1_14transform_implILb0ES3_S5_NS0_18transform_iteratorINS0_17counting_iteratorImlEEZNS1_24adjacent_difference_implIS3_Lb1ELb0EPKdPdN6thrust23THRUST_200600_302600_NS4plusIdEEEE10hipError_tPvRmT2_T3_mT4_P12ihipStream_tbEUlmE_dEESD_NS0_8identityIvEEEESI_SL_SM_mSN_SP_bEUlT_E_NS1_11comp_targetILNS1_3genE2ELNS1_11target_archE906ELNS1_3gpuE6ELNS1_3repE0EEENS1_30default_config_static_selectorELNS0_4arch9wavefront6targetE1EEEvT1_
		.amdhsa_group_segment_fixed_size 0
		.amdhsa_private_segment_fixed_size 0
		.amdhsa_kernarg_size 56
		.amdhsa_user_sgpr_count 2
		.amdhsa_user_sgpr_dispatch_ptr 0
		.amdhsa_user_sgpr_queue_ptr 0
		.amdhsa_user_sgpr_kernarg_segment_ptr 1
		.amdhsa_user_sgpr_dispatch_id 0
		.amdhsa_user_sgpr_kernarg_preload_length 0
		.amdhsa_user_sgpr_kernarg_preload_offset 0
		.amdhsa_user_sgpr_private_segment_size 0
		.amdhsa_uses_dynamic_stack 0
		.amdhsa_enable_private_segment 0
		.amdhsa_system_sgpr_workgroup_id_x 1
		.amdhsa_system_sgpr_workgroup_id_y 0
		.amdhsa_system_sgpr_workgroup_id_z 0
		.amdhsa_system_sgpr_workgroup_info 0
		.amdhsa_system_vgpr_workitem_id 0
		.amdhsa_next_free_vgpr 1
		.amdhsa_next_free_sgpr 0
		.amdhsa_accum_offset 4
		.amdhsa_reserve_vcc 0
		.amdhsa_float_round_mode_32 0
		.amdhsa_float_round_mode_16_64 0
		.amdhsa_float_denorm_mode_32 3
		.amdhsa_float_denorm_mode_16_64 3
		.amdhsa_dx10_clamp 1
		.amdhsa_ieee_mode 1
		.amdhsa_fp16_overflow 0
		.amdhsa_tg_split 0
		.amdhsa_exception_fp_ieee_invalid_op 0
		.amdhsa_exception_fp_denorm_src 0
		.amdhsa_exception_fp_ieee_div_zero 0
		.amdhsa_exception_fp_ieee_overflow 0
		.amdhsa_exception_fp_ieee_underflow 0
		.amdhsa_exception_fp_ieee_inexact 0
		.amdhsa_exception_int_div_zero 0
	.end_amdhsa_kernel
	.section	.text._ZN7rocprim17ROCPRIM_400000_NS6detail17trampoline_kernelINS0_14default_configENS1_25transform_config_selectorIdLb0EEEZNS1_14transform_implILb0ES3_S5_NS0_18transform_iteratorINS0_17counting_iteratorImlEEZNS1_24adjacent_difference_implIS3_Lb1ELb0EPKdPdN6thrust23THRUST_200600_302600_NS4plusIdEEEE10hipError_tPvRmT2_T3_mT4_P12ihipStream_tbEUlmE_dEESD_NS0_8identityIvEEEESI_SL_SM_mSN_SP_bEUlT_E_NS1_11comp_targetILNS1_3genE2ELNS1_11target_archE906ELNS1_3gpuE6ELNS1_3repE0EEENS1_30default_config_static_selectorELNS0_4arch9wavefront6targetE1EEEvT1_,"axG",@progbits,_ZN7rocprim17ROCPRIM_400000_NS6detail17trampoline_kernelINS0_14default_configENS1_25transform_config_selectorIdLb0EEEZNS1_14transform_implILb0ES3_S5_NS0_18transform_iteratorINS0_17counting_iteratorImlEEZNS1_24adjacent_difference_implIS3_Lb1ELb0EPKdPdN6thrust23THRUST_200600_302600_NS4plusIdEEEE10hipError_tPvRmT2_T3_mT4_P12ihipStream_tbEUlmE_dEESD_NS0_8identityIvEEEESI_SL_SM_mSN_SP_bEUlT_E_NS1_11comp_targetILNS1_3genE2ELNS1_11target_archE906ELNS1_3gpuE6ELNS1_3repE0EEENS1_30default_config_static_selectorELNS0_4arch9wavefront6targetE1EEEvT1_,comdat
.Lfunc_end653:
	.size	_ZN7rocprim17ROCPRIM_400000_NS6detail17trampoline_kernelINS0_14default_configENS1_25transform_config_selectorIdLb0EEEZNS1_14transform_implILb0ES3_S5_NS0_18transform_iteratorINS0_17counting_iteratorImlEEZNS1_24adjacent_difference_implIS3_Lb1ELb0EPKdPdN6thrust23THRUST_200600_302600_NS4plusIdEEEE10hipError_tPvRmT2_T3_mT4_P12ihipStream_tbEUlmE_dEESD_NS0_8identityIvEEEESI_SL_SM_mSN_SP_bEUlT_E_NS1_11comp_targetILNS1_3genE2ELNS1_11target_archE906ELNS1_3gpuE6ELNS1_3repE0EEENS1_30default_config_static_selectorELNS0_4arch9wavefront6targetE1EEEvT1_, .Lfunc_end653-_ZN7rocprim17ROCPRIM_400000_NS6detail17trampoline_kernelINS0_14default_configENS1_25transform_config_selectorIdLb0EEEZNS1_14transform_implILb0ES3_S5_NS0_18transform_iteratorINS0_17counting_iteratorImlEEZNS1_24adjacent_difference_implIS3_Lb1ELb0EPKdPdN6thrust23THRUST_200600_302600_NS4plusIdEEEE10hipError_tPvRmT2_T3_mT4_P12ihipStream_tbEUlmE_dEESD_NS0_8identityIvEEEESI_SL_SM_mSN_SP_bEUlT_E_NS1_11comp_targetILNS1_3genE2ELNS1_11target_archE906ELNS1_3gpuE6ELNS1_3repE0EEENS1_30default_config_static_selectorELNS0_4arch9wavefront6targetE1EEEvT1_
                                        ; -- End function
	.section	.AMDGPU.csdata,"",@progbits
; Kernel info:
; codeLenInByte = 0
; NumSgprs: 6
; NumVgprs: 0
; NumAgprs: 0
; TotalNumVgprs: 0
; ScratchSize: 0
; MemoryBound: 0
; FloatMode: 240
; IeeeMode: 1
; LDSByteSize: 0 bytes/workgroup (compile time only)
; SGPRBlocks: 0
; VGPRBlocks: 0
; NumSGPRsForWavesPerEU: 6
; NumVGPRsForWavesPerEU: 1
; AccumOffset: 4
; Occupancy: 8
; WaveLimiterHint : 0
; COMPUTE_PGM_RSRC2:SCRATCH_EN: 0
; COMPUTE_PGM_RSRC2:USER_SGPR: 2
; COMPUTE_PGM_RSRC2:TRAP_HANDLER: 0
; COMPUTE_PGM_RSRC2:TGID_X_EN: 1
; COMPUTE_PGM_RSRC2:TGID_Y_EN: 0
; COMPUTE_PGM_RSRC2:TGID_Z_EN: 0
; COMPUTE_PGM_RSRC2:TIDIG_COMP_CNT: 0
; COMPUTE_PGM_RSRC3_GFX90A:ACCUM_OFFSET: 0
; COMPUTE_PGM_RSRC3_GFX90A:TG_SPLIT: 0
	.section	.text._ZN7rocprim17ROCPRIM_400000_NS6detail17trampoline_kernelINS0_14default_configENS1_25transform_config_selectorIdLb0EEEZNS1_14transform_implILb0ES3_S5_NS0_18transform_iteratorINS0_17counting_iteratorImlEEZNS1_24adjacent_difference_implIS3_Lb1ELb0EPKdPdN6thrust23THRUST_200600_302600_NS4plusIdEEEE10hipError_tPvRmT2_T3_mT4_P12ihipStream_tbEUlmE_dEESD_NS0_8identityIvEEEESI_SL_SM_mSN_SP_bEUlT_E_NS1_11comp_targetILNS1_3genE10ELNS1_11target_archE1201ELNS1_3gpuE5ELNS1_3repE0EEENS1_30default_config_static_selectorELNS0_4arch9wavefront6targetE1EEEvT1_,"axG",@progbits,_ZN7rocprim17ROCPRIM_400000_NS6detail17trampoline_kernelINS0_14default_configENS1_25transform_config_selectorIdLb0EEEZNS1_14transform_implILb0ES3_S5_NS0_18transform_iteratorINS0_17counting_iteratorImlEEZNS1_24adjacent_difference_implIS3_Lb1ELb0EPKdPdN6thrust23THRUST_200600_302600_NS4plusIdEEEE10hipError_tPvRmT2_T3_mT4_P12ihipStream_tbEUlmE_dEESD_NS0_8identityIvEEEESI_SL_SM_mSN_SP_bEUlT_E_NS1_11comp_targetILNS1_3genE10ELNS1_11target_archE1201ELNS1_3gpuE5ELNS1_3repE0EEENS1_30default_config_static_selectorELNS0_4arch9wavefront6targetE1EEEvT1_,comdat
	.protected	_ZN7rocprim17ROCPRIM_400000_NS6detail17trampoline_kernelINS0_14default_configENS1_25transform_config_selectorIdLb0EEEZNS1_14transform_implILb0ES3_S5_NS0_18transform_iteratorINS0_17counting_iteratorImlEEZNS1_24adjacent_difference_implIS3_Lb1ELb0EPKdPdN6thrust23THRUST_200600_302600_NS4plusIdEEEE10hipError_tPvRmT2_T3_mT4_P12ihipStream_tbEUlmE_dEESD_NS0_8identityIvEEEESI_SL_SM_mSN_SP_bEUlT_E_NS1_11comp_targetILNS1_3genE10ELNS1_11target_archE1201ELNS1_3gpuE5ELNS1_3repE0EEENS1_30default_config_static_selectorELNS0_4arch9wavefront6targetE1EEEvT1_ ; -- Begin function _ZN7rocprim17ROCPRIM_400000_NS6detail17trampoline_kernelINS0_14default_configENS1_25transform_config_selectorIdLb0EEEZNS1_14transform_implILb0ES3_S5_NS0_18transform_iteratorINS0_17counting_iteratorImlEEZNS1_24adjacent_difference_implIS3_Lb1ELb0EPKdPdN6thrust23THRUST_200600_302600_NS4plusIdEEEE10hipError_tPvRmT2_T3_mT4_P12ihipStream_tbEUlmE_dEESD_NS0_8identityIvEEEESI_SL_SM_mSN_SP_bEUlT_E_NS1_11comp_targetILNS1_3genE10ELNS1_11target_archE1201ELNS1_3gpuE5ELNS1_3repE0EEENS1_30default_config_static_selectorELNS0_4arch9wavefront6targetE1EEEvT1_
	.globl	_ZN7rocprim17ROCPRIM_400000_NS6detail17trampoline_kernelINS0_14default_configENS1_25transform_config_selectorIdLb0EEEZNS1_14transform_implILb0ES3_S5_NS0_18transform_iteratorINS0_17counting_iteratorImlEEZNS1_24adjacent_difference_implIS3_Lb1ELb0EPKdPdN6thrust23THRUST_200600_302600_NS4plusIdEEEE10hipError_tPvRmT2_T3_mT4_P12ihipStream_tbEUlmE_dEESD_NS0_8identityIvEEEESI_SL_SM_mSN_SP_bEUlT_E_NS1_11comp_targetILNS1_3genE10ELNS1_11target_archE1201ELNS1_3gpuE5ELNS1_3repE0EEENS1_30default_config_static_selectorELNS0_4arch9wavefront6targetE1EEEvT1_
	.p2align	8
	.type	_ZN7rocprim17ROCPRIM_400000_NS6detail17trampoline_kernelINS0_14default_configENS1_25transform_config_selectorIdLb0EEEZNS1_14transform_implILb0ES3_S5_NS0_18transform_iteratorINS0_17counting_iteratorImlEEZNS1_24adjacent_difference_implIS3_Lb1ELb0EPKdPdN6thrust23THRUST_200600_302600_NS4plusIdEEEE10hipError_tPvRmT2_T3_mT4_P12ihipStream_tbEUlmE_dEESD_NS0_8identityIvEEEESI_SL_SM_mSN_SP_bEUlT_E_NS1_11comp_targetILNS1_3genE10ELNS1_11target_archE1201ELNS1_3gpuE5ELNS1_3repE0EEENS1_30default_config_static_selectorELNS0_4arch9wavefront6targetE1EEEvT1_,@function
_ZN7rocprim17ROCPRIM_400000_NS6detail17trampoline_kernelINS0_14default_configENS1_25transform_config_selectorIdLb0EEEZNS1_14transform_implILb0ES3_S5_NS0_18transform_iteratorINS0_17counting_iteratorImlEEZNS1_24adjacent_difference_implIS3_Lb1ELb0EPKdPdN6thrust23THRUST_200600_302600_NS4plusIdEEEE10hipError_tPvRmT2_T3_mT4_P12ihipStream_tbEUlmE_dEESD_NS0_8identityIvEEEESI_SL_SM_mSN_SP_bEUlT_E_NS1_11comp_targetILNS1_3genE10ELNS1_11target_archE1201ELNS1_3gpuE5ELNS1_3repE0EEENS1_30default_config_static_selectorELNS0_4arch9wavefront6targetE1EEEvT1_: ; @_ZN7rocprim17ROCPRIM_400000_NS6detail17trampoline_kernelINS0_14default_configENS1_25transform_config_selectorIdLb0EEEZNS1_14transform_implILb0ES3_S5_NS0_18transform_iteratorINS0_17counting_iteratorImlEEZNS1_24adjacent_difference_implIS3_Lb1ELb0EPKdPdN6thrust23THRUST_200600_302600_NS4plusIdEEEE10hipError_tPvRmT2_T3_mT4_P12ihipStream_tbEUlmE_dEESD_NS0_8identityIvEEEESI_SL_SM_mSN_SP_bEUlT_E_NS1_11comp_targetILNS1_3genE10ELNS1_11target_archE1201ELNS1_3gpuE5ELNS1_3repE0EEENS1_30default_config_static_selectorELNS0_4arch9wavefront6targetE1EEEvT1_
; %bb.0:
	.section	.rodata,"a",@progbits
	.p2align	6, 0x0
	.amdhsa_kernel _ZN7rocprim17ROCPRIM_400000_NS6detail17trampoline_kernelINS0_14default_configENS1_25transform_config_selectorIdLb0EEEZNS1_14transform_implILb0ES3_S5_NS0_18transform_iteratorINS0_17counting_iteratorImlEEZNS1_24adjacent_difference_implIS3_Lb1ELb0EPKdPdN6thrust23THRUST_200600_302600_NS4plusIdEEEE10hipError_tPvRmT2_T3_mT4_P12ihipStream_tbEUlmE_dEESD_NS0_8identityIvEEEESI_SL_SM_mSN_SP_bEUlT_E_NS1_11comp_targetILNS1_3genE10ELNS1_11target_archE1201ELNS1_3gpuE5ELNS1_3repE0EEENS1_30default_config_static_selectorELNS0_4arch9wavefront6targetE1EEEvT1_
		.amdhsa_group_segment_fixed_size 0
		.amdhsa_private_segment_fixed_size 0
		.amdhsa_kernarg_size 56
		.amdhsa_user_sgpr_count 2
		.amdhsa_user_sgpr_dispatch_ptr 0
		.amdhsa_user_sgpr_queue_ptr 0
		.amdhsa_user_sgpr_kernarg_segment_ptr 1
		.amdhsa_user_sgpr_dispatch_id 0
		.amdhsa_user_sgpr_kernarg_preload_length 0
		.amdhsa_user_sgpr_kernarg_preload_offset 0
		.amdhsa_user_sgpr_private_segment_size 0
		.amdhsa_uses_dynamic_stack 0
		.amdhsa_enable_private_segment 0
		.amdhsa_system_sgpr_workgroup_id_x 1
		.amdhsa_system_sgpr_workgroup_id_y 0
		.amdhsa_system_sgpr_workgroup_id_z 0
		.amdhsa_system_sgpr_workgroup_info 0
		.amdhsa_system_vgpr_workitem_id 0
		.amdhsa_next_free_vgpr 1
		.amdhsa_next_free_sgpr 0
		.amdhsa_accum_offset 4
		.amdhsa_reserve_vcc 0
		.amdhsa_float_round_mode_32 0
		.amdhsa_float_round_mode_16_64 0
		.amdhsa_float_denorm_mode_32 3
		.amdhsa_float_denorm_mode_16_64 3
		.amdhsa_dx10_clamp 1
		.amdhsa_ieee_mode 1
		.amdhsa_fp16_overflow 0
		.amdhsa_tg_split 0
		.amdhsa_exception_fp_ieee_invalid_op 0
		.amdhsa_exception_fp_denorm_src 0
		.amdhsa_exception_fp_ieee_div_zero 0
		.amdhsa_exception_fp_ieee_overflow 0
		.amdhsa_exception_fp_ieee_underflow 0
		.amdhsa_exception_fp_ieee_inexact 0
		.amdhsa_exception_int_div_zero 0
	.end_amdhsa_kernel
	.section	.text._ZN7rocprim17ROCPRIM_400000_NS6detail17trampoline_kernelINS0_14default_configENS1_25transform_config_selectorIdLb0EEEZNS1_14transform_implILb0ES3_S5_NS0_18transform_iteratorINS0_17counting_iteratorImlEEZNS1_24adjacent_difference_implIS3_Lb1ELb0EPKdPdN6thrust23THRUST_200600_302600_NS4plusIdEEEE10hipError_tPvRmT2_T3_mT4_P12ihipStream_tbEUlmE_dEESD_NS0_8identityIvEEEESI_SL_SM_mSN_SP_bEUlT_E_NS1_11comp_targetILNS1_3genE10ELNS1_11target_archE1201ELNS1_3gpuE5ELNS1_3repE0EEENS1_30default_config_static_selectorELNS0_4arch9wavefront6targetE1EEEvT1_,"axG",@progbits,_ZN7rocprim17ROCPRIM_400000_NS6detail17trampoline_kernelINS0_14default_configENS1_25transform_config_selectorIdLb0EEEZNS1_14transform_implILb0ES3_S5_NS0_18transform_iteratorINS0_17counting_iteratorImlEEZNS1_24adjacent_difference_implIS3_Lb1ELb0EPKdPdN6thrust23THRUST_200600_302600_NS4plusIdEEEE10hipError_tPvRmT2_T3_mT4_P12ihipStream_tbEUlmE_dEESD_NS0_8identityIvEEEESI_SL_SM_mSN_SP_bEUlT_E_NS1_11comp_targetILNS1_3genE10ELNS1_11target_archE1201ELNS1_3gpuE5ELNS1_3repE0EEENS1_30default_config_static_selectorELNS0_4arch9wavefront6targetE1EEEvT1_,comdat
.Lfunc_end654:
	.size	_ZN7rocprim17ROCPRIM_400000_NS6detail17trampoline_kernelINS0_14default_configENS1_25transform_config_selectorIdLb0EEEZNS1_14transform_implILb0ES3_S5_NS0_18transform_iteratorINS0_17counting_iteratorImlEEZNS1_24adjacent_difference_implIS3_Lb1ELb0EPKdPdN6thrust23THRUST_200600_302600_NS4plusIdEEEE10hipError_tPvRmT2_T3_mT4_P12ihipStream_tbEUlmE_dEESD_NS0_8identityIvEEEESI_SL_SM_mSN_SP_bEUlT_E_NS1_11comp_targetILNS1_3genE10ELNS1_11target_archE1201ELNS1_3gpuE5ELNS1_3repE0EEENS1_30default_config_static_selectorELNS0_4arch9wavefront6targetE1EEEvT1_, .Lfunc_end654-_ZN7rocprim17ROCPRIM_400000_NS6detail17trampoline_kernelINS0_14default_configENS1_25transform_config_selectorIdLb0EEEZNS1_14transform_implILb0ES3_S5_NS0_18transform_iteratorINS0_17counting_iteratorImlEEZNS1_24adjacent_difference_implIS3_Lb1ELb0EPKdPdN6thrust23THRUST_200600_302600_NS4plusIdEEEE10hipError_tPvRmT2_T3_mT4_P12ihipStream_tbEUlmE_dEESD_NS0_8identityIvEEEESI_SL_SM_mSN_SP_bEUlT_E_NS1_11comp_targetILNS1_3genE10ELNS1_11target_archE1201ELNS1_3gpuE5ELNS1_3repE0EEENS1_30default_config_static_selectorELNS0_4arch9wavefront6targetE1EEEvT1_
                                        ; -- End function
	.section	.AMDGPU.csdata,"",@progbits
; Kernel info:
; codeLenInByte = 0
; NumSgprs: 6
; NumVgprs: 0
; NumAgprs: 0
; TotalNumVgprs: 0
; ScratchSize: 0
; MemoryBound: 0
; FloatMode: 240
; IeeeMode: 1
; LDSByteSize: 0 bytes/workgroup (compile time only)
; SGPRBlocks: 0
; VGPRBlocks: 0
; NumSGPRsForWavesPerEU: 6
; NumVGPRsForWavesPerEU: 1
; AccumOffset: 4
; Occupancy: 8
; WaveLimiterHint : 0
; COMPUTE_PGM_RSRC2:SCRATCH_EN: 0
; COMPUTE_PGM_RSRC2:USER_SGPR: 2
; COMPUTE_PGM_RSRC2:TRAP_HANDLER: 0
; COMPUTE_PGM_RSRC2:TGID_X_EN: 1
; COMPUTE_PGM_RSRC2:TGID_Y_EN: 0
; COMPUTE_PGM_RSRC2:TGID_Z_EN: 0
; COMPUTE_PGM_RSRC2:TIDIG_COMP_CNT: 0
; COMPUTE_PGM_RSRC3_GFX90A:ACCUM_OFFSET: 0
; COMPUTE_PGM_RSRC3_GFX90A:TG_SPLIT: 0
	.section	.text._ZN7rocprim17ROCPRIM_400000_NS6detail17trampoline_kernelINS0_14default_configENS1_25transform_config_selectorIdLb0EEEZNS1_14transform_implILb0ES3_S5_NS0_18transform_iteratorINS0_17counting_iteratorImlEEZNS1_24adjacent_difference_implIS3_Lb1ELb0EPKdPdN6thrust23THRUST_200600_302600_NS4plusIdEEEE10hipError_tPvRmT2_T3_mT4_P12ihipStream_tbEUlmE_dEESD_NS0_8identityIvEEEESI_SL_SM_mSN_SP_bEUlT_E_NS1_11comp_targetILNS1_3genE10ELNS1_11target_archE1200ELNS1_3gpuE4ELNS1_3repE0EEENS1_30default_config_static_selectorELNS0_4arch9wavefront6targetE1EEEvT1_,"axG",@progbits,_ZN7rocprim17ROCPRIM_400000_NS6detail17trampoline_kernelINS0_14default_configENS1_25transform_config_selectorIdLb0EEEZNS1_14transform_implILb0ES3_S5_NS0_18transform_iteratorINS0_17counting_iteratorImlEEZNS1_24adjacent_difference_implIS3_Lb1ELb0EPKdPdN6thrust23THRUST_200600_302600_NS4plusIdEEEE10hipError_tPvRmT2_T3_mT4_P12ihipStream_tbEUlmE_dEESD_NS0_8identityIvEEEESI_SL_SM_mSN_SP_bEUlT_E_NS1_11comp_targetILNS1_3genE10ELNS1_11target_archE1200ELNS1_3gpuE4ELNS1_3repE0EEENS1_30default_config_static_selectorELNS0_4arch9wavefront6targetE1EEEvT1_,comdat
	.protected	_ZN7rocprim17ROCPRIM_400000_NS6detail17trampoline_kernelINS0_14default_configENS1_25transform_config_selectorIdLb0EEEZNS1_14transform_implILb0ES3_S5_NS0_18transform_iteratorINS0_17counting_iteratorImlEEZNS1_24adjacent_difference_implIS3_Lb1ELb0EPKdPdN6thrust23THRUST_200600_302600_NS4plusIdEEEE10hipError_tPvRmT2_T3_mT4_P12ihipStream_tbEUlmE_dEESD_NS0_8identityIvEEEESI_SL_SM_mSN_SP_bEUlT_E_NS1_11comp_targetILNS1_3genE10ELNS1_11target_archE1200ELNS1_3gpuE4ELNS1_3repE0EEENS1_30default_config_static_selectorELNS0_4arch9wavefront6targetE1EEEvT1_ ; -- Begin function _ZN7rocprim17ROCPRIM_400000_NS6detail17trampoline_kernelINS0_14default_configENS1_25transform_config_selectorIdLb0EEEZNS1_14transform_implILb0ES3_S5_NS0_18transform_iteratorINS0_17counting_iteratorImlEEZNS1_24adjacent_difference_implIS3_Lb1ELb0EPKdPdN6thrust23THRUST_200600_302600_NS4plusIdEEEE10hipError_tPvRmT2_T3_mT4_P12ihipStream_tbEUlmE_dEESD_NS0_8identityIvEEEESI_SL_SM_mSN_SP_bEUlT_E_NS1_11comp_targetILNS1_3genE10ELNS1_11target_archE1200ELNS1_3gpuE4ELNS1_3repE0EEENS1_30default_config_static_selectorELNS0_4arch9wavefront6targetE1EEEvT1_
	.globl	_ZN7rocprim17ROCPRIM_400000_NS6detail17trampoline_kernelINS0_14default_configENS1_25transform_config_selectorIdLb0EEEZNS1_14transform_implILb0ES3_S5_NS0_18transform_iteratorINS0_17counting_iteratorImlEEZNS1_24adjacent_difference_implIS3_Lb1ELb0EPKdPdN6thrust23THRUST_200600_302600_NS4plusIdEEEE10hipError_tPvRmT2_T3_mT4_P12ihipStream_tbEUlmE_dEESD_NS0_8identityIvEEEESI_SL_SM_mSN_SP_bEUlT_E_NS1_11comp_targetILNS1_3genE10ELNS1_11target_archE1200ELNS1_3gpuE4ELNS1_3repE0EEENS1_30default_config_static_selectorELNS0_4arch9wavefront6targetE1EEEvT1_
	.p2align	8
	.type	_ZN7rocprim17ROCPRIM_400000_NS6detail17trampoline_kernelINS0_14default_configENS1_25transform_config_selectorIdLb0EEEZNS1_14transform_implILb0ES3_S5_NS0_18transform_iteratorINS0_17counting_iteratorImlEEZNS1_24adjacent_difference_implIS3_Lb1ELb0EPKdPdN6thrust23THRUST_200600_302600_NS4plusIdEEEE10hipError_tPvRmT2_T3_mT4_P12ihipStream_tbEUlmE_dEESD_NS0_8identityIvEEEESI_SL_SM_mSN_SP_bEUlT_E_NS1_11comp_targetILNS1_3genE10ELNS1_11target_archE1200ELNS1_3gpuE4ELNS1_3repE0EEENS1_30default_config_static_selectorELNS0_4arch9wavefront6targetE1EEEvT1_,@function
_ZN7rocprim17ROCPRIM_400000_NS6detail17trampoline_kernelINS0_14default_configENS1_25transform_config_selectorIdLb0EEEZNS1_14transform_implILb0ES3_S5_NS0_18transform_iteratorINS0_17counting_iteratorImlEEZNS1_24adjacent_difference_implIS3_Lb1ELb0EPKdPdN6thrust23THRUST_200600_302600_NS4plusIdEEEE10hipError_tPvRmT2_T3_mT4_P12ihipStream_tbEUlmE_dEESD_NS0_8identityIvEEEESI_SL_SM_mSN_SP_bEUlT_E_NS1_11comp_targetILNS1_3genE10ELNS1_11target_archE1200ELNS1_3gpuE4ELNS1_3repE0EEENS1_30default_config_static_selectorELNS0_4arch9wavefront6targetE1EEEvT1_: ; @_ZN7rocprim17ROCPRIM_400000_NS6detail17trampoline_kernelINS0_14default_configENS1_25transform_config_selectorIdLb0EEEZNS1_14transform_implILb0ES3_S5_NS0_18transform_iteratorINS0_17counting_iteratorImlEEZNS1_24adjacent_difference_implIS3_Lb1ELb0EPKdPdN6thrust23THRUST_200600_302600_NS4plusIdEEEE10hipError_tPvRmT2_T3_mT4_P12ihipStream_tbEUlmE_dEESD_NS0_8identityIvEEEESI_SL_SM_mSN_SP_bEUlT_E_NS1_11comp_targetILNS1_3genE10ELNS1_11target_archE1200ELNS1_3gpuE4ELNS1_3repE0EEENS1_30default_config_static_selectorELNS0_4arch9wavefront6targetE1EEEvT1_
; %bb.0:
	.section	.rodata,"a",@progbits
	.p2align	6, 0x0
	.amdhsa_kernel _ZN7rocprim17ROCPRIM_400000_NS6detail17trampoline_kernelINS0_14default_configENS1_25transform_config_selectorIdLb0EEEZNS1_14transform_implILb0ES3_S5_NS0_18transform_iteratorINS0_17counting_iteratorImlEEZNS1_24adjacent_difference_implIS3_Lb1ELb0EPKdPdN6thrust23THRUST_200600_302600_NS4plusIdEEEE10hipError_tPvRmT2_T3_mT4_P12ihipStream_tbEUlmE_dEESD_NS0_8identityIvEEEESI_SL_SM_mSN_SP_bEUlT_E_NS1_11comp_targetILNS1_3genE10ELNS1_11target_archE1200ELNS1_3gpuE4ELNS1_3repE0EEENS1_30default_config_static_selectorELNS0_4arch9wavefront6targetE1EEEvT1_
		.amdhsa_group_segment_fixed_size 0
		.amdhsa_private_segment_fixed_size 0
		.amdhsa_kernarg_size 56
		.amdhsa_user_sgpr_count 2
		.amdhsa_user_sgpr_dispatch_ptr 0
		.amdhsa_user_sgpr_queue_ptr 0
		.amdhsa_user_sgpr_kernarg_segment_ptr 1
		.amdhsa_user_sgpr_dispatch_id 0
		.amdhsa_user_sgpr_kernarg_preload_length 0
		.amdhsa_user_sgpr_kernarg_preload_offset 0
		.amdhsa_user_sgpr_private_segment_size 0
		.amdhsa_uses_dynamic_stack 0
		.amdhsa_enable_private_segment 0
		.amdhsa_system_sgpr_workgroup_id_x 1
		.amdhsa_system_sgpr_workgroup_id_y 0
		.amdhsa_system_sgpr_workgroup_id_z 0
		.amdhsa_system_sgpr_workgroup_info 0
		.amdhsa_system_vgpr_workitem_id 0
		.amdhsa_next_free_vgpr 1
		.amdhsa_next_free_sgpr 0
		.amdhsa_accum_offset 4
		.amdhsa_reserve_vcc 0
		.amdhsa_float_round_mode_32 0
		.amdhsa_float_round_mode_16_64 0
		.amdhsa_float_denorm_mode_32 3
		.amdhsa_float_denorm_mode_16_64 3
		.amdhsa_dx10_clamp 1
		.amdhsa_ieee_mode 1
		.amdhsa_fp16_overflow 0
		.amdhsa_tg_split 0
		.amdhsa_exception_fp_ieee_invalid_op 0
		.amdhsa_exception_fp_denorm_src 0
		.amdhsa_exception_fp_ieee_div_zero 0
		.amdhsa_exception_fp_ieee_overflow 0
		.amdhsa_exception_fp_ieee_underflow 0
		.amdhsa_exception_fp_ieee_inexact 0
		.amdhsa_exception_int_div_zero 0
	.end_amdhsa_kernel
	.section	.text._ZN7rocprim17ROCPRIM_400000_NS6detail17trampoline_kernelINS0_14default_configENS1_25transform_config_selectorIdLb0EEEZNS1_14transform_implILb0ES3_S5_NS0_18transform_iteratorINS0_17counting_iteratorImlEEZNS1_24adjacent_difference_implIS3_Lb1ELb0EPKdPdN6thrust23THRUST_200600_302600_NS4plusIdEEEE10hipError_tPvRmT2_T3_mT4_P12ihipStream_tbEUlmE_dEESD_NS0_8identityIvEEEESI_SL_SM_mSN_SP_bEUlT_E_NS1_11comp_targetILNS1_3genE10ELNS1_11target_archE1200ELNS1_3gpuE4ELNS1_3repE0EEENS1_30default_config_static_selectorELNS0_4arch9wavefront6targetE1EEEvT1_,"axG",@progbits,_ZN7rocprim17ROCPRIM_400000_NS6detail17trampoline_kernelINS0_14default_configENS1_25transform_config_selectorIdLb0EEEZNS1_14transform_implILb0ES3_S5_NS0_18transform_iteratorINS0_17counting_iteratorImlEEZNS1_24adjacent_difference_implIS3_Lb1ELb0EPKdPdN6thrust23THRUST_200600_302600_NS4plusIdEEEE10hipError_tPvRmT2_T3_mT4_P12ihipStream_tbEUlmE_dEESD_NS0_8identityIvEEEESI_SL_SM_mSN_SP_bEUlT_E_NS1_11comp_targetILNS1_3genE10ELNS1_11target_archE1200ELNS1_3gpuE4ELNS1_3repE0EEENS1_30default_config_static_selectorELNS0_4arch9wavefront6targetE1EEEvT1_,comdat
.Lfunc_end655:
	.size	_ZN7rocprim17ROCPRIM_400000_NS6detail17trampoline_kernelINS0_14default_configENS1_25transform_config_selectorIdLb0EEEZNS1_14transform_implILb0ES3_S5_NS0_18transform_iteratorINS0_17counting_iteratorImlEEZNS1_24adjacent_difference_implIS3_Lb1ELb0EPKdPdN6thrust23THRUST_200600_302600_NS4plusIdEEEE10hipError_tPvRmT2_T3_mT4_P12ihipStream_tbEUlmE_dEESD_NS0_8identityIvEEEESI_SL_SM_mSN_SP_bEUlT_E_NS1_11comp_targetILNS1_3genE10ELNS1_11target_archE1200ELNS1_3gpuE4ELNS1_3repE0EEENS1_30default_config_static_selectorELNS0_4arch9wavefront6targetE1EEEvT1_, .Lfunc_end655-_ZN7rocprim17ROCPRIM_400000_NS6detail17trampoline_kernelINS0_14default_configENS1_25transform_config_selectorIdLb0EEEZNS1_14transform_implILb0ES3_S5_NS0_18transform_iteratorINS0_17counting_iteratorImlEEZNS1_24adjacent_difference_implIS3_Lb1ELb0EPKdPdN6thrust23THRUST_200600_302600_NS4plusIdEEEE10hipError_tPvRmT2_T3_mT4_P12ihipStream_tbEUlmE_dEESD_NS0_8identityIvEEEESI_SL_SM_mSN_SP_bEUlT_E_NS1_11comp_targetILNS1_3genE10ELNS1_11target_archE1200ELNS1_3gpuE4ELNS1_3repE0EEENS1_30default_config_static_selectorELNS0_4arch9wavefront6targetE1EEEvT1_
                                        ; -- End function
	.section	.AMDGPU.csdata,"",@progbits
; Kernel info:
; codeLenInByte = 0
; NumSgprs: 6
; NumVgprs: 0
; NumAgprs: 0
; TotalNumVgprs: 0
; ScratchSize: 0
; MemoryBound: 0
; FloatMode: 240
; IeeeMode: 1
; LDSByteSize: 0 bytes/workgroup (compile time only)
; SGPRBlocks: 0
; VGPRBlocks: 0
; NumSGPRsForWavesPerEU: 6
; NumVGPRsForWavesPerEU: 1
; AccumOffset: 4
; Occupancy: 8
; WaveLimiterHint : 0
; COMPUTE_PGM_RSRC2:SCRATCH_EN: 0
; COMPUTE_PGM_RSRC2:USER_SGPR: 2
; COMPUTE_PGM_RSRC2:TRAP_HANDLER: 0
; COMPUTE_PGM_RSRC2:TGID_X_EN: 1
; COMPUTE_PGM_RSRC2:TGID_Y_EN: 0
; COMPUTE_PGM_RSRC2:TGID_Z_EN: 0
; COMPUTE_PGM_RSRC2:TIDIG_COMP_CNT: 0
; COMPUTE_PGM_RSRC3_GFX90A:ACCUM_OFFSET: 0
; COMPUTE_PGM_RSRC3_GFX90A:TG_SPLIT: 0
	.section	.text._ZN7rocprim17ROCPRIM_400000_NS6detail17trampoline_kernelINS0_14default_configENS1_25transform_config_selectorIdLb0EEEZNS1_14transform_implILb0ES3_S5_NS0_18transform_iteratorINS0_17counting_iteratorImlEEZNS1_24adjacent_difference_implIS3_Lb1ELb0EPKdPdN6thrust23THRUST_200600_302600_NS4plusIdEEEE10hipError_tPvRmT2_T3_mT4_P12ihipStream_tbEUlmE_dEESD_NS0_8identityIvEEEESI_SL_SM_mSN_SP_bEUlT_E_NS1_11comp_targetILNS1_3genE9ELNS1_11target_archE1100ELNS1_3gpuE3ELNS1_3repE0EEENS1_30default_config_static_selectorELNS0_4arch9wavefront6targetE1EEEvT1_,"axG",@progbits,_ZN7rocprim17ROCPRIM_400000_NS6detail17trampoline_kernelINS0_14default_configENS1_25transform_config_selectorIdLb0EEEZNS1_14transform_implILb0ES3_S5_NS0_18transform_iteratorINS0_17counting_iteratorImlEEZNS1_24adjacent_difference_implIS3_Lb1ELb0EPKdPdN6thrust23THRUST_200600_302600_NS4plusIdEEEE10hipError_tPvRmT2_T3_mT4_P12ihipStream_tbEUlmE_dEESD_NS0_8identityIvEEEESI_SL_SM_mSN_SP_bEUlT_E_NS1_11comp_targetILNS1_3genE9ELNS1_11target_archE1100ELNS1_3gpuE3ELNS1_3repE0EEENS1_30default_config_static_selectorELNS0_4arch9wavefront6targetE1EEEvT1_,comdat
	.protected	_ZN7rocprim17ROCPRIM_400000_NS6detail17trampoline_kernelINS0_14default_configENS1_25transform_config_selectorIdLb0EEEZNS1_14transform_implILb0ES3_S5_NS0_18transform_iteratorINS0_17counting_iteratorImlEEZNS1_24adjacent_difference_implIS3_Lb1ELb0EPKdPdN6thrust23THRUST_200600_302600_NS4plusIdEEEE10hipError_tPvRmT2_T3_mT4_P12ihipStream_tbEUlmE_dEESD_NS0_8identityIvEEEESI_SL_SM_mSN_SP_bEUlT_E_NS1_11comp_targetILNS1_3genE9ELNS1_11target_archE1100ELNS1_3gpuE3ELNS1_3repE0EEENS1_30default_config_static_selectorELNS0_4arch9wavefront6targetE1EEEvT1_ ; -- Begin function _ZN7rocprim17ROCPRIM_400000_NS6detail17trampoline_kernelINS0_14default_configENS1_25transform_config_selectorIdLb0EEEZNS1_14transform_implILb0ES3_S5_NS0_18transform_iteratorINS0_17counting_iteratorImlEEZNS1_24adjacent_difference_implIS3_Lb1ELb0EPKdPdN6thrust23THRUST_200600_302600_NS4plusIdEEEE10hipError_tPvRmT2_T3_mT4_P12ihipStream_tbEUlmE_dEESD_NS0_8identityIvEEEESI_SL_SM_mSN_SP_bEUlT_E_NS1_11comp_targetILNS1_3genE9ELNS1_11target_archE1100ELNS1_3gpuE3ELNS1_3repE0EEENS1_30default_config_static_selectorELNS0_4arch9wavefront6targetE1EEEvT1_
	.globl	_ZN7rocprim17ROCPRIM_400000_NS6detail17trampoline_kernelINS0_14default_configENS1_25transform_config_selectorIdLb0EEEZNS1_14transform_implILb0ES3_S5_NS0_18transform_iteratorINS0_17counting_iteratorImlEEZNS1_24adjacent_difference_implIS3_Lb1ELb0EPKdPdN6thrust23THRUST_200600_302600_NS4plusIdEEEE10hipError_tPvRmT2_T3_mT4_P12ihipStream_tbEUlmE_dEESD_NS0_8identityIvEEEESI_SL_SM_mSN_SP_bEUlT_E_NS1_11comp_targetILNS1_3genE9ELNS1_11target_archE1100ELNS1_3gpuE3ELNS1_3repE0EEENS1_30default_config_static_selectorELNS0_4arch9wavefront6targetE1EEEvT1_
	.p2align	8
	.type	_ZN7rocprim17ROCPRIM_400000_NS6detail17trampoline_kernelINS0_14default_configENS1_25transform_config_selectorIdLb0EEEZNS1_14transform_implILb0ES3_S5_NS0_18transform_iteratorINS0_17counting_iteratorImlEEZNS1_24adjacent_difference_implIS3_Lb1ELb0EPKdPdN6thrust23THRUST_200600_302600_NS4plusIdEEEE10hipError_tPvRmT2_T3_mT4_P12ihipStream_tbEUlmE_dEESD_NS0_8identityIvEEEESI_SL_SM_mSN_SP_bEUlT_E_NS1_11comp_targetILNS1_3genE9ELNS1_11target_archE1100ELNS1_3gpuE3ELNS1_3repE0EEENS1_30default_config_static_selectorELNS0_4arch9wavefront6targetE1EEEvT1_,@function
_ZN7rocprim17ROCPRIM_400000_NS6detail17trampoline_kernelINS0_14default_configENS1_25transform_config_selectorIdLb0EEEZNS1_14transform_implILb0ES3_S5_NS0_18transform_iteratorINS0_17counting_iteratorImlEEZNS1_24adjacent_difference_implIS3_Lb1ELb0EPKdPdN6thrust23THRUST_200600_302600_NS4plusIdEEEE10hipError_tPvRmT2_T3_mT4_P12ihipStream_tbEUlmE_dEESD_NS0_8identityIvEEEESI_SL_SM_mSN_SP_bEUlT_E_NS1_11comp_targetILNS1_3genE9ELNS1_11target_archE1100ELNS1_3gpuE3ELNS1_3repE0EEENS1_30default_config_static_selectorELNS0_4arch9wavefront6targetE1EEEvT1_: ; @_ZN7rocprim17ROCPRIM_400000_NS6detail17trampoline_kernelINS0_14default_configENS1_25transform_config_selectorIdLb0EEEZNS1_14transform_implILb0ES3_S5_NS0_18transform_iteratorINS0_17counting_iteratorImlEEZNS1_24adjacent_difference_implIS3_Lb1ELb0EPKdPdN6thrust23THRUST_200600_302600_NS4plusIdEEEE10hipError_tPvRmT2_T3_mT4_P12ihipStream_tbEUlmE_dEESD_NS0_8identityIvEEEESI_SL_SM_mSN_SP_bEUlT_E_NS1_11comp_targetILNS1_3genE9ELNS1_11target_archE1100ELNS1_3gpuE3ELNS1_3repE0EEENS1_30default_config_static_selectorELNS0_4arch9wavefront6targetE1EEEvT1_
; %bb.0:
	.section	.rodata,"a",@progbits
	.p2align	6, 0x0
	.amdhsa_kernel _ZN7rocprim17ROCPRIM_400000_NS6detail17trampoline_kernelINS0_14default_configENS1_25transform_config_selectorIdLb0EEEZNS1_14transform_implILb0ES3_S5_NS0_18transform_iteratorINS0_17counting_iteratorImlEEZNS1_24adjacent_difference_implIS3_Lb1ELb0EPKdPdN6thrust23THRUST_200600_302600_NS4plusIdEEEE10hipError_tPvRmT2_T3_mT4_P12ihipStream_tbEUlmE_dEESD_NS0_8identityIvEEEESI_SL_SM_mSN_SP_bEUlT_E_NS1_11comp_targetILNS1_3genE9ELNS1_11target_archE1100ELNS1_3gpuE3ELNS1_3repE0EEENS1_30default_config_static_selectorELNS0_4arch9wavefront6targetE1EEEvT1_
		.amdhsa_group_segment_fixed_size 0
		.amdhsa_private_segment_fixed_size 0
		.amdhsa_kernarg_size 56
		.amdhsa_user_sgpr_count 2
		.amdhsa_user_sgpr_dispatch_ptr 0
		.amdhsa_user_sgpr_queue_ptr 0
		.amdhsa_user_sgpr_kernarg_segment_ptr 1
		.amdhsa_user_sgpr_dispatch_id 0
		.amdhsa_user_sgpr_kernarg_preload_length 0
		.amdhsa_user_sgpr_kernarg_preload_offset 0
		.amdhsa_user_sgpr_private_segment_size 0
		.amdhsa_uses_dynamic_stack 0
		.amdhsa_enable_private_segment 0
		.amdhsa_system_sgpr_workgroup_id_x 1
		.amdhsa_system_sgpr_workgroup_id_y 0
		.amdhsa_system_sgpr_workgroup_id_z 0
		.amdhsa_system_sgpr_workgroup_info 0
		.amdhsa_system_vgpr_workitem_id 0
		.amdhsa_next_free_vgpr 1
		.amdhsa_next_free_sgpr 0
		.amdhsa_accum_offset 4
		.amdhsa_reserve_vcc 0
		.amdhsa_float_round_mode_32 0
		.amdhsa_float_round_mode_16_64 0
		.amdhsa_float_denorm_mode_32 3
		.amdhsa_float_denorm_mode_16_64 3
		.amdhsa_dx10_clamp 1
		.amdhsa_ieee_mode 1
		.amdhsa_fp16_overflow 0
		.amdhsa_tg_split 0
		.amdhsa_exception_fp_ieee_invalid_op 0
		.amdhsa_exception_fp_denorm_src 0
		.amdhsa_exception_fp_ieee_div_zero 0
		.amdhsa_exception_fp_ieee_overflow 0
		.amdhsa_exception_fp_ieee_underflow 0
		.amdhsa_exception_fp_ieee_inexact 0
		.amdhsa_exception_int_div_zero 0
	.end_amdhsa_kernel
	.section	.text._ZN7rocprim17ROCPRIM_400000_NS6detail17trampoline_kernelINS0_14default_configENS1_25transform_config_selectorIdLb0EEEZNS1_14transform_implILb0ES3_S5_NS0_18transform_iteratorINS0_17counting_iteratorImlEEZNS1_24adjacent_difference_implIS3_Lb1ELb0EPKdPdN6thrust23THRUST_200600_302600_NS4plusIdEEEE10hipError_tPvRmT2_T3_mT4_P12ihipStream_tbEUlmE_dEESD_NS0_8identityIvEEEESI_SL_SM_mSN_SP_bEUlT_E_NS1_11comp_targetILNS1_3genE9ELNS1_11target_archE1100ELNS1_3gpuE3ELNS1_3repE0EEENS1_30default_config_static_selectorELNS0_4arch9wavefront6targetE1EEEvT1_,"axG",@progbits,_ZN7rocprim17ROCPRIM_400000_NS6detail17trampoline_kernelINS0_14default_configENS1_25transform_config_selectorIdLb0EEEZNS1_14transform_implILb0ES3_S5_NS0_18transform_iteratorINS0_17counting_iteratorImlEEZNS1_24adjacent_difference_implIS3_Lb1ELb0EPKdPdN6thrust23THRUST_200600_302600_NS4plusIdEEEE10hipError_tPvRmT2_T3_mT4_P12ihipStream_tbEUlmE_dEESD_NS0_8identityIvEEEESI_SL_SM_mSN_SP_bEUlT_E_NS1_11comp_targetILNS1_3genE9ELNS1_11target_archE1100ELNS1_3gpuE3ELNS1_3repE0EEENS1_30default_config_static_selectorELNS0_4arch9wavefront6targetE1EEEvT1_,comdat
.Lfunc_end656:
	.size	_ZN7rocprim17ROCPRIM_400000_NS6detail17trampoline_kernelINS0_14default_configENS1_25transform_config_selectorIdLb0EEEZNS1_14transform_implILb0ES3_S5_NS0_18transform_iteratorINS0_17counting_iteratorImlEEZNS1_24adjacent_difference_implIS3_Lb1ELb0EPKdPdN6thrust23THRUST_200600_302600_NS4plusIdEEEE10hipError_tPvRmT2_T3_mT4_P12ihipStream_tbEUlmE_dEESD_NS0_8identityIvEEEESI_SL_SM_mSN_SP_bEUlT_E_NS1_11comp_targetILNS1_3genE9ELNS1_11target_archE1100ELNS1_3gpuE3ELNS1_3repE0EEENS1_30default_config_static_selectorELNS0_4arch9wavefront6targetE1EEEvT1_, .Lfunc_end656-_ZN7rocprim17ROCPRIM_400000_NS6detail17trampoline_kernelINS0_14default_configENS1_25transform_config_selectorIdLb0EEEZNS1_14transform_implILb0ES3_S5_NS0_18transform_iteratorINS0_17counting_iteratorImlEEZNS1_24adjacent_difference_implIS3_Lb1ELb0EPKdPdN6thrust23THRUST_200600_302600_NS4plusIdEEEE10hipError_tPvRmT2_T3_mT4_P12ihipStream_tbEUlmE_dEESD_NS0_8identityIvEEEESI_SL_SM_mSN_SP_bEUlT_E_NS1_11comp_targetILNS1_3genE9ELNS1_11target_archE1100ELNS1_3gpuE3ELNS1_3repE0EEENS1_30default_config_static_selectorELNS0_4arch9wavefront6targetE1EEEvT1_
                                        ; -- End function
	.section	.AMDGPU.csdata,"",@progbits
; Kernel info:
; codeLenInByte = 0
; NumSgprs: 6
; NumVgprs: 0
; NumAgprs: 0
; TotalNumVgprs: 0
; ScratchSize: 0
; MemoryBound: 0
; FloatMode: 240
; IeeeMode: 1
; LDSByteSize: 0 bytes/workgroup (compile time only)
; SGPRBlocks: 0
; VGPRBlocks: 0
; NumSGPRsForWavesPerEU: 6
; NumVGPRsForWavesPerEU: 1
; AccumOffset: 4
; Occupancy: 8
; WaveLimiterHint : 0
; COMPUTE_PGM_RSRC2:SCRATCH_EN: 0
; COMPUTE_PGM_RSRC2:USER_SGPR: 2
; COMPUTE_PGM_RSRC2:TRAP_HANDLER: 0
; COMPUTE_PGM_RSRC2:TGID_X_EN: 1
; COMPUTE_PGM_RSRC2:TGID_Y_EN: 0
; COMPUTE_PGM_RSRC2:TGID_Z_EN: 0
; COMPUTE_PGM_RSRC2:TIDIG_COMP_CNT: 0
; COMPUTE_PGM_RSRC3_GFX90A:ACCUM_OFFSET: 0
; COMPUTE_PGM_RSRC3_GFX90A:TG_SPLIT: 0
	.section	.text._ZN7rocprim17ROCPRIM_400000_NS6detail17trampoline_kernelINS0_14default_configENS1_25transform_config_selectorIdLb0EEEZNS1_14transform_implILb0ES3_S5_NS0_18transform_iteratorINS0_17counting_iteratorImlEEZNS1_24adjacent_difference_implIS3_Lb1ELb0EPKdPdN6thrust23THRUST_200600_302600_NS4plusIdEEEE10hipError_tPvRmT2_T3_mT4_P12ihipStream_tbEUlmE_dEESD_NS0_8identityIvEEEESI_SL_SM_mSN_SP_bEUlT_E_NS1_11comp_targetILNS1_3genE8ELNS1_11target_archE1030ELNS1_3gpuE2ELNS1_3repE0EEENS1_30default_config_static_selectorELNS0_4arch9wavefront6targetE1EEEvT1_,"axG",@progbits,_ZN7rocprim17ROCPRIM_400000_NS6detail17trampoline_kernelINS0_14default_configENS1_25transform_config_selectorIdLb0EEEZNS1_14transform_implILb0ES3_S5_NS0_18transform_iteratorINS0_17counting_iteratorImlEEZNS1_24adjacent_difference_implIS3_Lb1ELb0EPKdPdN6thrust23THRUST_200600_302600_NS4plusIdEEEE10hipError_tPvRmT2_T3_mT4_P12ihipStream_tbEUlmE_dEESD_NS0_8identityIvEEEESI_SL_SM_mSN_SP_bEUlT_E_NS1_11comp_targetILNS1_3genE8ELNS1_11target_archE1030ELNS1_3gpuE2ELNS1_3repE0EEENS1_30default_config_static_selectorELNS0_4arch9wavefront6targetE1EEEvT1_,comdat
	.protected	_ZN7rocprim17ROCPRIM_400000_NS6detail17trampoline_kernelINS0_14default_configENS1_25transform_config_selectorIdLb0EEEZNS1_14transform_implILb0ES3_S5_NS0_18transform_iteratorINS0_17counting_iteratorImlEEZNS1_24adjacent_difference_implIS3_Lb1ELb0EPKdPdN6thrust23THRUST_200600_302600_NS4plusIdEEEE10hipError_tPvRmT2_T3_mT4_P12ihipStream_tbEUlmE_dEESD_NS0_8identityIvEEEESI_SL_SM_mSN_SP_bEUlT_E_NS1_11comp_targetILNS1_3genE8ELNS1_11target_archE1030ELNS1_3gpuE2ELNS1_3repE0EEENS1_30default_config_static_selectorELNS0_4arch9wavefront6targetE1EEEvT1_ ; -- Begin function _ZN7rocprim17ROCPRIM_400000_NS6detail17trampoline_kernelINS0_14default_configENS1_25transform_config_selectorIdLb0EEEZNS1_14transform_implILb0ES3_S5_NS0_18transform_iteratorINS0_17counting_iteratorImlEEZNS1_24adjacent_difference_implIS3_Lb1ELb0EPKdPdN6thrust23THRUST_200600_302600_NS4plusIdEEEE10hipError_tPvRmT2_T3_mT4_P12ihipStream_tbEUlmE_dEESD_NS0_8identityIvEEEESI_SL_SM_mSN_SP_bEUlT_E_NS1_11comp_targetILNS1_3genE8ELNS1_11target_archE1030ELNS1_3gpuE2ELNS1_3repE0EEENS1_30default_config_static_selectorELNS0_4arch9wavefront6targetE1EEEvT1_
	.globl	_ZN7rocprim17ROCPRIM_400000_NS6detail17trampoline_kernelINS0_14default_configENS1_25transform_config_selectorIdLb0EEEZNS1_14transform_implILb0ES3_S5_NS0_18transform_iteratorINS0_17counting_iteratorImlEEZNS1_24adjacent_difference_implIS3_Lb1ELb0EPKdPdN6thrust23THRUST_200600_302600_NS4plusIdEEEE10hipError_tPvRmT2_T3_mT4_P12ihipStream_tbEUlmE_dEESD_NS0_8identityIvEEEESI_SL_SM_mSN_SP_bEUlT_E_NS1_11comp_targetILNS1_3genE8ELNS1_11target_archE1030ELNS1_3gpuE2ELNS1_3repE0EEENS1_30default_config_static_selectorELNS0_4arch9wavefront6targetE1EEEvT1_
	.p2align	8
	.type	_ZN7rocprim17ROCPRIM_400000_NS6detail17trampoline_kernelINS0_14default_configENS1_25transform_config_selectorIdLb0EEEZNS1_14transform_implILb0ES3_S5_NS0_18transform_iteratorINS0_17counting_iteratorImlEEZNS1_24adjacent_difference_implIS3_Lb1ELb0EPKdPdN6thrust23THRUST_200600_302600_NS4plusIdEEEE10hipError_tPvRmT2_T3_mT4_P12ihipStream_tbEUlmE_dEESD_NS0_8identityIvEEEESI_SL_SM_mSN_SP_bEUlT_E_NS1_11comp_targetILNS1_3genE8ELNS1_11target_archE1030ELNS1_3gpuE2ELNS1_3repE0EEENS1_30default_config_static_selectorELNS0_4arch9wavefront6targetE1EEEvT1_,@function
_ZN7rocprim17ROCPRIM_400000_NS6detail17trampoline_kernelINS0_14default_configENS1_25transform_config_selectorIdLb0EEEZNS1_14transform_implILb0ES3_S5_NS0_18transform_iteratorINS0_17counting_iteratorImlEEZNS1_24adjacent_difference_implIS3_Lb1ELb0EPKdPdN6thrust23THRUST_200600_302600_NS4plusIdEEEE10hipError_tPvRmT2_T3_mT4_P12ihipStream_tbEUlmE_dEESD_NS0_8identityIvEEEESI_SL_SM_mSN_SP_bEUlT_E_NS1_11comp_targetILNS1_3genE8ELNS1_11target_archE1030ELNS1_3gpuE2ELNS1_3repE0EEENS1_30default_config_static_selectorELNS0_4arch9wavefront6targetE1EEEvT1_: ; @_ZN7rocprim17ROCPRIM_400000_NS6detail17trampoline_kernelINS0_14default_configENS1_25transform_config_selectorIdLb0EEEZNS1_14transform_implILb0ES3_S5_NS0_18transform_iteratorINS0_17counting_iteratorImlEEZNS1_24adjacent_difference_implIS3_Lb1ELb0EPKdPdN6thrust23THRUST_200600_302600_NS4plusIdEEEE10hipError_tPvRmT2_T3_mT4_P12ihipStream_tbEUlmE_dEESD_NS0_8identityIvEEEESI_SL_SM_mSN_SP_bEUlT_E_NS1_11comp_targetILNS1_3genE8ELNS1_11target_archE1030ELNS1_3gpuE2ELNS1_3repE0EEENS1_30default_config_static_selectorELNS0_4arch9wavefront6targetE1EEEvT1_
; %bb.0:
	.section	.rodata,"a",@progbits
	.p2align	6, 0x0
	.amdhsa_kernel _ZN7rocprim17ROCPRIM_400000_NS6detail17trampoline_kernelINS0_14default_configENS1_25transform_config_selectorIdLb0EEEZNS1_14transform_implILb0ES3_S5_NS0_18transform_iteratorINS0_17counting_iteratorImlEEZNS1_24adjacent_difference_implIS3_Lb1ELb0EPKdPdN6thrust23THRUST_200600_302600_NS4plusIdEEEE10hipError_tPvRmT2_T3_mT4_P12ihipStream_tbEUlmE_dEESD_NS0_8identityIvEEEESI_SL_SM_mSN_SP_bEUlT_E_NS1_11comp_targetILNS1_3genE8ELNS1_11target_archE1030ELNS1_3gpuE2ELNS1_3repE0EEENS1_30default_config_static_selectorELNS0_4arch9wavefront6targetE1EEEvT1_
		.amdhsa_group_segment_fixed_size 0
		.amdhsa_private_segment_fixed_size 0
		.amdhsa_kernarg_size 56
		.amdhsa_user_sgpr_count 2
		.amdhsa_user_sgpr_dispatch_ptr 0
		.amdhsa_user_sgpr_queue_ptr 0
		.amdhsa_user_sgpr_kernarg_segment_ptr 1
		.amdhsa_user_sgpr_dispatch_id 0
		.amdhsa_user_sgpr_kernarg_preload_length 0
		.amdhsa_user_sgpr_kernarg_preload_offset 0
		.amdhsa_user_sgpr_private_segment_size 0
		.amdhsa_uses_dynamic_stack 0
		.amdhsa_enable_private_segment 0
		.amdhsa_system_sgpr_workgroup_id_x 1
		.amdhsa_system_sgpr_workgroup_id_y 0
		.amdhsa_system_sgpr_workgroup_id_z 0
		.amdhsa_system_sgpr_workgroup_info 0
		.amdhsa_system_vgpr_workitem_id 0
		.amdhsa_next_free_vgpr 1
		.amdhsa_next_free_sgpr 0
		.amdhsa_accum_offset 4
		.amdhsa_reserve_vcc 0
		.amdhsa_float_round_mode_32 0
		.amdhsa_float_round_mode_16_64 0
		.amdhsa_float_denorm_mode_32 3
		.amdhsa_float_denorm_mode_16_64 3
		.amdhsa_dx10_clamp 1
		.amdhsa_ieee_mode 1
		.amdhsa_fp16_overflow 0
		.amdhsa_tg_split 0
		.amdhsa_exception_fp_ieee_invalid_op 0
		.amdhsa_exception_fp_denorm_src 0
		.amdhsa_exception_fp_ieee_div_zero 0
		.amdhsa_exception_fp_ieee_overflow 0
		.amdhsa_exception_fp_ieee_underflow 0
		.amdhsa_exception_fp_ieee_inexact 0
		.amdhsa_exception_int_div_zero 0
	.end_amdhsa_kernel
	.section	.text._ZN7rocprim17ROCPRIM_400000_NS6detail17trampoline_kernelINS0_14default_configENS1_25transform_config_selectorIdLb0EEEZNS1_14transform_implILb0ES3_S5_NS0_18transform_iteratorINS0_17counting_iteratorImlEEZNS1_24adjacent_difference_implIS3_Lb1ELb0EPKdPdN6thrust23THRUST_200600_302600_NS4plusIdEEEE10hipError_tPvRmT2_T3_mT4_P12ihipStream_tbEUlmE_dEESD_NS0_8identityIvEEEESI_SL_SM_mSN_SP_bEUlT_E_NS1_11comp_targetILNS1_3genE8ELNS1_11target_archE1030ELNS1_3gpuE2ELNS1_3repE0EEENS1_30default_config_static_selectorELNS0_4arch9wavefront6targetE1EEEvT1_,"axG",@progbits,_ZN7rocprim17ROCPRIM_400000_NS6detail17trampoline_kernelINS0_14default_configENS1_25transform_config_selectorIdLb0EEEZNS1_14transform_implILb0ES3_S5_NS0_18transform_iteratorINS0_17counting_iteratorImlEEZNS1_24adjacent_difference_implIS3_Lb1ELb0EPKdPdN6thrust23THRUST_200600_302600_NS4plusIdEEEE10hipError_tPvRmT2_T3_mT4_P12ihipStream_tbEUlmE_dEESD_NS0_8identityIvEEEESI_SL_SM_mSN_SP_bEUlT_E_NS1_11comp_targetILNS1_3genE8ELNS1_11target_archE1030ELNS1_3gpuE2ELNS1_3repE0EEENS1_30default_config_static_selectorELNS0_4arch9wavefront6targetE1EEEvT1_,comdat
.Lfunc_end657:
	.size	_ZN7rocprim17ROCPRIM_400000_NS6detail17trampoline_kernelINS0_14default_configENS1_25transform_config_selectorIdLb0EEEZNS1_14transform_implILb0ES3_S5_NS0_18transform_iteratorINS0_17counting_iteratorImlEEZNS1_24adjacent_difference_implIS3_Lb1ELb0EPKdPdN6thrust23THRUST_200600_302600_NS4plusIdEEEE10hipError_tPvRmT2_T3_mT4_P12ihipStream_tbEUlmE_dEESD_NS0_8identityIvEEEESI_SL_SM_mSN_SP_bEUlT_E_NS1_11comp_targetILNS1_3genE8ELNS1_11target_archE1030ELNS1_3gpuE2ELNS1_3repE0EEENS1_30default_config_static_selectorELNS0_4arch9wavefront6targetE1EEEvT1_, .Lfunc_end657-_ZN7rocprim17ROCPRIM_400000_NS6detail17trampoline_kernelINS0_14default_configENS1_25transform_config_selectorIdLb0EEEZNS1_14transform_implILb0ES3_S5_NS0_18transform_iteratorINS0_17counting_iteratorImlEEZNS1_24adjacent_difference_implIS3_Lb1ELb0EPKdPdN6thrust23THRUST_200600_302600_NS4plusIdEEEE10hipError_tPvRmT2_T3_mT4_P12ihipStream_tbEUlmE_dEESD_NS0_8identityIvEEEESI_SL_SM_mSN_SP_bEUlT_E_NS1_11comp_targetILNS1_3genE8ELNS1_11target_archE1030ELNS1_3gpuE2ELNS1_3repE0EEENS1_30default_config_static_selectorELNS0_4arch9wavefront6targetE1EEEvT1_
                                        ; -- End function
	.section	.AMDGPU.csdata,"",@progbits
; Kernel info:
; codeLenInByte = 0
; NumSgprs: 6
; NumVgprs: 0
; NumAgprs: 0
; TotalNumVgprs: 0
; ScratchSize: 0
; MemoryBound: 0
; FloatMode: 240
; IeeeMode: 1
; LDSByteSize: 0 bytes/workgroup (compile time only)
; SGPRBlocks: 0
; VGPRBlocks: 0
; NumSGPRsForWavesPerEU: 6
; NumVGPRsForWavesPerEU: 1
; AccumOffset: 4
; Occupancy: 8
; WaveLimiterHint : 0
; COMPUTE_PGM_RSRC2:SCRATCH_EN: 0
; COMPUTE_PGM_RSRC2:USER_SGPR: 2
; COMPUTE_PGM_RSRC2:TRAP_HANDLER: 0
; COMPUTE_PGM_RSRC2:TGID_X_EN: 1
; COMPUTE_PGM_RSRC2:TGID_Y_EN: 0
; COMPUTE_PGM_RSRC2:TGID_Z_EN: 0
; COMPUTE_PGM_RSRC2:TIDIG_COMP_CNT: 0
; COMPUTE_PGM_RSRC3_GFX90A:ACCUM_OFFSET: 0
; COMPUTE_PGM_RSRC3_GFX90A:TG_SPLIT: 0
	.section	.text._ZN7rocprim17ROCPRIM_400000_NS6detail17trampoline_kernelINS0_14default_configENS1_35adjacent_difference_config_selectorILb1EdEEZNS1_24adjacent_difference_implIS3_Lb1ELb0EPKdPdN6thrust23THRUST_200600_302600_NS4plusIdEEEE10hipError_tPvRmT2_T3_mT4_P12ihipStream_tbEUlT_E_NS1_11comp_targetILNS1_3genE0ELNS1_11target_archE4294967295ELNS1_3gpuE0ELNS1_3repE0EEENS1_30default_config_static_selectorELNS0_4arch9wavefront6targetE1EEEvT1_,"axG",@progbits,_ZN7rocprim17ROCPRIM_400000_NS6detail17trampoline_kernelINS0_14default_configENS1_35adjacent_difference_config_selectorILb1EdEEZNS1_24adjacent_difference_implIS3_Lb1ELb0EPKdPdN6thrust23THRUST_200600_302600_NS4plusIdEEEE10hipError_tPvRmT2_T3_mT4_P12ihipStream_tbEUlT_E_NS1_11comp_targetILNS1_3genE0ELNS1_11target_archE4294967295ELNS1_3gpuE0ELNS1_3repE0EEENS1_30default_config_static_selectorELNS0_4arch9wavefront6targetE1EEEvT1_,comdat
	.protected	_ZN7rocprim17ROCPRIM_400000_NS6detail17trampoline_kernelINS0_14default_configENS1_35adjacent_difference_config_selectorILb1EdEEZNS1_24adjacent_difference_implIS3_Lb1ELb0EPKdPdN6thrust23THRUST_200600_302600_NS4plusIdEEEE10hipError_tPvRmT2_T3_mT4_P12ihipStream_tbEUlT_E_NS1_11comp_targetILNS1_3genE0ELNS1_11target_archE4294967295ELNS1_3gpuE0ELNS1_3repE0EEENS1_30default_config_static_selectorELNS0_4arch9wavefront6targetE1EEEvT1_ ; -- Begin function _ZN7rocprim17ROCPRIM_400000_NS6detail17trampoline_kernelINS0_14default_configENS1_35adjacent_difference_config_selectorILb1EdEEZNS1_24adjacent_difference_implIS3_Lb1ELb0EPKdPdN6thrust23THRUST_200600_302600_NS4plusIdEEEE10hipError_tPvRmT2_T3_mT4_P12ihipStream_tbEUlT_E_NS1_11comp_targetILNS1_3genE0ELNS1_11target_archE4294967295ELNS1_3gpuE0ELNS1_3repE0EEENS1_30default_config_static_selectorELNS0_4arch9wavefront6targetE1EEEvT1_
	.globl	_ZN7rocprim17ROCPRIM_400000_NS6detail17trampoline_kernelINS0_14default_configENS1_35adjacent_difference_config_selectorILb1EdEEZNS1_24adjacent_difference_implIS3_Lb1ELb0EPKdPdN6thrust23THRUST_200600_302600_NS4plusIdEEEE10hipError_tPvRmT2_T3_mT4_P12ihipStream_tbEUlT_E_NS1_11comp_targetILNS1_3genE0ELNS1_11target_archE4294967295ELNS1_3gpuE0ELNS1_3repE0EEENS1_30default_config_static_selectorELNS0_4arch9wavefront6targetE1EEEvT1_
	.p2align	8
	.type	_ZN7rocprim17ROCPRIM_400000_NS6detail17trampoline_kernelINS0_14default_configENS1_35adjacent_difference_config_selectorILb1EdEEZNS1_24adjacent_difference_implIS3_Lb1ELb0EPKdPdN6thrust23THRUST_200600_302600_NS4plusIdEEEE10hipError_tPvRmT2_T3_mT4_P12ihipStream_tbEUlT_E_NS1_11comp_targetILNS1_3genE0ELNS1_11target_archE4294967295ELNS1_3gpuE0ELNS1_3repE0EEENS1_30default_config_static_selectorELNS0_4arch9wavefront6targetE1EEEvT1_,@function
_ZN7rocprim17ROCPRIM_400000_NS6detail17trampoline_kernelINS0_14default_configENS1_35adjacent_difference_config_selectorILb1EdEEZNS1_24adjacent_difference_implIS3_Lb1ELb0EPKdPdN6thrust23THRUST_200600_302600_NS4plusIdEEEE10hipError_tPvRmT2_T3_mT4_P12ihipStream_tbEUlT_E_NS1_11comp_targetILNS1_3genE0ELNS1_11target_archE4294967295ELNS1_3gpuE0ELNS1_3repE0EEENS1_30default_config_static_selectorELNS0_4arch9wavefront6targetE1EEEvT1_: ; @_ZN7rocprim17ROCPRIM_400000_NS6detail17trampoline_kernelINS0_14default_configENS1_35adjacent_difference_config_selectorILb1EdEEZNS1_24adjacent_difference_implIS3_Lb1ELb0EPKdPdN6thrust23THRUST_200600_302600_NS4plusIdEEEE10hipError_tPvRmT2_T3_mT4_P12ihipStream_tbEUlT_E_NS1_11comp_targetILNS1_3genE0ELNS1_11target_archE4294967295ELNS1_3gpuE0ELNS1_3repE0EEENS1_30default_config_static_selectorELNS0_4arch9wavefront6targetE1EEEvT1_
; %bb.0:
	.section	.rodata,"a",@progbits
	.p2align	6, 0x0
	.amdhsa_kernel _ZN7rocprim17ROCPRIM_400000_NS6detail17trampoline_kernelINS0_14default_configENS1_35adjacent_difference_config_selectorILb1EdEEZNS1_24adjacent_difference_implIS3_Lb1ELb0EPKdPdN6thrust23THRUST_200600_302600_NS4plusIdEEEE10hipError_tPvRmT2_T3_mT4_P12ihipStream_tbEUlT_E_NS1_11comp_targetILNS1_3genE0ELNS1_11target_archE4294967295ELNS1_3gpuE0ELNS1_3repE0EEENS1_30default_config_static_selectorELNS0_4arch9wavefront6targetE1EEEvT1_
		.amdhsa_group_segment_fixed_size 0
		.amdhsa_private_segment_fixed_size 0
		.amdhsa_kernarg_size 56
		.amdhsa_user_sgpr_count 2
		.amdhsa_user_sgpr_dispatch_ptr 0
		.amdhsa_user_sgpr_queue_ptr 0
		.amdhsa_user_sgpr_kernarg_segment_ptr 1
		.amdhsa_user_sgpr_dispatch_id 0
		.amdhsa_user_sgpr_kernarg_preload_length 0
		.amdhsa_user_sgpr_kernarg_preload_offset 0
		.amdhsa_user_sgpr_private_segment_size 0
		.amdhsa_uses_dynamic_stack 0
		.amdhsa_enable_private_segment 0
		.amdhsa_system_sgpr_workgroup_id_x 1
		.amdhsa_system_sgpr_workgroup_id_y 0
		.amdhsa_system_sgpr_workgroup_id_z 0
		.amdhsa_system_sgpr_workgroup_info 0
		.amdhsa_system_vgpr_workitem_id 0
		.amdhsa_next_free_vgpr 1
		.amdhsa_next_free_sgpr 0
		.amdhsa_accum_offset 4
		.amdhsa_reserve_vcc 0
		.amdhsa_float_round_mode_32 0
		.amdhsa_float_round_mode_16_64 0
		.amdhsa_float_denorm_mode_32 3
		.amdhsa_float_denorm_mode_16_64 3
		.amdhsa_dx10_clamp 1
		.amdhsa_ieee_mode 1
		.amdhsa_fp16_overflow 0
		.amdhsa_tg_split 0
		.amdhsa_exception_fp_ieee_invalid_op 0
		.amdhsa_exception_fp_denorm_src 0
		.amdhsa_exception_fp_ieee_div_zero 0
		.amdhsa_exception_fp_ieee_overflow 0
		.amdhsa_exception_fp_ieee_underflow 0
		.amdhsa_exception_fp_ieee_inexact 0
		.amdhsa_exception_int_div_zero 0
	.end_amdhsa_kernel
	.section	.text._ZN7rocprim17ROCPRIM_400000_NS6detail17trampoline_kernelINS0_14default_configENS1_35adjacent_difference_config_selectorILb1EdEEZNS1_24adjacent_difference_implIS3_Lb1ELb0EPKdPdN6thrust23THRUST_200600_302600_NS4plusIdEEEE10hipError_tPvRmT2_T3_mT4_P12ihipStream_tbEUlT_E_NS1_11comp_targetILNS1_3genE0ELNS1_11target_archE4294967295ELNS1_3gpuE0ELNS1_3repE0EEENS1_30default_config_static_selectorELNS0_4arch9wavefront6targetE1EEEvT1_,"axG",@progbits,_ZN7rocprim17ROCPRIM_400000_NS6detail17trampoline_kernelINS0_14default_configENS1_35adjacent_difference_config_selectorILb1EdEEZNS1_24adjacent_difference_implIS3_Lb1ELb0EPKdPdN6thrust23THRUST_200600_302600_NS4plusIdEEEE10hipError_tPvRmT2_T3_mT4_P12ihipStream_tbEUlT_E_NS1_11comp_targetILNS1_3genE0ELNS1_11target_archE4294967295ELNS1_3gpuE0ELNS1_3repE0EEENS1_30default_config_static_selectorELNS0_4arch9wavefront6targetE1EEEvT1_,comdat
.Lfunc_end658:
	.size	_ZN7rocprim17ROCPRIM_400000_NS6detail17trampoline_kernelINS0_14default_configENS1_35adjacent_difference_config_selectorILb1EdEEZNS1_24adjacent_difference_implIS3_Lb1ELb0EPKdPdN6thrust23THRUST_200600_302600_NS4plusIdEEEE10hipError_tPvRmT2_T3_mT4_P12ihipStream_tbEUlT_E_NS1_11comp_targetILNS1_3genE0ELNS1_11target_archE4294967295ELNS1_3gpuE0ELNS1_3repE0EEENS1_30default_config_static_selectorELNS0_4arch9wavefront6targetE1EEEvT1_, .Lfunc_end658-_ZN7rocprim17ROCPRIM_400000_NS6detail17trampoline_kernelINS0_14default_configENS1_35adjacent_difference_config_selectorILb1EdEEZNS1_24adjacent_difference_implIS3_Lb1ELb0EPKdPdN6thrust23THRUST_200600_302600_NS4plusIdEEEE10hipError_tPvRmT2_T3_mT4_P12ihipStream_tbEUlT_E_NS1_11comp_targetILNS1_3genE0ELNS1_11target_archE4294967295ELNS1_3gpuE0ELNS1_3repE0EEENS1_30default_config_static_selectorELNS0_4arch9wavefront6targetE1EEEvT1_
                                        ; -- End function
	.section	.AMDGPU.csdata,"",@progbits
; Kernel info:
; codeLenInByte = 0
; NumSgprs: 6
; NumVgprs: 0
; NumAgprs: 0
; TotalNumVgprs: 0
; ScratchSize: 0
; MemoryBound: 0
; FloatMode: 240
; IeeeMode: 1
; LDSByteSize: 0 bytes/workgroup (compile time only)
; SGPRBlocks: 0
; VGPRBlocks: 0
; NumSGPRsForWavesPerEU: 6
; NumVGPRsForWavesPerEU: 1
; AccumOffset: 4
; Occupancy: 8
; WaveLimiterHint : 0
; COMPUTE_PGM_RSRC2:SCRATCH_EN: 0
; COMPUTE_PGM_RSRC2:USER_SGPR: 2
; COMPUTE_PGM_RSRC2:TRAP_HANDLER: 0
; COMPUTE_PGM_RSRC2:TGID_X_EN: 1
; COMPUTE_PGM_RSRC2:TGID_Y_EN: 0
; COMPUTE_PGM_RSRC2:TGID_Z_EN: 0
; COMPUTE_PGM_RSRC2:TIDIG_COMP_CNT: 0
; COMPUTE_PGM_RSRC3_GFX90A:ACCUM_OFFSET: 0
; COMPUTE_PGM_RSRC3_GFX90A:TG_SPLIT: 0
	.section	.text._ZN7rocprim17ROCPRIM_400000_NS6detail17trampoline_kernelINS0_14default_configENS1_35adjacent_difference_config_selectorILb1EdEEZNS1_24adjacent_difference_implIS3_Lb1ELb0EPKdPdN6thrust23THRUST_200600_302600_NS4plusIdEEEE10hipError_tPvRmT2_T3_mT4_P12ihipStream_tbEUlT_E_NS1_11comp_targetILNS1_3genE10ELNS1_11target_archE1201ELNS1_3gpuE5ELNS1_3repE0EEENS1_30default_config_static_selectorELNS0_4arch9wavefront6targetE1EEEvT1_,"axG",@progbits,_ZN7rocprim17ROCPRIM_400000_NS6detail17trampoline_kernelINS0_14default_configENS1_35adjacent_difference_config_selectorILb1EdEEZNS1_24adjacent_difference_implIS3_Lb1ELb0EPKdPdN6thrust23THRUST_200600_302600_NS4plusIdEEEE10hipError_tPvRmT2_T3_mT4_P12ihipStream_tbEUlT_E_NS1_11comp_targetILNS1_3genE10ELNS1_11target_archE1201ELNS1_3gpuE5ELNS1_3repE0EEENS1_30default_config_static_selectorELNS0_4arch9wavefront6targetE1EEEvT1_,comdat
	.protected	_ZN7rocprim17ROCPRIM_400000_NS6detail17trampoline_kernelINS0_14default_configENS1_35adjacent_difference_config_selectorILb1EdEEZNS1_24adjacent_difference_implIS3_Lb1ELb0EPKdPdN6thrust23THRUST_200600_302600_NS4plusIdEEEE10hipError_tPvRmT2_T3_mT4_P12ihipStream_tbEUlT_E_NS1_11comp_targetILNS1_3genE10ELNS1_11target_archE1201ELNS1_3gpuE5ELNS1_3repE0EEENS1_30default_config_static_selectorELNS0_4arch9wavefront6targetE1EEEvT1_ ; -- Begin function _ZN7rocprim17ROCPRIM_400000_NS6detail17trampoline_kernelINS0_14default_configENS1_35adjacent_difference_config_selectorILb1EdEEZNS1_24adjacent_difference_implIS3_Lb1ELb0EPKdPdN6thrust23THRUST_200600_302600_NS4plusIdEEEE10hipError_tPvRmT2_T3_mT4_P12ihipStream_tbEUlT_E_NS1_11comp_targetILNS1_3genE10ELNS1_11target_archE1201ELNS1_3gpuE5ELNS1_3repE0EEENS1_30default_config_static_selectorELNS0_4arch9wavefront6targetE1EEEvT1_
	.globl	_ZN7rocprim17ROCPRIM_400000_NS6detail17trampoline_kernelINS0_14default_configENS1_35adjacent_difference_config_selectorILb1EdEEZNS1_24adjacent_difference_implIS3_Lb1ELb0EPKdPdN6thrust23THRUST_200600_302600_NS4plusIdEEEE10hipError_tPvRmT2_T3_mT4_P12ihipStream_tbEUlT_E_NS1_11comp_targetILNS1_3genE10ELNS1_11target_archE1201ELNS1_3gpuE5ELNS1_3repE0EEENS1_30default_config_static_selectorELNS0_4arch9wavefront6targetE1EEEvT1_
	.p2align	8
	.type	_ZN7rocprim17ROCPRIM_400000_NS6detail17trampoline_kernelINS0_14default_configENS1_35adjacent_difference_config_selectorILb1EdEEZNS1_24adjacent_difference_implIS3_Lb1ELb0EPKdPdN6thrust23THRUST_200600_302600_NS4plusIdEEEE10hipError_tPvRmT2_T3_mT4_P12ihipStream_tbEUlT_E_NS1_11comp_targetILNS1_3genE10ELNS1_11target_archE1201ELNS1_3gpuE5ELNS1_3repE0EEENS1_30default_config_static_selectorELNS0_4arch9wavefront6targetE1EEEvT1_,@function
_ZN7rocprim17ROCPRIM_400000_NS6detail17trampoline_kernelINS0_14default_configENS1_35adjacent_difference_config_selectorILb1EdEEZNS1_24adjacent_difference_implIS3_Lb1ELb0EPKdPdN6thrust23THRUST_200600_302600_NS4plusIdEEEE10hipError_tPvRmT2_T3_mT4_P12ihipStream_tbEUlT_E_NS1_11comp_targetILNS1_3genE10ELNS1_11target_archE1201ELNS1_3gpuE5ELNS1_3repE0EEENS1_30default_config_static_selectorELNS0_4arch9wavefront6targetE1EEEvT1_: ; @_ZN7rocprim17ROCPRIM_400000_NS6detail17trampoline_kernelINS0_14default_configENS1_35adjacent_difference_config_selectorILb1EdEEZNS1_24adjacent_difference_implIS3_Lb1ELb0EPKdPdN6thrust23THRUST_200600_302600_NS4plusIdEEEE10hipError_tPvRmT2_T3_mT4_P12ihipStream_tbEUlT_E_NS1_11comp_targetILNS1_3genE10ELNS1_11target_archE1201ELNS1_3gpuE5ELNS1_3repE0EEENS1_30default_config_static_selectorELNS0_4arch9wavefront6targetE1EEEvT1_
; %bb.0:
	.section	.rodata,"a",@progbits
	.p2align	6, 0x0
	.amdhsa_kernel _ZN7rocprim17ROCPRIM_400000_NS6detail17trampoline_kernelINS0_14default_configENS1_35adjacent_difference_config_selectorILb1EdEEZNS1_24adjacent_difference_implIS3_Lb1ELb0EPKdPdN6thrust23THRUST_200600_302600_NS4plusIdEEEE10hipError_tPvRmT2_T3_mT4_P12ihipStream_tbEUlT_E_NS1_11comp_targetILNS1_3genE10ELNS1_11target_archE1201ELNS1_3gpuE5ELNS1_3repE0EEENS1_30default_config_static_selectorELNS0_4arch9wavefront6targetE1EEEvT1_
		.amdhsa_group_segment_fixed_size 0
		.amdhsa_private_segment_fixed_size 0
		.amdhsa_kernarg_size 56
		.amdhsa_user_sgpr_count 2
		.amdhsa_user_sgpr_dispatch_ptr 0
		.amdhsa_user_sgpr_queue_ptr 0
		.amdhsa_user_sgpr_kernarg_segment_ptr 1
		.amdhsa_user_sgpr_dispatch_id 0
		.amdhsa_user_sgpr_kernarg_preload_length 0
		.amdhsa_user_sgpr_kernarg_preload_offset 0
		.amdhsa_user_sgpr_private_segment_size 0
		.amdhsa_uses_dynamic_stack 0
		.amdhsa_enable_private_segment 0
		.amdhsa_system_sgpr_workgroup_id_x 1
		.amdhsa_system_sgpr_workgroup_id_y 0
		.amdhsa_system_sgpr_workgroup_id_z 0
		.amdhsa_system_sgpr_workgroup_info 0
		.amdhsa_system_vgpr_workitem_id 0
		.amdhsa_next_free_vgpr 1
		.amdhsa_next_free_sgpr 0
		.amdhsa_accum_offset 4
		.amdhsa_reserve_vcc 0
		.amdhsa_float_round_mode_32 0
		.amdhsa_float_round_mode_16_64 0
		.amdhsa_float_denorm_mode_32 3
		.amdhsa_float_denorm_mode_16_64 3
		.amdhsa_dx10_clamp 1
		.amdhsa_ieee_mode 1
		.amdhsa_fp16_overflow 0
		.amdhsa_tg_split 0
		.amdhsa_exception_fp_ieee_invalid_op 0
		.amdhsa_exception_fp_denorm_src 0
		.amdhsa_exception_fp_ieee_div_zero 0
		.amdhsa_exception_fp_ieee_overflow 0
		.amdhsa_exception_fp_ieee_underflow 0
		.amdhsa_exception_fp_ieee_inexact 0
		.amdhsa_exception_int_div_zero 0
	.end_amdhsa_kernel
	.section	.text._ZN7rocprim17ROCPRIM_400000_NS6detail17trampoline_kernelINS0_14default_configENS1_35adjacent_difference_config_selectorILb1EdEEZNS1_24adjacent_difference_implIS3_Lb1ELb0EPKdPdN6thrust23THRUST_200600_302600_NS4plusIdEEEE10hipError_tPvRmT2_T3_mT4_P12ihipStream_tbEUlT_E_NS1_11comp_targetILNS1_3genE10ELNS1_11target_archE1201ELNS1_3gpuE5ELNS1_3repE0EEENS1_30default_config_static_selectorELNS0_4arch9wavefront6targetE1EEEvT1_,"axG",@progbits,_ZN7rocprim17ROCPRIM_400000_NS6detail17trampoline_kernelINS0_14default_configENS1_35adjacent_difference_config_selectorILb1EdEEZNS1_24adjacent_difference_implIS3_Lb1ELb0EPKdPdN6thrust23THRUST_200600_302600_NS4plusIdEEEE10hipError_tPvRmT2_T3_mT4_P12ihipStream_tbEUlT_E_NS1_11comp_targetILNS1_3genE10ELNS1_11target_archE1201ELNS1_3gpuE5ELNS1_3repE0EEENS1_30default_config_static_selectorELNS0_4arch9wavefront6targetE1EEEvT1_,comdat
.Lfunc_end659:
	.size	_ZN7rocprim17ROCPRIM_400000_NS6detail17trampoline_kernelINS0_14default_configENS1_35adjacent_difference_config_selectorILb1EdEEZNS1_24adjacent_difference_implIS3_Lb1ELb0EPKdPdN6thrust23THRUST_200600_302600_NS4plusIdEEEE10hipError_tPvRmT2_T3_mT4_P12ihipStream_tbEUlT_E_NS1_11comp_targetILNS1_3genE10ELNS1_11target_archE1201ELNS1_3gpuE5ELNS1_3repE0EEENS1_30default_config_static_selectorELNS0_4arch9wavefront6targetE1EEEvT1_, .Lfunc_end659-_ZN7rocprim17ROCPRIM_400000_NS6detail17trampoline_kernelINS0_14default_configENS1_35adjacent_difference_config_selectorILb1EdEEZNS1_24adjacent_difference_implIS3_Lb1ELb0EPKdPdN6thrust23THRUST_200600_302600_NS4plusIdEEEE10hipError_tPvRmT2_T3_mT4_P12ihipStream_tbEUlT_E_NS1_11comp_targetILNS1_3genE10ELNS1_11target_archE1201ELNS1_3gpuE5ELNS1_3repE0EEENS1_30default_config_static_selectorELNS0_4arch9wavefront6targetE1EEEvT1_
                                        ; -- End function
	.section	.AMDGPU.csdata,"",@progbits
; Kernel info:
; codeLenInByte = 0
; NumSgprs: 6
; NumVgprs: 0
; NumAgprs: 0
; TotalNumVgprs: 0
; ScratchSize: 0
; MemoryBound: 0
; FloatMode: 240
; IeeeMode: 1
; LDSByteSize: 0 bytes/workgroup (compile time only)
; SGPRBlocks: 0
; VGPRBlocks: 0
; NumSGPRsForWavesPerEU: 6
; NumVGPRsForWavesPerEU: 1
; AccumOffset: 4
; Occupancy: 8
; WaveLimiterHint : 0
; COMPUTE_PGM_RSRC2:SCRATCH_EN: 0
; COMPUTE_PGM_RSRC2:USER_SGPR: 2
; COMPUTE_PGM_RSRC2:TRAP_HANDLER: 0
; COMPUTE_PGM_RSRC2:TGID_X_EN: 1
; COMPUTE_PGM_RSRC2:TGID_Y_EN: 0
; COMPUTE_PGM_RSRC2:TGID_Z_EN: 0
; COMPUTE_PGM_RSRC2:TIDIG_COMP_CNT: 0
; COMPUTE_PGM_RSRC3_GFX90A:ACCUM_OFFSET: 0
; COMPUTE_PGM_RSRC3_GFX90A:TG_SPLIT: 0
	.section	.text._ZN7rocprim17ROCPRIM_400000_NS6detail17trampoline_kernelINS0_14default_configENS1_35adjacent_difference_config_selectorILb1EdEEZNS1_24adjacent_difference_implIS3_Lb1ELb0EPKdPdN6thrust23THRUST_200600_302600_NS4plusIdEEEE10hipError_tPvRmT2_T3_mT4_P12ihipStream_tbEUlT_E_NS1_11comp_targetILNS1_3genE5ELNS1_11target_archE942ELNS1_3gpuE9ELNS1_3repE0EEENS1_30default_config_static_selectorELNS0_4arch9wavefront6targetE1EEEvT1_,"axG",@progbits,_ZN7rocprim17ROCPRIM_400000_NS6detail17trampoline_kernelINS0_14default_configENS1_35adjacent_difference_config_selectorILb1EdEEZNS1_24adjacent_difference_implIS3_Lb1ELb0EPKdPdN6thrust23THRUST_200600_302600_NS4plusIdEEEE10hipError_tPvRmT2_T3_mT4_P12ihipStream_tbEUlT_E_NS1_11comp_targetILNS1_3genE5ELNS1_11target_archE942ELNS1_3gpuE9ELNS1_3repE0EEENS1_30default_config_static_selectorELNS0_4arch9wavefront6targetE1EEEvT1_,comdat
	.protected	_ZN7rocprim17ROCPRIM_400000_NS6detail17trampoline_kernelINS0_14default_configENS1_35adjacent_difference_config_selectorILb1EdEEZNS1_24adjacent_difference_implIS3_Lb1ELb0EPKdPdN6thrust23THRUST_200600_302600_NS4plusIdEEEE10hipError_tPvRmT2_T3_mT4_P12ihipStream_tbEUlT_E_NS1_11comp_targetILNS1_3genE5ELNS1_11target_archE942ELNS1_3gpuE9ELNS1_3repE0EEENS1_30default_config_static_selectorELNS0_4arch9wavefront6targetE1EEEvT1_ ; -- Begin function _ZN7rocprim17ROCPRIM_400000_NS6detail17trampoline_kernelINS0_14default_configENS1_35adjacent_difference_config_selectorILb1EdEEZNS1_24adjacent_difference_implIS3_Lb1ELb0EPKdPdN6thrust23THRUST_200600_302600_NS4plusIdEEEE10hipError_tPvRmT2_T3_mT4_P12ihipStream_tbEUlT_E_NS1_11comp_targetILNS1_3genE5ELNS1_11target_archE942ELNS1_3gpuE9ELNS1_3repE0EEENS1_30default_config_static_selectorELNS0_4arch9wavefront6targetE1EEEvT1_
	.globl	_ZN7rocprim17ROCPRIM_400000_NS6detail17trampoline_kernelINS0_14default_configENS1_35adjacent_difference_config_selectorILb1EdEEZNS1_24adjacent_difference_implIS3_Lb1ELb0EPKdPdN6thrust23THRUST_200600_302600_NS4plusIdEEEE10hipError_tPvRmT2_T3_mT4_P12ihipStream_tbEUlT_E_NS1_11comp_targetILNS1_3genE5ELNS1_11target_archE942ELNS1_3gpuE9ELNS1_3repE0EEENS1_30default_config_static_selectorELNS0_4arch9wavefront6targetE1EEEvT1_
	.p2align	8
	.type	_ZN7rocprim17ROCPRIM_400000_NS6detail17trampoline_kernelINS0_14default_configENS1_35adjacent_difference_config_selectorILb1EdEEZNS1_24adjacent_difference_implIS3_Lb1ELb0EPKdPdN6thrust23THRUST_200600_302600_NS4plusIdEEEE10hipError_tPvRmT2_T3_mT4_P12ihipStream_tbEUlT_E_NS1_11comp_targetILNS1_3genE5ELNS1_11target_archE942ELNS1_3gpuE9ELNS1_3repE0EEENS1_30default_config_static_selectorELNS0_4arch9wavefront6targetE1EEEvT1_,@function
_ZN7rocprim17ROCPRIM_400000_NS6detail17trampoline_kernelINS0_14default_configENS1_35adjacent_difference_config_selectorILb1EdEEZNS1_24adjacent_difference_implIS3_Lb1ELb0EPKdPdN6thrust23THRUST_200600_302600_NS4plusIdEEEE10hipError_tPvRmT2_T3_mT4_P12ihipStream_tbEUlT_E_NS1_11comp_targetILNS1_3genE5ELNS1_11target_archE942ELNS1_3gpuE9ELNS1_3repE0EEENS1_30default_config_static_selectorELNS0_4arch9wavefront6targetE1EEEvT1_: ; @_ZN7rocprim17ROCPRIM_400000_NS6detail17trampoline_kernelINS0_14default_configENS1_35adjacent_difference_config_selectorILb1EdEEZNS1_24adjacent_difference_implIS3_Lb1ELb0EPKdPdN6thrust23THRUST_200600_302600_NS4plusIdEEEE10hipError_tPvRmT2_T3_mT4_P12ihipStream_tbEUlT_E_NS1_11comp_targetILNS1_3genE5ELNS1_11target_archE942ELNS1_3gpuE9ELNS1_3repE0EEENS1_30default_config_static_selectorELNS0_4arch9wavefront6targetE1EEEvT1_
; %bb.0:
	s_load_dwordx8 s[4:11], s[0:1], 0x0
	s_load_dwordx4 s[12:15], s[0:1], 0x28
	s_mov_b32 s21, 0
	s_mov_b64 s[22:23], -1
	s_waitcnt lgkmcnt(0)
	s_lshl_b64 s[6:7], s[6:7], 3
	s_add_u32 s26, s4, s6
	s_addc_u32 s27, s5, s7
	s_lshl_b32 s4, s2, 8
	s_lshr_b64 s[0:1], s[10:11], 8
	s_and_b32 s20, s10, 0xff
	s_cmp_lg_u64 s[20:21], 0
	s_cselect_b64 s[16:17], -1, 0
	v_cndmask_b32_e64 v1, 0, 1, s[16:17]
	s_mov_b32 s20, s2
	v_readfirstlane_b32 s3, v1
	s_add_u32 s18, s0, s3
	s_addc_u32 s19, s1, 0
	s_add_u32 s2, s14, s2
	s_addc_u32 s3, s15, 0
	s_add_u32 s16, s18, -1
	s_addc_u32 s17, s19, -1
	v_mov_b64_e32 v[2:3], s[16:17]
	v_cmp_ge_u64_e64 s[0:1], s[2:3], v[2:3]
	s_and_b64 vcc, exec, s[0:1]
	s_cbranch_vccz .LBB660_6
; %bb.1:
	s_lshl_b32 s5, s16, 8
	s_sub_i32 s11, s10, s5
	s_mov_b32 s5, s21
	s_lshl_b64 s[22:23], s[4:5], 3
	s_add_u32 s22, s26, s22
	s_addc_u32 s23, s27, s23
	v_cmp_gt_u32_e32 vcc, s11, v0
                                        ; implicit-def: $vgpr2_vgpr3_vgpr4_vgpr5
	s_and_saveexec_b64 s[24:25], vcc
	s_cbranch_execz .LBB660_3
; %bb.2:
	v_lshlrev_b32_e32 v1, 3, v0
	global_load_dwordx2 v[2:3], v1, s[22:23]
.LBB660_3:
	s_or_b64 exec, exec, s[24:25]
	v_or_b32_e32 v1, 0x80, v0
	v_cmp_gt_u32_e32 vcc, s11, v1
	s_and_saveexec_b64 s[24:25], vcc
	s_cbranch_execz .LBB660_5
; %bb.4:
	v_lshlrev_b32_e32 v4, 3, v0
	global_load_dwordx2 v[4:5], v4, s[22:23] offset:1024
.LBB660_5:
	s_or_b64 exec, exec, s[24:25]
	v_lshrrev_b32_e32 v6, 2, v0
	v_lshrrev_b32_e32 v1, 2, v1
	v_and_b32_e32 v6, 24, v6
	v_lshlrev_b32_e32 v7, 3, v0
	v_and_b32_e32 v1, 56, v1
	v_add_u32_e32 v6, v6, v7
	v_add_u32_e32 v1, v1, v7
	s_mov_b64 s[22:23], 0
	s_waitcnt vmcnt(0)
	ds_write_b64 v6, v[2:3]
	ds_write_b64 v1, v[4:5] offset:1024
	s_waitcnt lgkmcnt(0)
	s_barrier
.LBB660_6:
	s_and_b64 vcc, exec, s[22:23]
	v_lshlrev_b32_e32 v10, 3, v0
	s_cbranch_vccz .LBB660_8
; %bb.7:
	s_mov_b32 s5, 0
	s_lshl_b64 s[22:23], s[4:5], 3
	s_add_u32 s22, s26, s22
	s_addc_u32 s23, s27, s23
	global_load_dwordx2 v[2:3], v10, s[22:23]
	global_load_dwordx2 v[4:5], v10, s[22:23] offset:1024
	v_lshrrev_b32_e32 v1, 2, v0
	v_or_b32_e32 v6, 0x80, v0
	v_and_b32_e32 v1, 24, v1
	v_lshrrev_b32_e32 v6, 2, v6
	v_add_u32_e32 v1, v1, v10
	v_and_b32_e32 v6, 56, v6
	v_add_u32_e32 v6, v6, v10
	s_waitcnt vmcnt(1)
	ds_write_b64 v1, v[2:3]
	s_waitcnt vmcnt(0)
	ds_write_b64 v6, v[4:5] offset:1024
	s_waitcnt lgkmcnt(0)
	s_barrier
.LBB660_8:
	v_lshlrev_b32_e32 v1, 1, v0
	v_lshrrev_b32_e32 v2, 4, v0
	v_add_lshl_u32 v1, v2, v1, 3
	ds_read2_b64 v[2:5], v1 offset1:1
	s_cmp_eq_u64 s[2:3], 0
	s_waitcnt lgkmcnt(0)
	s_barrier
	s_cbranch_scc1 .LBB660_13
; %bb.9:
	s_lshl_b64 s[14:15], s[14:15], 3
	s_add_u32 s5, s12, s14
	s_addc_u32 s11, s13, s15
	s_lshl_b64 s[12:13], s[20:21], 3
	s_add_u32 s5, s5, s12
	s_addc_u32 s11, s11, s13
	s_add_u32 s12, s5, -8
	s_addc_u32 s13, s11, -1
	s_load_dwordx2 s[12:13], s[12:13], 0x0
	s_cmp_eq_u64 s[2:3], s[16:17]
	s_cbranch_scc1 .LBB660_14
; %bb.10:
	v_cmp_ne_u32_e32 vcc, 0, v0
	s_waitcnt lgkmcnt(0)
	v_mov_b64_e32 v[6:7], s[12:13]
	ds_write_b64 v10, v[4:5]
	s_waitcnt lgkmcnt(0)
	s_barrier
	s_and_saveexec_b64 s[14:15], vcc
	s_cbranch_execz .LBB660_12
; %bb.11:
	v_add_u32_e32 v1, -8, v10
	ds_read_b64 v[6:7], v1
.LBB660_12:
	s_or_b64 exec, exec, s[14:15]
	v_add_f64 v[12:13], v[2:3], v[4:5]
	s_waitcnt lgkmcnt(0)
	v_add_f64 v[6:7], v[2:3], v[6:7]
	s_branch .LBB660_18
.LBB660_13:
                                        ; implicit-def: $vgpr12_vgpr13
                                        ; implicit-def: $vgpr6_vgpr7_vgpr8_vgpr9
	s_branch .LBB660_19
.LBB660_14:
                                        ; implicit-def: $vgpr12_vgpr13
                                        ; implicit-def: $vgpr6_vgpr7_vgpr8_vgpr9
	s_cbranch_execz .LBB660_18
; %bb.15:
	v_cmp_ne_u32_e32 vcc, 0, v0
	s_waitcnt lgkmcnt(0)
	v_mov_b64_e32 v[6:7], s[12:13]
	ds_write_b64 v10, v[4:5]
	s_waitcnt lgkmcnt(0)
	s_barrier
	s_and_saveexec_b64 s[12:13], vcc
	s_cbranch_execz .LBB660_17
; %bb.16:
	v_add_u32_e32 v1, -8, v10
	ds_read_b64 v[6:7], v1
.LBB660_17:
	s_or_b64 exec, exec, s[12:13]
	s_lshl_b32 s2, s2, 8
	v_lshlrev_b32_e32 v1, 1, v0
	s_sub_i32 s2, s10, s2
	v_or_b32_e32 v11, 1, v1
	v_add_f64 v[8:9], v[2:3], v[4:5]
	v_cmp_gt_u32_e32 vcc, s2, v11
	s_waitcnt lgkmcnt(0)
	v_add_f64 v[6:7], v[2:3], v[6:7]
	v_cndmask_b32_e32 v13, v5, v9, vcc
	v_cndmask_b32_e32 v12, v4, v8, vcc
	v_cmp_gt_u32_e32 vcc, s2, v1
	s_nop 1
	v_cndmask_b32_e32 v7, v3, v7, vcc
	v_cndmask_b32_e32 v6, v2, v6, vcc
.LBB660_18:
	s_cbranch_execnz .LBB660_27
.LBB660_19:
	s_cmp_eq_u64 s[18:19], 1
	v_add_f64 v[12:13], v[2:3], v[4:5]
	v_cmp_ne_u32_e32 vcc, 0, v0
	s_cbranch_scc1 .LBB660_23
; %bb.20:
	v_mov_b64_e32 v[6:7], v[2:3]
	ds_write_b64 v10, v[4:5]
	s_waitcnt lgkmcnt(0)
	s_barrier
	s_and_saveexec_b64 s[2:3], vcc
	s_cbranch_execz .LBB660_22
; %bb.21:
	v_add_u32_e32 v1, -8, v10
	ds_read_b64 v[6:7], v1
	s_waitcnt lgkmcnt(0)
	v_add_f64 v[6:7], v[2:3], v[6:7]
.LBB660_22:
	s_or_b64 exec, exec, s[2:3]
	s_cbranch_execz .LBB660_24
	s_branch .LBB660_27
.LBB660_23:
                                        ; implicit-def: $vgpr6_vgpr7_vgpr8_vgpr9
.LBB660_24:
	v_lshlrev_b32_e32 v1, 1, v0
	v_or_b32_e32 v6, 1, v1
	v_cmp_gt_u32_e32 vcc, s10, v6
	v_cmp_gt_u32_e64 s[2:3], s10, v1
	ds_write_b64 v10, v[4:5]
	v_cndmask_b32_e32 v13, v5, v13, vcc
	v_cndmask_b32_e32 v12, v4, v12, vcc
	v_cmp_ne_u32_e32 vcc, 0, v0
	s_waitcnt lgkmcnt(0)
	s_and_b64 s[12:13], vcc, s[2:3]
	s_barrier
	s_and_saveexec_b64 s[2:3], s[12:13]
	s_cbranch_execz .LBB660_26
; %bb.25:
	v_add_u32_e32 v1, -8, v10
	ds_read_b64 v[4:5], v1
	s_waitcnt lgkmcnt(0)
	v_add_f64 v[2:3], v[2:3], v[4:5]
.LBB660_26:
	s_or_b64 exec, exec, s[2:3]
	v_mov_b64_e32 v[6:7], v[2:3]
.LBB660_27:
	s_add_u32 s6, s8, s6
	s_addc_u32 s7, s9, s7
	s_and_b64 vcc, exec, s[0:1]
	v_lshrrev_b32_e32 v1, 1, v0
	s_waitcnt lgkmcnt(0)
	s_barrier
	s_cbranch_vccz .LBB660_31
; %bb.28:
	v_and_b32_e32 v2, 56, v1
	v_lshl_add_u32 v2, v0, 4, v2
	v_or_b32_e32 v8, 0x80, v0
	ds_write2_b64 v2, v[6:7], v[12:13] offset1:1
	v_lshrrev_b32_e32 v2, 5, v8
	v_add_lshl_u32 v2, v2, v0, 3
	s_lshl_b32 s0, s16, 8
	s_mov_b32 s5, 0
	s_waitcnt lgkmcnt(0)
	s_barrier
	ds_read_b64 v[2:3], v2 offset:1024
	s_sub_i32 s2, s10, s0
	s_lshl_b64 s[0:1], s[4:5], 3
	s_add_u32 s0, s6, s0
	s_addc_u32 s1, s7, s1
	v_mov_b32_e32 v11, 0
	v_lshl_add_u64 v[4:5], s[0:1], 0, v[10:11]
	v_cmp_gt_u32_e32 vcc, s2, v0
	s_and_saveexec_b64 s[0:1], vcc
	s_cbranch_execz .LBB660_30
; %bb.29:
	v_lshrrev_b32_e32 v9, 5, v0
	v_add_lshl_u32 v9, v9, v0, 3
	ds_read_b64 v[14:15], v9
	s_waitcnt lgkmcnt(0)
	global_store_dwordx2 v[4:5], v[14:15], off
.LBB660_30:
	s_or_b64 exec, exec, s[0:1]
	v_cmp_gt_u32_e64 s[0:1], s2, v8
	s_branch .LBB660_33
.LBB660_31:
	s_mov_b64 s[0:1], 0
                                        ; implicit-def: $vgpr2_vgpr3
                                        ; implicit-def: $vgpr4_vgpr5
	s_cbranch_execz .LBB660_33
; %bb.32:
	v_and_b32_e32 v1, 56, v1
	v_lshl_add_u32 v1, v0, 4, v1
	s_waitcnt lgkmcnt(0)
	v_or_b32_e32 v2, 0x80, v0
	ds_write2_b64 v1, v[6:7], v[12:13] offset1:1
	v_lshrrev_b32_e32 v1, 5, v0
	v_lshrrev_b32_e32 v2, 5, v2
	v_add_lshl_u32 v1, v1, v0, 3
	v_add_lshl_u32 v0, v2, v0, 3
	s_mov_b32 s5, 0
	s_waitcnt lgkmcnt(0)
	s_barrier
	ds_read_b64 v[6:7], v1
	ds_read_b64 v[2:3], v0 offset:1024
	s_lshl_b64 s[2:3], s[4:5], 3
	s_add_u32 s2, s6, s2
	s_addc_u32 s3, s7, s3
	v_mov_b32_e32 v11, 0
	v_lshl_add_u64 v[4:5], s[2:3], 0, v[10:11]
	s_or_b64 s[0:1], s[0:1], exec
	s_waitcnt lgkmcnt(1)
	global_store_dwordx2 v10, v[6:7], s[2:3]
.LBB660_33:
	s_and_saveexec_b64 s[2:3], s[0:1]
	s_cbranch_execnz .LBB660_35
; %bb.34:
	s_endpgm
.LBB660_35:
	s_waitcnt lgkmcnt(0)
	global_store_dwordx2 v[4:5], v[2:3], off offset:1024
	s_endpgm
	.section	.rodata,"a",@progbits
	.p2align	6, 0x0
	.amdhsa_kernel _ZN7rocprim17ROCPRIM_400000_NS6detail17trampoline_kernelINS0_14default_configENS1_35adjacent_difference_config_selectorILb1EdEEZNS1_24adjacent_difference_implIS3_Lb1ELb0EPKdPdN6thrust23THRUST_200600_302600_NS4plusIdEEEE10hipError_tPvRmT2_T3_mT4_P12ihipStream_tbEUlT_E_NS1_11comp_targetILNS1_3genE5ELNS1_11target_archE942ELNS1_3gpuE9ELNS1_3repE0EEENS1_30default_config_static_selectorELNS0_4arch9wavefront6targetE1EEEvT1_
		.amdhsa_group_segment_fixed_size 2112
		.amdhsa_private_segment_fixed_size 0
		.amdhsa_kernarg_size 56
		.amdhsa_user_sgpr_count 2
		.amdhsa_user_sgpr_dispatch_ptr 0
		.amdhsa_user_sgpr_queue_ptr 0
		.amdhsa_user_sgpr_kernarg_segment_ptr 1
		.amdhsa_user_sgpr_dispatch_id 0
		.amdhsa_user_sgpr_kernarg_preload_length 0
		.amdhsa_user_sgpr_kernarg_preload_offset 0
		.amdhsa_user_sgpr_private_segment_size 0
		.amdhsa_uses_dynamic_stack 0
		.amdhsa_enable_private_segment 0
		.amdhsa_system_sgpr_workgroup_id_x 1
		.amdhsa_system_sgpr_workgroup_id_y 0
		.amdhsa_system_sgpr_workgroup_id_z 0
		.amdhsa_system_sgpr_workgroup_info 0
		.amdhsa_system_vgpr_workitem_id 0
		.amdhsa_next_free_vgpr 16
		.amdhsa_next_free_sgpr 28
		.amdhsa_accum_offset 16
		.amdhsa_reserve_vcc 1
		.amdhsa_float_round_mode_32 0
		.amdhsa_float_round_mode_16_64 0
		.amdhsa_float_denorm_mode_32 3
		.amdhsa_float_denorm_mode_16_64 3
		.amdhsa_dx10_clamp 1
		.amdhsa_ieee_mode 1
		.amdhsa_fp16_overflow 0
		.amdhsa_tg_split 0
		.amdhsa_exception_fp_ieee_invalid_op 0
		.amdhsa_exception_fp_denorm_src 0
		.amdhsa_exception_fp_ieee_div_zero 0
		.amdhsa_exception_fp_ieee_overflow 0
		.amdhsa_exception_fp_ieee_underflow 0
		.amdhsa_exception_fp_ieee_inexact 0
		.amdhsa_exception_int_div_zero 0
	.end_amdhsa_kernel
	.section	.text._ZN7rocprim17ROCPRIM_400000_NS6detail17trampoline_kernelINS0_14default_configENS1_35adjacent_difference_config_selectorILb1EdEEZNS1_24adjacent_difference_implIS3_Lb1ELb0EPKdPdN6thrust23THRUST_200600_302600_NS4plusIdEEEE10hipError_tPvRmT2_T3_mT4_P12ihipStream_tbEUlT_E_NS1_11comp_targetILNS1_3genE5ELNS1_11target_archE942ELNS1_3gpuE9ELNS1_3repE0EEENS1_30default_config_static_selectorELNS0_4arch9wavefront6targetE1EEEvT1_,"axG",@progbits,_ZN7rocprim17ROCPRIM_400000_NS6detail17trampoline_kernelINS0_14default_configENS1_35adjacent_difference_config_selectorILb1EdEEZNS1_24adjacent_difference_implIS3_Lb1ELb0EPKdPdN6thrust23THRUST_200600_302600_NS4plusIdEEEE10hipError_tPvRmT2_T3_mT4_P12ihipStream_tbEUlT_E_NS1_11comp_targetILNS1_3genE5ELNS1_11target_archE942ELNS1_3gpuE9ELNS1_3repE0EEENS1_30default_config_static_selectorELNS0_4arch9wavefront6targetE1EEEvT1_,comdat
.Lfunc_end660:
	.size	_ZN7rocprim17ROCPRIM_400000_NS6detail17trampoline_kernelINS0_14default_configENS1_35adjacent_difference_config_selectorILb1EdEEZNS1_24adjacent_difference_implIS3_Lb1ELb0EPKdPdN6thrust23THRUST_200600_302600_NS4plusIdEEEE10hipError_tPvRmT2_T3_mT4_P12ihipStream_tbEUlT_E_NS1_11comp_targetILNS1_3genE5ELNS1_11target_archE942ELNS1_3gpuE9ELNS1_3repE0EEENS1_30default_config_static_selectorELNS0_4arch9wavefront6targetE1EEEvT1_, .Lfunc_end660-_ZN7rocprim17ROCPRIM_400000_NS6detail17trampoline_kernelINS0_14default_configENS1_35adjacent_difference_config_selectorILb1EdEEZNS1_24adjacent_difference_implIS3_Lb1ELb0EPKdPdN6thrust23THRUST_200600_302600_NS4plusIdEEEE10hipError_tPvRmT2_T3_mT4_P12ihipStream_tbEUlT_E_NS1_11comp_targetILNS1_3genE5ELNS1_11target_archE942ELNS1_3gpuE9ELNS1_3repE0EEENS1_30default_config_static_selectorELNS0_4arch9wavefront6targetE1EEEvT1_
                                        ; -- End function
	.section	.AMDGPU.csdata,"",@progbits
; Kernel info:
; codeLenInByte = 1188
; NumSgprs: 34
; NumVgprs: 16
; NumAgprs: 0
; TotalNumVgprs: 16
; ScratchSize: 0
; MemoryBound: 0
; FloatMode: 240
; IeeeMode: 1
; LDSByteSize: 2112 bytes/workgroup (compile time only)
; SGPRBlocks: 4
; VGPRBlocks: 1
; NumSGPRsForWavesPerEU: 34
; NumVGPRsForWavesPerEU: 16
; AccumOffset: 16
; Occupancy: 8
; WaveLimiterHint : 1
; COMPUTE_PGM_RSRC2:SCRATCH_EN: 0
; COMPUTE_PGM_RSRC2:USER_SGPR: 2
; COMPUTE_PGM_RSRC2:TRAP_HANDLER: 0
; COMPUTE_PGM_RSRC2:TGID_X_EN: 1
; COMPUTE_PGM_RSRC2:TGID_Y_EN: 0
; COMPUTE_PGM_RSRC2:TGID_Z_EN: 0
; COMPUTE_PGM_RSRC2:TIDIG_COMP_CNT: 0
; COMPUTE_PGM_RSRC3_GFX90A:ACCUM_OFFSET: 3
; COMPUTE_PGM_RSRC3_GFX90A:TG_SPLIT: 0
	.section	.text._ZN7rocprim17ROCPRIM_400000_NS6detail17trampoline_kernelINS0_14default_configENS1_35adjacent_difference_config_selectorILb1EdEEZNS1_24adjacent_difference_implIS3_Lb1ELb0EPKdPdN6thrust23THRUST_200600_302600_NS4plusIdEEEE10hipError_tPvRmT2_T3_mT4_P12ihipStream_tbEUlT_E_NS1_11comp_targetILNS1_3genE4ELNS1_11target_archE910ELNS1_3gpuE8ELNS1_3repE0EEENS1_30default_config_static_selectorELNS0_4arch9wavefront6targetE1EEEvT1_,"axG",@progbits,_ZN7rocprim17ROCPRIM_400000_NS6detail17trampoline_kernelINS0_14default_configENS1_35adjacent_difference_config_selectorILb1EdEEZNS1_24adjacent_difference_implIS3_Lb1ELb0EPKdPdN6thrust23THRUST_200600_302600_NS4plusIdEEEE10hipError_tPvRmT2_T3_mT4_P12ihipStream_tbEUlT_E_NS1_11comp_targetILNS1_3genE4ELNS1_11target_archE910ELNS1_3gpuE8ELNS1_3repE0EEENS1_30default_config_static_selectorELNS0_4arch9wavefront6targetE1EEEvT1_,comdat
	.protected	_ZN7rocprim17ROCPRIM_400000_NS6detail17trampoline_kernelINS0_14default_configENS1_35adjacent_difference_config_selectorILb1EdEEZNS1_24adjacent_difference_implIS3_Lb1ELb0EPKdPdN6thrust23THRUST_200600_302600_NS4plusIdEEEE10hipError_tPvRmT2_T3_mT4_P12ihipStream_tbEUlT_E_NS1_11comp_targetILNS1_3genE4ELNS1_11target_archE910ELNS1_3gpuE8ELNS1_3repE0EEENS1_30default_config_static_selectorELNS0_4arch9wavefront6targetE1EEEvT1_ ; -- Begin function _ZN7rocprim17ROCPRIM_400000_NS6detail17trampoline_kernelINS0_14default_configENS1_35adjacent_difference_config_selectorILb1EdEEZNS1_24adjacent_difference_implIS3_Lb1ELb0EPKdPdN6thrust23THRUST_200600_302600_NS4plusIdEEEE10hipError_tPvRmT2_T3_mT4_P12ihipStream_tbEUlT_E_NS1_11comp_targetILNS1_3genE4ELNS1_11target_archE910ELNS1_3gpuE8ELNS1_3repE0EEENS1_30default_config_static_selectorELNS0_4arch9wavefront6targetE1EEEvT1_
	.globl	_ZN7rocprim17ROCPRIM_400000_NS6detail17trampoline_kernelINS0_14default_configENS1_35adjacent_difference_config_selectorILb1EdEEZNS1_24adjacent_difference_implIS3_Lb1ELb0EPKdPdN6thrust23THRUST_200600_302600_NS4plusIdEEEE10hipError_tPvRmT2_T3_mT4_P12ihipStream_tbEUlT_E_NS1_11comp_targetILNS1_3genE4ELNS1_11target_archE910ELNS1_3gpuE8ELNS1_3repE0EEENS1_30default_config_static_selectorELNS0_4arch9wavefront6targetE1EEEvT1_
	.p2align	8
	.type	_ZN7rocprim17ROCPRIM_400000_NS6detail17trampoline_kernelINS0_14default_configENS1_35adjacent_difference_config_selectorILb1EdEEZNS1_24adjacent_difference_implIS3_Lb1ELb0EPKdPdN6thrust23THRUST_200600_302600_NS4plusIdEEEE10hipError_tPvRmT2_T3_mT4_P12ihipStream_tbEUlT_E_NS1_11comp_targetILNS1_3genE4ELNS1_11target_archE910ELNS1_3gpuE8ELNS1_3repE0EEENS1_30default_config_static_selectorELNS0_4arch9wavefront6targetE1EEEvT1_,@function
_ZN7rocprim17ROCPRIM_400000_NS6detail17trampoline_kernelINS0_14default_configENS1_35adjacent_difference_config_selectorILb1EdEEZNS1_24adjacent_difference_implIS3_Lb1ELb0EPKdPdN6thrust23THRUST_200600_302600_NS4plusIdEEEE10hipError_tPvRmT2_T3_mT4_P12ihipStream_tbEUlT_E_NS1_11comp_targetILNS1_3genE4ELNS1_11target_archE910ELNS1_3gpuE8ELNS1_3repE0EEENS1_30default_config_static_selectorELNS0_4arch9wavefront6targetE1EEEvT1_: ; @_ZN7rocprim17ROCPRIM_400000_NS6detail17trampoline_kernelINS0_14default_configENS1_35adjacent_difference_config_selectorILb1EdEEZNS1_24adjacent_difference_implIS3_Lb1ELb0EPKdPdN6thrust23THRUST_200600_302600_NS4plusIdEEEE10hipError_tPvRmT2_T3_mT4_P12ihipStream_tbEUlT_E_NS1_11comp_targetILNS1_3genE4ELNS1_11target_archE910ELNS1_3gpuE8ELNS1_3repE0EEENS1_30default_config_static_selectorELNS0_4arch9wavefront6targetE1EEEvT1_
; %bb.0:
	.section	.rodata,"a",@progbits
	.p2align	6, 0x0
	.amdhsa_kernel _ZN7rocprim17ROCPRIM_400000_NS6detail17trampoline_kernelINS0_14default_configENS1_35adjacent_difference_config_selectorILb1EdEEZNS1_24adjacent_difference_implIS3_Lb1ELb0EPKdPdN6thrust23THRUST_200600_302600_NS4plusIdEEEE10hipError_tPvRmT2_T3_mT4_P12ihipStream_tbEUlT_E_NS1_11comp_targetILNS1_3genE4ELNS1_11target_archE910ELNS1_3gpuE8ELNS1_3repE0EEENS1_30default_config_static_selectorELNS0_4arch9wavefront6targetE1EEEvT1_
		.amdhsa_group_segment_fixed_size 0
		.amdhsa_private_segment_fixed_size 0
		.amdhsa_kernarg_size 56
		.amdhsa_user_sgpr_count 2
		.amdhsa_user_sgpr_dispatch_ptr 0
		.amdhsa_user_sgpr_queue_ptr 0
		.amdhsa_user_sgpr_kernarg_segment_ptr 1
		.amdhsa_user_sgpr_dispatch_id 0
		.amdhsa_user_sgpr_kernarg_preload_length 0
		.amdhsa_user_sgpr_kernarg_preload_offset 0
		.amdhsa_user_sgpr_private_segment_size 0
		.amdhsa_uses_dynamic_stack 0
		.amdhsa_enable_private_segment 0
		.amdhsa_system_sgpr_workgroup_id_x 1
		.amdhsa_system_sgpr_workgroup_id_y 0
		.amdhsa_system_sgpr_workgroup_id_z 0
		.amdhsa_system_sgpr_workgroup_info 0
		.amdhsa_system_vgpr_workitem_id 0
		.amdhsa_next_free_vgpr 1
		.amdhsa_next_free_sgpr 0
		.amdhsa_accum_offset 4
		.amdhsa_reserve_vcc 0
		.amdhsa_float_round_mode_32 0
		.amdhsa_float_round_mode_16_64 0
		.amdhsa_float_denorm_mode_32 3
		.amdhsa_float_denorm_mode_16_64 3
		.amdhsa_dx10_clamp 1
		.amdhsa_ieee_mode 1
		.amdhsa_fp16_overflow 0
		.amdhsa_tg_split 0
		.amdhsa_exception_fp_ieee_invalid_op 0
		.amdhsa_exception_fp_denorm_src 0
		.amdhsa_exception_fp_ieee_div_zero 0
		.amdhsa_exception_fp_ieee_overflow 0
		.amdhsa_exception_fp_ieee_underflow 0
		.amdhsa_exception_fp_ieee_inexact 0
		.amdhsa_exception_int_div_zero 0
	.end_amdhsa_kernel
	.section	.text._ZN7rocprim17ROCPRIM_400000_NS6detail17trampoline_kernelINS0_14default_configENS1_35adjacent_difference_config_selectorILb1EdEEZNS1_24adjacent_difference_implIS3_Lb1ELb0EPKdPdN6thrust23THRUST_200600_302600_NS4plusIdEEEE10hipError_tPvRmT2_T3_mT4_P12ihipStream_tbEUlT_E_NS1_11comp_targetILNS1_3genE4ELNS1_11target_archE910ELNS1_3gpuE8ELNS1_3repE0EEENS1_30default_config_static_selectorELNS0_4arch9wavefront6targetE1EEEvT1_,"axG",@progbits,_ZN7rocprim17ROCPRIM_400000_NS6detail17trampoline_kernelINS0_14default_configENS1_35adjacent_difference_config_selectorILb1EdEEZNS1_24adjacent_difference_implIS3_Lb1ELb0EPKdPdN6thrust23THRUST_200600_302600_NS4plusIdEEEE10hipError_tPvRmT2_T3_mT4_P12ihipStream_tbEUlT_E_NS1_11comp_targetILNS1_3genE4ELNS1_11target_archE910ELNS1_3gpuE8ELNS1_3repE0EEENS1_30default_config_static_selectorELNS0_4arch9wavefront6targetE1EEEvT1_,comdat
.Lfunc_end661:
	.size	_ZN7rocprim17ROCPRIM_400000_NS6detail17trampoline_kernelINS0_14default_configENS1_35adjacent_difference_config_selectorILb1EdEEZNS1_24adjacent_difference_implIS3_Lb1ELb0EPKdPdN6thrust23THRUST_200600_302600_NS4plusIdEEEE10hipError_tPvRmT2_T3_mT4_P12ihipStream_tbEUlT_E_NS1_11comp_targetILNS1_3genE4ELNS1_11target_archE910ELNS1_3gpuE8ELNS1_3repE0EEENS1_30default_config_static_selectorELNS0_4arch9wavefront6targetE1EEEvT1_, .Lfunc_end661-_ZN7rocprim17ROCPRIM_400000_NS6detail17trampoline_kernelINS0_14default_configENS1_35adjacent_difference_config_selectorILb1EdEEZNS1_24adjacent_difference_implIS3_Lb1ELb0EPKdPdN6thrust23THRUST_200600_302600_NS4plusIdEEEE10hipError_tPvRmT2_T3_mT4_P12ihipStream_tbEUlT_E_NS1_11comp_targetILNS1_3genE4ELNS1_11target_archE910ELNS1_3gpuE8ELNS1_3repE0EEENS1_30default_config_static_selectorELNS0_4arch9wavefront6targetE1EEEvT1_
                                        ; -- End function
	.section	.AMDGPU.csdata,"",@progbits
; Kernel info:
; codeLenInByte = 0
; NumSgprs: 6
; NumVgprs: 0
; NumAgprs: 0
; TotalNumVgprs: 0
; ScratchSize: 0
; MemoryBound: 0
; FloatMode: 240
; IeeeMode: 1
; LDSByteSize: 0 bytes/workgroup (compile time only)
; SGPRBlocks: 0
; VGPRBlocks: 0
; NumSGPRsForWavesPerEU: 6
; NumVGPRsForWavesPerEU: 1
; AccumOffset: 4
; Occupancy: 8
; WaveLimiterHint : 0
; COMPUTE_PGM_RSRC2:SCRATCH_EN: 0
; COMPUTE_PGM_RSRC2:USER_SGPR: 2
; COMPUTE_PGM_RSRC2:TRAP_HANDLER: 0
; COMPUTE_PGM_RSRC2:TGID_X_EN: 1
; COMPUTE_PGM_RSRC2:TGID_Y_EN: 0
; COMPUTE_PGM_RSRC2:TGID_Z_EN: 0
; COMPUTE_PGM_RSRC2:TIDIG_COMP_CNT: 0
; COMPUTE_PGM_RSRC3_GFX90A:ACCUM_OFFSET: 0
; COMPUTE_PGM_RSRC3_GFX90A:TG_SPLIT: 0
	.section	.text._ZN7rocprim17ROCPRIM_400000_NS6detail17trampoline_kernelINS0_14default_configENS1_35adjacent_difference_config_selectorILb1EdEEZNS1_24adjacent_difference_implIS3_Lb1ELb0EPKdPdN6thrust23THRUST_200600_302600_NS4plusIdEEEE10hipError_tPvRmT2_T3_mT4_P12ihipStream_tbEUlT_E_NS1_11comp_targetILNS1_3genE3ELNS1_11target_archE908ELNS1_3gpuE7ELNS1_3repE0EEENS1_30default_config_static_selectorELNS0_4arch9wavefront6targetE1EEEvT1_,"axG",@progbits,_ZN7rocprim17ROCPRIM_400000_NS6detail17trampoline_kernelINS0_14default_configENS1_35adjacent_difference_config_selectorILb1EdEEZNS1_24adjacent_difference_implIS3_Lb1ELb0EPKdPdN6thrust23THRUST_200600_302600_NS4plusIdEEEE10hipError_tPvRmT2_T3_mT4_P12ihipStream_tbEUlT_E_NS1_11comp_targetILNS1_3genE3ELNS1_11target_archE908ELNS1_3gpuE7ELNS1_3repE0EEENS1_30default_config_static_selectorELNS0_4arch9wavefront6targetE1EEEvT1_,comdat
	.protected	_ZN7rocprim17ROCPRIM_400000_NS6detail17trampoline_kernelINS0_14default_configENS1_35adjacent_difference_config_selectorILb1EdEEZNS1_24adjacent_difference_implIS3_Lb1ELb0EPKdPdN6thrust23THRUST_200600_302600_NS4plusIdEEEE10hipError_tPvRmT2_T3_mT4_P12ihipStream_tbEUlT_E_NS1_11comp_targetILNS1_3genE3ELNS1_11target_archE908ELNS1_3gpuE7ELNS1_3repE0EEENS1_30default_config_static_selectorELNS0_4arch9wavefront6targetE1EEEvT1_ ; -- Begin function _ZN7rocprim17ROCPRIM_400000_NS6detail17trampoline_kernelINS0_14default_configENS1_35adjacent_difference_config_selectorILb1EdEEZNS1_24adjacent_difference_implIS3_Lb1ELb0EPKdPdN6thrust23THRUST_200600_302600_NS4plusIdEEEE10hipError_tPvRmT2_T3_mT4_P12ihipStream_tbEUlT_E_NS1_11comp_targetILNS1_3genE3ELNS1_11target_archE908ELNS1_3gpuE7ELNS1_3repE0EEENS1_30default_config_static_selectorELNS0_4arch9wavefront6targetE1EEEvT1_
	.globl	_ZN7rocprim17ROCPRIM_400000_NS6detail17trampoline_kernelINS0_14default_configENS1_35adjacent_difference_config_selectorILb1EdEEZNS1_24adjacent_difference_implIS3_Lb1ELb0EPKdPdN6thrust23THRUST_200600_302600_NS4plusIdEEEE10hipError_tPvRmT2_T3_mT4_P12ihipStream_tbEUlT_E_NS1_11comp_targetILNS1_3genE3ELNS1_11target_archE908ELNS1_3gpuE7ELNS1_3repE0EEENS1_30default_config_static_selectorELNS0_4arch9wavefront6targetE1EEEvT1_
	.p2align	8
	.type	_ZN7rocprim17ROCPRIM_400000_NS6detail17trampoline_kernelINS0_14default_configENS1_35adjacent_difference_config_selectorILb1EdEEZNS1_24adjacent_difference_implIS3_Lb1ELb0EPKdPdN6thrust23THRUST_200600_302600_NS4plusIdEEEE10hipError_tPvRmT2_T3_mT4_P12ihipStream_tbEUlT_E_NS1_11comp_targetILNS1_3genE3ELNS1_11target_archE908ELNS1_3gpuE7ELNS1_3repE0EEENS1_30default_config_static_selectorELNS0_4arch9wavefront6targetE1EEEvT1_,@function
_ZN7rocprim17ROCPRIM_400000_NS6detail17trampoline_kernelINS0_14default_configENS1_35adjacent_difference_config_selectorILb1EdEEZNS1_24adjacent_difference_implIS3_Lb1ELb0EPKdPdN6thrust23THRUST_200600_302600_NS4plusIdEEEE10hipError_tPvRmT2_T3_mT4_P12ihipStream_tbEUlT_E_NS1_11comp_targetILNS1_3genE3ELNS1_11target_archE908ELNS1_3gpuE7ELNS1_3repE0EEENS1_30default_config_static_selectorELNS0_4arch9wavefront6targetE1EEEvT1_: ; @_ZN7rocprim17ROCPRIM_400000_NS6detail17trampoline_kernelINS0_14default_configENS1_35adjacent_difference_config_selectorILb1EdEEZNS1_24adjacent_difference_implIS3_Lb1ELb0EPKdPdN6thrust23THRUST_200600_302600_NS4plusIdEEEE10hipError_tPvRmT2_T3_mT4_P12ihipStream_tbEUlT_E_NS1_11comp_targetILNS1_3genE3ELNS1_11target_archE908ELNS1_3gpuE7ELNS1_3repE0EEENS1_30default_config_static_selectorELNS0_4arch9wavefront6targetE1EEEvT1_
; %bb.0:
	.section	.rodata,"a",@progbits
	.p2align	6, 0x0
	.amdhsa_kernel _ZN7rocprim17ROCPRIM_400000_NS6detail17trampoline_kernelINS0_14default_configENS1_35adjacent_difference_config_selectorILb1EdEEZNS1_24adjacent_difference_implIS3_Lb1ELb0EPKdPdN6thrust23THRUST_200600_302600_NS4plusIdEEEE10hipError_tPvRmT2_T3_mT4_P12ihipStream_tbEUlT_E_NS1_11comp_targetILNS1_3genE3ELNS1_11target_archE908ELNS1_3gpuE7ELNS1_3repE0EEENS1_30default_config_static_selectorELNS0_4arch9wavefront6targetE1EEEvT1_
		.amdhsa_group_segment_fixed_size 0
		.amdhsa_private_segment_fixed_size 0
		.amdhsa_kernarg_size 56
		.amdhsa_user_sgpr_count 2
		.amdhsa_user_sgpr_dispatch_ptr 0
		.amdhsa_user_sgpr_queue_ptr 0
		.amdhsa_user_sgpr_kernarg_segment_ptr 1
		.amdhsa_user_sgpr_dispatch_id 0
		.amdhsa_user_sgpr_kernarg_preload_length 0
		.amdhsa_user_sgpr_kernarg_preload_offset 0
		.amdhsa_user_sgpr_private_segment_size 0
		.amdhsa_uses_dynamic_stack 0
		.amdhsa_enable_private_segment 0
		.amdhsa_system_sgpr_workgroup_id_x 1
		.amdhsa_system_sgpr_workgroup_id_y 0
		.amdhsa_system_sgpr_workgroup_id_z 0
		.amdhsa_system_sgpr_workgroup_info 0
		.amdhsa_system_vgpr_workitem_id 0
		.amdhsa_next_free_vgpr 1
		.amdhsa_next_free_sgpr 0
		.amdhsa_accum_offset 4
		.amdhsa_reserve_vcc 0
		.amdhsa_float_round_mode_32 0
		.amdhsa_float_round_mode_16_64 0
		.amdhsa_float_denorm_mode_32 3
		.amdhsa_float_denorm_mode_16_64 3
		.amdhsa_dx10_clamp 1
		.amdhsa_ieee_mode 1
		.amdhsa_fp16_overflow 0
		.amdhsa_tg_split 0
		.amdhsa_exception_fp_ieee_invalid_op 0
		.amdhsa_exception_fp_denorm_src 0
		.amdhsa_exception_fp_ieee_div_zero 0
		.amdhsa_exception_fp_ieee_overflow 0
		.amdhsa_exception_fp_ieee_underflow 0
		.amdhsa_exception_fp_ieee_inexact 0
		.amdhsa_exception_int_div_zero 0
	.end_amdhsa_kernel
	.section	.text._ZN7rocprim17ROCPRIM_400000_NS6detail17trampoline_kernelINS0_14default_configENS1_35adjacent_difference_config_selectorILb1EdEEZNS1_24adjacent_difference_implIS3_Lb1ELb0EPKdPdN6thrust23THRUST_200600_302600_NS4plusIdEEEE10hipError_tPvRmT2_T3_mT4_P12ihipStream_tbEUlT_E_NS1_11comp_targetILNS1_3genE3ELNS1_11target_archE908ELNS1_3gpuE7ELNS1_3repE0EEENS1_30default_config_static_selectorELNS0_4arch9wavefront6targetE1EEEvT1_,"axG",@progbits,_ZN7rocprim17ROCPRIM_400000_NS6detail17trampoline_kernelINS0_14default_configENS1_35adjacent_difference_config_selectorILb1EdEEZNS1_24adjacent_difference_implIS3_Lb1ELb0EPKdPdN6thrust23THRUST_200600_302600_NS4plusIdEEEE10hipError_tPvRmT2_T3_mT4_P12ihipStream_tbEUlT_E_NS1_11comp_targetILNS1_3genE3ELNS1_11target_archE908ELNS1_3gpuE7ELNS1_3repE0EEENS1_30default_config_static_selectorELNS0_4arch9wavefront6targetE1EEEvT1_,comdat
.Lfunc_end662:
	.size	_ZN7rocprim17ROCPRIM_400000_NS6detail17trampoline_kernelINS0_14default_configENS1_35adjacent_difference_config_selectorILb1EdEEZNS1_24adjacent_difference_implIS3_Lb1ELb0EPKdPdN6thrust23THRUST_200600_302600_NS4plusIdEEEE10hipError_tPvRmT2_T3_mT4_P12ihipStream_tbEUlT_E_NS1_11comp_targetILNS1_3genE3ELNS1_11target_archE908ELNS1_3gpuE7ELNS1_3repE0EEENS1_30default_config_static_selectorELNS0_4arch9wavefront6targetE1EEEvT1_, .Lfunc_end662-_ZN7rocprim17ROCPRIM_400000_NS6detail17trampoline_kernelINS0_14default_configENS1_35adjacent_difference_config_selectorILb1EdEEZNS1_24adjacent_difference_implIS3_Lb1ELb0EPKdPdN6thrust23THRUST_200600_302600_NS4plusIdEEEE10hipError_tPvRmT2_T3_mT4_P12ihipStream_tbEUlT_E_NS1_11comp_targetILNS1_3genE3ELNS1_11target_archE908ELNS1_3gpuE7ELNS1_3repE0EEENS1_30default_config_static_selectorELNS0_4arch9wavefront6targetE1EEEvT1_
                                        ; -- End function
	.section	.AMDGPU.csdata,"",@progbits
; Kernel info:
; codeLenInByte = 0
; NumSgprs: 6
; NumVgprs: 0
; NumAgprs: 0
; TotalNumVgprs: 0
; ScratchSize: 0
; MemoryBound: 0
; FloatMode: 240
; IeeeMode: 1
; LDSByteSize: 0 bytes/workgroup (compile time only)
; SGPRBlocks: 0
; VGPRBlocks: 0
; NumSGPRsForWavesPerEU: 6
; NumVGPRsForWavesPerEU: 1
; AccumOffset: 4
; Occupancy: 8
; WaveLimiterHint : 0
; COMPUTE_PGM_RSRC2:SCRATCH_EN: 0
; COMPUTE_PGM_RSRC2:USER_SGPR: 2
; COMPUTE_PGM_RSRC2:TRAP_HANDLER: 0
; COMPUTE_PGM_RSRC2:TGID_X_EN: 1
; COMPUTE_PGM_RSRC2:TGID_Y_EN: 0
; COMPUTE_PGM_RSRC2:TGID_Z_EN: 0
; COMPUTE_PGM_RSRC2:TIDIG_COMP_CNT: 0
; COMPUTE_PGM_RSRC3_GFX90A:ACCUM_OFFSET: 0
; COMPUTE_PGM_RSRC3_GFX90A:TG_SPLIT: 0
	.section	.text._ZN7rocprim17ROCPRIM_400000_NS6detail17trampoline_kernelINS0_14default_configENS1_35adjacent_difference_config_selectorILb1EdEEZNS1_24adjacent_difference_implIS3_Lb1ELb0EPKdPdN6thrust23THRUST_200600_302600_NS4plusIdEEEE10hipError_tPvRmT2_T3_mT4_P12ihipStream_tbEUlT_E_NS1_11comp_targetILNS1_3genE2ELNS1_11target_archE906ELNS1_3gpuE6ELNS1_3repE0EEENS1_30default_config_static_selectorELNS0_4arch9wavefront6targetE1EEEvT1_,"axG",@progbits,_ZN7rocprim17ROCPRIM_400000_NS6detail17trampoline_kernelINS0_14default_configENS1_35adjacent_difference_config_selectorILb1EdEEZNS1_24adjacent_difference_implIS3_Lb1ELb0EPKdPdN6thrust23THRUST_200600_302600_NS4plusIdEEEE10hipError_tPvRmT2_T3_mT4_P12ihipStream_tbEUlT_E_NS1_11comp_targetILNS1_3genE2ELNS1_11target_archE906ELNS1_3gpuE6ELNS1_3repE0EEENS1_30default_config_static_selectorELNS0_4arch9wavefront6targetE1EEEvT1_,comdat
	.protected	_ZN7rocprim17ROCPRIM_400000_NS6detail17trampoline_kernelINS0_14default_configENS1_35adjacent_difference_config_selectorILb1EdEEZNS1_24adjacent_difference_implIS3_Lb1ELb0EPKdPdN6thrust23THRUST_200600_302600_NS4plusIdEEEE10hipError_tPvRmT2_T3_mT4_P12ihipStream_tbEUlT_E_NS1_11comp_targetILNS1_3genE2ELNS1_11target_archE906ELNS1_3gpuE6ELNS1_3repE0EEENS1_30default_config_static_selectorELNS0_4arch9wavefront6targetE1EEEvT1_ ; -- Begin function _ZN7rocprim17ROCPRIM_400000_NS6detail17trampoline_kernelINS0_14default_configENS1_35adjacent_difference_config_selectorILb1EdEEZNS1_24adjacent_difference_implIS3_Lb1ELb0EPKdPdN6thrust23THRUST_200600_302600_NS4plusIdEEEE10hipError_tPvRmT2_T3_mT4_P12ihipStream_tbEUlT_E_NS1_11comp_targetILNS1_3genE2ELNS1_11target_archE906ELNS1_3gpuE6ELNS1_3repE0EEENS1_30default_config_static_selectorELNS0_4arch9wavefront6targetE1EEEvT1_
	.globl	_ZN7rocprim17ROCPRIM_400000_NS6detail17trampoline_kernelINS0_14default_configENS1_35adjacent_difference_config_selectorILb1EdEEZNS1_24adjacent_difference_implIS3_Lb1ELb0EPKdPdN6thrust23THRUST_200600_302600_NS4plusIdEEEE10hipError_tPvRmT2_T3_mT4_P12ihipStream_tbEUlT_E_NS1_11comp_targetILNS1_3genE2ELNS1_11target_archE906ELNS1_3gpuE6ELNS1_3repE0EEENS1_30default_config_static_selectorELNS0_4arch9wavefront6targetE1EEEvT1_
	.p2align	8
	.type	_ZN7rocprim17ROCPRIM_400000_NS6detail17trampoline_kernelINS0_14default_configENS1_35adjacent_difference_config_selectorILb1EdEEZNS1_24adjacent_difference_implIS3_Lb1ELb0EPKdPdN6thrust23THRUST_200600_302600_NS4plusIdEEEE10hipError_tPvRmT2_T3_mT4_P12ihipStream_tbEUlT_E_NS1_11comp_targetILNS1_3genE2ELNS1_11target_archE906ELNS1_3gpuE6ELNS1_3repE0EEENS1_30default_config_static_selectorELNS0_4arch9wavefront6targetE1EEEvT1_,@function
_ZN7rocprim17ROCPRIM_400000_NS6detail17trampoline_kernelINS0_14default_configENS1_35adjacent_difference_config_selectorILb1EdEEZNS1_24adjacent_difference_implIS3_Lb1ELb0EPKdPdN6thrust23THRUST_200600_302600_NS4plusIdEEEE10hipError_tPvRmT2_T3_mT4_P12ihipStream_tbEUlT_E_NS1_11comp_targetILNS1_3genE2ELNS1_11target_archE906ELNS1_3gpuE6ELNS1_3repE0EEENS1_30default_config_static_selectorELNS0_4arch9wavefront6targetE1EEEvT1_: ; @_ZN7rocprim17ROCPRIM_400000_NS6detail17trampoline_kernelINS0_14default_configENS1_35adjacent_difference_config_selectorILb1EdEEZNS1_24adjacent_difference_implIS3_Lb1ELb0EPKdPdN6thrust23THRUST_200600_302600_NS4plusIdEEEE10hipError_tPvRmT2_T3_mT4_P12ihipStream_tbEUlT_E_NS1_11comp_targetILNS1_3genE2ELNS1_11target_archE906ELNS1_3gpuE6ELNS1_3repE0EEENS1_30default_config_static_selectorELNS0_4arch9wavefront6targetE1EEEvT1_
; %bb.0:
	.section	.rodata,"a",@progbits
	.p2align	6, 0x0
	.amdhsa_kernel _ZN7rocprim17ROCPRIM_400000_NS6detail17trampoline_kernelINS0_14default_configENS1_35adjacent_difference_config_selectorILb1EdEEZNS1_24adjacent_difference_implIS3_Lb1ELb0EPKdPdN6thrust23THRUST_200600_302600_NS4plusIdEEEE10hipError_tPvRmT2_T3_mT4_P12ihipStream_tbEUlT_E_NS1_11comp_targetILNS1_3genE2ELNS1_11target_archE906ELNS1_3gpuE6ELNS1_3repE0EEENS1_30default_config_static_selectorELNS0_4arch9wavefront6targetE1EEEvT1_
		.amdhsa_group_segment_fixed_size 0
		.amdhsa_private_segment_fixed_size 0
		.amdhsa_kernarg_size 56
		.amdhsa_user_sgpr_count 2
		.amdhsa_user_sgpr_dispatch_ptr 0
		.amdhsa_user_sgpr_queue_ptr 0
		.amdhsa_user_sgpr_kernarg_segment_ptr 1
		.amdhsa_user_sgpr_dispatch_id 0
		.amdhsa_user_sgpr_kernarg_preload_length 0
		.amdhsa_user_sgpr_kernarg_preload_offset 0
		.amdhsa_user_sgpr_private_segment_size 0
		.amdhsa_uses_dynamic_stack 0
		.amdhsa_enable_private_segment 0
		.amdhsa_system_sgpr_workgroup_id_x 1
		.amdhsa_system_sgpr_workgroup_id_y 0
		.amdhsa_system_sgpr_workgroup_id_z 0
		.amdhsa_system_sgpr_workgroup_info 0
		.amdhsa_system_vgpr_workitem_id 0
		.amdhsa_next_free_vgpr 1
		.amdhsa_next_free_sgpr 0
		.amdhsa_accum_offset 4
		.amdhsa_reserve_vcc 0
		.amdhsa_float_round_mode_32 0
		.amdhsa_float_round_mode_16_64 0
		.amdhsa_float_denorm_mode_32 3
		.amdhsa_float_denorm_mode_16_64 3
		.amdhsa_dx10_clamp 1
		.amdhsa_ieee_mode 1
		.amdhsa_fp16_overflow 0
		.amdhsa_tg_split 0
		.amdhsa_exception_fp_ieee_invalid_op 0
		.amdhsa_exception_fp_denorm_src 0
		.amdhsa_exception_fp_ieee_div_zero 0
		.amdhsa_exception_fp_ieee_overflow 0
		.amdhsa_exception_fp_ieee_underflow 0
		.amdhsa_exception_fp_ieee_inexact 0
		.amdhsa_exception_int_div_zero 0
	.end_amdhsa_kernel
	.section	.text._ZN7rocprim17ROCPRIM_400000_NS6detail17trampoline_kernelINS0_14default_configENS1_35adjacent_difference_config_selectorILb1EdEEZNS1_24adjacent_difference_implIS3_Lb1ELb0EPKdPdN6thrust23THRUST_200600_302600_NS4plusIdEEEE10hipError_tPvRmT2_T3_mT4_P12ihipStream_tbEUlT_E_NS1_11comp_targetILNS1_3genE2ELNS1_11target_archE906ELNS1_3gpuE6ELNS1_3repE0EEENS1_30default_config_static_selectorELNS0_4arch9wavefront6targetE1EEEvT1_,"axG",@progbits,_ZN7rocprim17ROCPRIM_400000_NS6detail17trampoline_kernelINS0_14default_configENS1_35adjacent_difference_config_selectorILb1EdEEZNS1_24adjacent_difference_implIS3_Lb1ELb0EPKdPdN6thrust23THRUST_200600_302600_NS4plusIdEEEE10hipError_tPvRmT2_T3_mT4_P12ihipStream_tbEUlT_E_NS1_11comp_targetILNS1_3genE2ELNS1_11target_archE906ELNS1_3gpuE6ELNS1_3repE0EEENS1_30default_config_static_selectorELNS0_4arch9wavefront6targetE1EEEvT1_,comdat
.Lfunc_end663:
	.size	_ZN7rocprim17ROCPRIM_400000_NS6detail17trampoline_kernelINS0_14default_configENS1_35adjacent_difference_config_selectorILb1EdEEZNS1_24adjacent_difference_implIS3_Lb1ELb0EPKdPdN6thrust23THRUST_200600_302600_NS4plusIdEEEE10hipError_tPvRmT2_T3_mT4_P12ihipStream_tbEUlT_E_NS1_11comp_targetILNS1_3genE2ELNS1_11target_archE906ELNS1_3gpuE6ELNS1_3repE0EEENS1_30default_config_static_selectorELNS0_4arch9wavefront6targetE1EEEvT1_, .Lfunc_end663-_ZN7rocprim17ROCPRIM_400000_NS6detail17trampoline_kernelINS0_14default_configENS1_35adjacent_difference_config_selectorILb1EdEEZNS1_24adjacent_difference_implIS3_Lb1ELb0EPKdPdN6thrust23THRUST_200600_302600_NS4plusIdEEEE10hipError_tPvRmT2_T3_mT4_P12ihipStream_tbEUlT_E_NS1_11comp_targetILNS1_3genE2ELNS1_11target_archE906ELNS1_3gpuE6ELNS1_3repE0EEENS1_30default_config_static_selectorELNS0_4arch9wavefront6targetE1EEEvT1_
                                        ; -- End function
	.section	.AMDGPU.csdata,"",@progbits
; Kernel info:
; codeLenInByte = 0
; NumSgprs: 6
; NumVgprs: 0
; NumAgprs: 0
; TotalNumVgprs: 0
; ScratchSize: 0
; MemoryBound: 0
; FloatMode: 240
; IeeeMode: 1
; LDSByteSize: 0 bytes/workgroup (compile time only)
; SGPRBlocks: 0
; VGPRBlocks: 0
; NumSGPRsForWavesPerEU: 6
; NumVGPRsForWavesPerEU: 1
; AccumOffset: 4
; Occupancy: 8
; WaveLimiterHint : 0
; COMPUTE_PGM_RSRC2:SCRATCH_EN: 0
; COMPUTE_PGM_RSRC2:USER_SGPR: 2
; COMPUTE_PGM_RSRC2:TRAP_HANDLER: 0
; COMPUTE_PGM_RSRC2:TGID_X_EN: 1
; COMPUTE_PGM_RSRC2:TGID_Y_EN: 0
; COMPUTE_PGM_RSRC2:TGID_Z_EN: 0
; COMPUTE_PGM_RSRC2:TIDIG_COMP_CNT: 0
; COMPUTE_PGM_RSRC3_GFX90A:ACCUM_OFFSET: 0
; COMPUTE_PGM_RSRC3_GFX90A:TG_SPLIT: 0
	.section	.text._ZN7rocprim17ROCPRIM_400000_NS6detail17trampoline_kernelINS0_14default_configENS1_35adjacent_difference_config_selectorILb1EdEEZNS1_24adjacent_difference_implIS3_Lb1ELb0EPKdPdN6thrust23THRUST_200600_302600_NS4plusIdEEEE10hipError_tPvRmT2_T3_mT4_P12ihipStream_tbEUlT_E_NS1_11comp_targetILNS1_3genE9ELNS1_11target_archE1100ELNS1_3gpuE3ELNS1_3repE0EEENS1_30default_config_static_selectorELNS0_4arch9wavefront6targetE1EEEvT1_,"axG",@progbits,_ZN7rocprim17ROCPRIM_400000_NS6detail17trampoline_kernelINS0_14default_configENS1_35adjacent_difference_config_selectorILb1EdEEZNS1_24adjacent_difference_implIS3_Lb1ELb0EPKdPdN6thrust23THRUST_200600_302600_NS4plusIdEEEE10hipError_tPvRmT2_T3_mT4_P12ihipStream_tbEUlT_E_NS1_11comp_targetILNS1_3genE9ELNS1_11target_archE1100ELNS1_3gpuE3ELNS1_3repE0EEENS1_30default_config_static_selectorELNS0_4arch9wavefront6targetE1EEEvT1_,comdat
	.protected	_ZN7rocprim17ROCPRIM_400000_NS6detail17trampoline_kernelINS0_14default_configENS1_35adjacent_difference_config_selectorILb1EdEEZNS1_24adjacent_difference_implIS3_Lb1ELb0EPKdPdN6thrust23THRUST_200600_302600_NS4plusIdEEEE10hipError_tPvRmT2_T3_mT4_P12ihipStream_tbEUlT_E_NS1_11comp_targetILNS1_3genE9ELNS1_11target_archE1100ELNS1_3gpuE3ELNS1_3repE0EEENS1_30default_config_static_selectorELNS0_4arch9wavefront6targetE1EEEvT1_ ; -- Begin function _ZN7rocprim17ROCPRIM_400000_NS6detail17trampoline_kernelINS0_14default_configENS1_35adjacent_difference_config_selectorILb1EdEEZNS1_24adjacent_difference_implIS3_Lb1ELb0EPKdPdN6thrust23THRUST_200600_302600_NS4plusIdEEEE10hipError_tPvRmT2_T3_mT4_P12ihipStream_tbEUlT_E_NS1_11comp_targetILNS1_3genE9ELNS1_11target_archE1100ELNS1_3gpuE3ELNS1_3repE0EEENS1_30default_config_static_selectorELNS0_4arch9wavefront6targetE1EEEvT1_
	.globl	_ZN7rocprim17ROCPRIM_400000_NS6detail17trampoline_kernelINS0_14default_configENS1_35adjacent_difference_config_selectorILb1EdEEZNS1_24adjacent_difference_implIS3_Lb1ELb0EPKdPdN6thrust23THRUST_200600_302600_NS4plusIdEEEE10hipError_tPvRmT2_T3_mT4_P12ihipStream_tbEUlT_E_NS1_11comp_targetILNS1_3genE9ELNS1_11target_archE1100ELNS1_3gpuE3ELNS1_3repE0EEENS1_30default_config_static_selectorELNS0_4arch9wavefront6targetE1EEEvT1_
	.p2align	8
	.type	_ZN7rocprim17ROCPRIM_400000_NS6detail17trampoline_kernelINS0_14default_configENS1_35adjacent_difference_config_selectorILb1EdEEZNS1_24adjacent_difference_implIS3_Lb1ELb0EPKdPdN6thrust23THRUST_200600_302600_NS4plusIdEEEE10hipError_tPvRmT2_T3_mT4_P12ihipStream_tbEUlT_E_NS1_11comp_targetILNS1_3genE9ELNS1_11target_archE1100ELNS1_3gpuE3ELNS1_3repE0EEENS1_30default_config_static_selectorELNS0_4arch9wavefront6targetE1EEEvT1_,@function
_ZN7rocprim17ROCPRIM_400000_NS6detail17trampoline_kernelINS0_14default_configENS1_35adjacent_difference_config_selectorILb1EdEEZNS1_24adjacent_difference_implIS3_Lb1ELb0EPKdPdN6thrust23THRUST_200600_302600_NS4plusIdEEEE10hipError_tPvRmT2_T3_mT4_P12ihipStream_tbEUlT_E_NS1_11comp_targetILNS1_3genE9ELNS1_11target_archE1100ELNS1_3gpuE3ELNS1_3repE0EEENS1_30default_config_static_selectorELNS0_4arch9wavefront6targetE1EEEvT1_: ; @_ZN7rocprim17ROCPRIM_400000_NS6detail17trampoline_kernelINS0_14default_configENS1_35adjacent_difference_config_selectorILb1EdEEZNS1_24adjacent_difference_implIS3_Lb1ELb0EPKdPdN6thrust23THRUST_200600_302600_NS4plusIdEEEE10hipError_tPvRmT2_T3_mT4_P12ihipStream_tbEUlT_E_NS1_11comp_targetILNS1_3genE9ELNS1_11target_archE1100ELNS1_3gpuE3ELNS1_3repE0EEENS1_30default_config_static_selectorELNS0_4arch9wavefront6targetE1EEEvT1_
; %bb.0:
	.section	.rodata,"a",@progbits
	.p2align	6, 0x0
	.amdhsa_kernel _ZN7rocprim17ROCPRIM_400000_NS6detail17trampoline_kernelINS0_14default_configENS1_35adjacent_difference_config_selectorILb1EdEEZNS1_24adjacent_difference_implIS3_Lb1ELb0EPKdPdN6thrust23THRUST_200600_302600_NS4plusIdEEEE10hipError_tPvRmT2_T3_mT4_P12ihipStream_tbEUlT_E_NS1_11comp_targetILNS1_3genE9ELNS1_11target_archE1100ELNS1_3gpuE3ELNS1_3repE0EEENS1_30default_config_static_selectorELNS0_4arch9wavefront6targetE1EEEvT1_
		.amdhsa_group_segment_fixed_size 0
		.amdhsa_private_segment_fixed_size 0
		.amdhsa_kernarg_size 56
		.amdhsa_user_sgpr_count 2
		.amdhsa_user_sgpr_dispatch_ptr 0
		.amdhsa_user_sgpr_queue_ptr 0
		.amdhsa_user_sgpr_kernarg_segment_ptr 1
		.amdhsa_user_sgpr_dispatch_id 0
		.amdhsa_user_sgpr_kernarg_preload_length 0
		.amdhsa_user_sgpr_kernarg_preload_offset 0
		.amdhsa_user_sgpr_private_segment_size 0
		.amdhsa_uses_dynamic_stack 0
		.amdhsa_enable_private_segment 0
		.amdhsa_system_sgpr_workgroup_id_x 1
		.amdhsa_system_sgpr_workgroup_id_y 0
		.amdhsa_system_sgpr_workgroup_id_z 0
		.amdhsa_system_sgpr_workgroup_info 0
		.amdhsa_system_vgpr_workitem_id 0
		.amdhsa_next_free_vgpr 1
		.amdhsa_next_free_sgpr 0
		.amdhsa_accum_offset 4
		.amdhsa_reserve_vcc 0
		.amdhsa_float_round_mode_32 0
		.amdhsa_float_round_mode_16_64 0
		.amdhsa_float_denorm_mode_32 3
		.amdhsa_float_denorm_mode_16_64 3
		.amdhsa_dx10_clamp 1
		.amdhsa_ieee_mode 1
		.amdhsa_fp16_overflow 0
		.amdhsa_tg_split 0
		.amdhsa_exception_fp_ieee_invalid_op 0
		.amdhsa_exception_fp_denorm_src 0
		.amdhsa_exception_fp_ieee_div_zero 0
		.amdhsa_exception_fp_ieee_overflow 0
		.amdhsa_exception_fp_ieee_underflow 0
		.amdhsa_exception_fp_ieee_inexact 0
		.amdhsa_exception_int_div_zero 0
	.end_amdhsa_kernel
	.section	.text._ZN7rocprim17ROCPRIM_400000_NS6detail17trampoline_kernelINS0_14default_configENS1_35adjacent_difference_config_selectorILb1EdEEZNS1_24adjacent_difference_implIS3_Lb1ELb0EPKdPdN6thrust23THRUST_200600_302600_NS4plusIdEEEE10hipError_tPvRmT2_T3_mT4_P12ihipStream_tbEUlT_E_NS1_11comp_targetILNS1_3genE9ELNS1_11target_archE1100ELNS1_3gpuE3ELNS1_3repE0EEENS1_30default_config_static_selectorELNS0_4arch9wavefront6targetE1EEEvT1_,"axG",@progbits,_ZN7rocprim17ROCPRIM_400000_NS6detail17trampoline_kernelINS0_14default_configENS1_35adjacent_difference_config_selectorILb1EdEEZNS1_24adjacent_difference_implIS3_Lb1ELb0EPKdPdN6thrust23THRUST_200600_302600_NS4plusIdEEEE10hipError_tPvRmT2_T3_mT4_P12ihipStream_tbEUlT_E_NS1_11comp_targetILNS1_3genE9ELNS1_11target_archE1100ELNS1_3gpuE3ELNS1_3repE0EEENS1_30default_config_static_selectorELNS0_4arch9wavefront6targetE1EEEvT1_,comdat
.Lfunc_end664:
	.size	_ZN7rocprim17ROCPRIM_400000_NS6detail17trampoline_kernelINS0_14default_configENS1_35adjacent_difference_config_selectorILb1EdEEZNS1_24adjacent_difference_implIS3_Lb1ELb0EPKdPdN6thrust23THRUST_200600_302600_NS4plusIdEEEE10hipError_tPvRmT2_T3_mT4_P12ihipStream_tbEUlT_E_NS1_11comp_targetILNS1_3genE9ELNS1_11target_archE1100ELNS1_3gpuE3ELNS1_3repE0EEENS1_30default_config_static_selectorELNS0_4arch9wavefront6targetE1EEEvT1_, .Lfunc_end664-_ZN7rocprim17ROCPRIM_400000_NS6detail17trampoline_kernelINS0_14default_configENS1_35adjacent_difference_config_selectorILb1EdEEZNS1_24adjacent_difference_implIS3_Lb1ELb0EPKdPdN6thrust23THRUST_200600_302600_NS4plusIdEEEE10hipError_tPvRmT2_T3_mT4_P12ihipStream_tbEUlT_E_NS1_11comp_targetILNS1_3genE9ELNS1_11target_archE1100ELNS1_3gpuE3ELNS1_3repE0EEENS1_30default_config_static_selectorELNS0_4arch9wavefront6targetE1EEEvT1_
                                        ; -- End function
	.section	.AMDGPU.csdata,"",@progbits
; Kernel info:
; codeLenInByte = 0
; NumSgprs: 6
; NumVgprs: 0
; NumAgprs: 0
; TotalNumVgprs: 0
; ScratchSize: 0
; MemoryBound: 0
; FloatMode: 240
; IeeeMode: 1
; LDSByteSize: 0 bytes/workgroup (compile time only)
; SGPRBlocks: 0
; VGPRBlocks: 0
; NumSGPRsForWavesPerEU: 6
; NumVGPRsForWavesPerEU: 1
; AccumOffset: 4
; Occupancy: 8
; WaveLimiterHint : 0
; COMPUTE_PGM_RSRC2:SCRATCH_EN: 0
; COMPUTE_PGM_RSRC2:USER_SGPR: 2
; COMPUTE_PGM_RSRC2:TRAP_HANDLER: 0
; COMPUTE_PGM_RSRC2:TGID_X_EN: 1
; COMPUTE_PGM_RSRC2:TGID_Y_EN: 0
; COMPUTE_PGM_RSRC2:TGID_Z_EN: 0
; COMPUTE_PGM_RSRC2:TIDIG_COMP_CNT: 0
; COMPUTE_PGM_RSRC3_GFX90A:ACCUM_OFFSET: 0
; COMPUTE_PGM_RSRC3_GFX90A:TG_SPLIT: 0
	.section	.text._ZN7rocprim17ROCPRIM_400000_NS6detail17trampoline_kernelINS0_14default_configENS1_35adjacent_difference_config_selectorILb1EdEEZNS1_24adjacent_difference_implIS3_Lb1ELb0EPKdPdN6thrust23THRUST_200600_302600_NS4plusIdEEEE10hipError_tPvRmT2_T3_mT4_P12ihipStream_tbEUlT_E_NS1_11comp_targetILNS1_3genE8ELNS1_11target_archE1030ELNS1_3gpuE2ELNS1_3repE0EEENS1_30default_config_static_selectorELNS0_4arch9wavefront6targetE1EEEvT1_,"axG",@progbits,_ZN7rocprim17ROCPRIM_400000_NS6detail17trampoline_kernelINS0_14default_configENS1_35adjacent_difference_config_selectorILb1EdEEZNS1_24adjacent_difference_implIS3_Lb1ELb0EPKdPdN6thrust23THRUST_200600_302600_NS4plusIdEEEE10hipError_tPvRmT2_T3_mT4_P12ihipStream_tbEUlT_E_NS1_11comp_targetILNS1_3genE8ELNS1_11target_archE1030ELNS1_3gpuE2ELNS1_3repE0EEENS1_30default_config_static_selectorELNS0_4arch9wavefront6targetE1EEEvT1_,comdat
	.protected	_ZN7rocprim17ROCPRIM_400000_NS6detail17trampoline_kernelINS0_14default_configENS1_35adjacent_difference_config_selectorILb1EdEEZNS1_24adjacent_difference_implIS3_Lb1ELb0EPKdPdN6thrust23THRUST_200600_302600_NS4plusIdEEEE10hipError_tPvRmT2_T3_mT4_P12ihipStream_tbEUlT_E_NS1_11comp_targetILNS1_3genE8ELNS1_11target_archE1030ELNS1_3gpuE2ELNS1_3repE0EEENS1_30default_config_static_selectorELNS0_4arch9wavefront6targetE1EEEvT1_ ; -- Begin function _ZN7rocprim17ROCPRIM_400000_NS6detail17trampoline_kernelINS0_14default_configENS1_35adjacent_difference_config_selectorILb1EdEEZNS1_24adjacent_difference_implIS3_Lb1ELb0EPKdPdN6thrust23THRUST_200600_302600_NS4plusIdEEEE10hipError_tPvRmT2_T3_mT4_P12ihipStream_tbEUlT_E_NS1_11comp_targetILNS1_3genE8ELNS1_11target_archE1030ELNS1_3gpuE2ELNS1_3repE0EEENS1_30default_config_static_selectorELNS0_4arch9wavefront6targetE1EEEvT1_
	.globl	_ZN7rocprim17ROCPRIM_400000_NS6detail17trampoline_kernelINS0_14default_configENS1_35adjacent_difference_config_selectorILb1EdEEZNS1_24adjacent_difference_implIS3_Lb1ELb0EPKdPdN6thrust23THRUST_200600_302600_NS4plusIdEEEE10hipError_tPvRmT2_T3_mT4_P12ihipStream_tbEUlT_E_NS1_11comp_targetILNS1_3genE8ELNS1_11target_archE1030ELNS1_3gpuE2ELNS1_3repE0EEENS1_30default_config_static_selectorELNS0_4arch9wavefront6targetE1EEEvT1_
	.p2align	8
	.type	_ZN7rocprim17ROCPRIM_400000_NS6detail17trampoline_kernelINS0_14default_configENS1_35adjacent_difference_config_selectorILb1EdEEZNS1_24adjacent_difference_implIS3_Lb1ELb0EPKdPdN6thrust23THRUST_200600_302600_NS4plusIdEEEE10hipError_tPvRmT2_T3_mT4_P12ihipStream_tbEUlT_E_NS1_11comp_targetILNS1_3genE8ELNS1_11target_archE1030ELNS1_3gpuE2ELNS1_3repE0EEENS1_30default_config_static_selectorELNS0_4arch9wavefront6targetE1EEEvT1_,@function
_ZN7rocprim17ROCPRIM_400000_NS6detail17trampoline_kernelINS0_14default_configENS1_35adjacent_difference_config_selectorILb1EdEEZNS1_24adjacent_difference_implIS3_Lb1ELb0EPKdPdN6thrust23THRUST_200600_302600_NS4plusIdEEEE10hipError_tPvRmT2_T3_mT4_P12ihipStream_tbEUlT_E_NS1_11comp_targetILNS1_3genE8ELNS1_11target_archE1030ELNS1_3gpuE2ELNS1_3repE0EEENS1_30default_config_static_selectorELNS0_4arch9wavefront6targetE1EEEvT1_: ; @_ZN7rocprim17ROCPRIM_400000_NS6detail17trampoline_kernelINS0_14default_configENS1_35adjacent_difference_config_selectorILb1EdEEZNS1_24adjacent_difference_implIS3_Lb1ELb0EPKdPdN6thrust23THRUST_200600_302600_NS4plusIdEEEE10hipError_tPvRmT2_T3_mT4_P12ihipStream_tbEUlT_E_NS1_11comp_targetILNS1_3genE8ELNS1_11target_archE1030ELNS1_3gpuE2ELNS1_3repE0EEENS1_30default_config_static_selectorELNS0_4arch9wavefront6targetE1EEEvT1_
; %bb.0:
	.section	.rodata,"a",@progbits
	.p2align	6, 0x0
	.amdhsa_kernel _ZN7rocprim17ROCPRIM_400000_NS6detail17trampoline_kernelINS0_14default_configENS1_35adjacent_difference_config_selectorILb1EdEEZNS1_24adjacent_difference_implIS3_Lb1ELb0EPKdPdN6thrust23THRUST_200600_302600_NS4plusIdEEEE10hipError_tPvRmT2_T3_mT4_P12ihipStream_tbEUlT_E_NS1_11comp_targetILNS1_3genE8ELNS1_11target_archE1030ELNS1_3gpuE2ELNS1_3repE0EEENS1_30default_config_static_selectorELNS0_4arch9wavefront6targetE1EEEvT1_
		.amdhsa_group_segment_fixed_size 0
		.amdhsa_private_segment_fixed_size 0
		.amdhsa_kernarg_size 56
		.amdhsa_user_sgpr_count 2
		.amdhsa_user_sgpr_dispatch_ptr 0
		.amdhsa_user_sgpr_queue_ptr 0
		.amdhsa_user_sgpr_kernarg_segment_ptr 1
		.amdhsa_user_sgpr_dispatch_id 0
		.amdhsa_user_sgpr_kernarg_preload_length 0
		.amdhsa_user_sgpr_kernarg_preload_offset 0
		.amdhsa_user_sgpr_private_segment_size 0
		.amdhsa_uses_dynamic_stack 0
		.amdhsa_enable_private_segment 0
		.amdhsa_system_sgpr_workgroup_id_x 1
		.amdhsa_system_sgpr_workgroup_id_y 0
		.amdhsa_system_sgpr_workgroup_id_z 0
		.amdhsa_system_sgpr_workgroup_info 0
		.amdhsa_system_vgpr_workitem_id 0
		.amdhsa_next_free_vgpr 1
		.amdhsa_next_free_sgpr 0
		.amdhsa_accum_offset 4
		.amdhsa_reserve_vcc 0
		.amdhsa_float_round_mode_32 0
		.amdhsa_float_round_mode_16_64 0
		.amdhsa_float_denorm_mode_32 3
		.amdhsa_float_denorm_mode_16_64 3
		.amdhsa_dx10_clamp 1
		.amdhsa_ieee_mode 1
		.amdhsa_fp16_overflow 0
		.amdhsa_tg_split 0
		.amdhsa_exception_fp_ieee_invalid_op 0
		.amdhsa_exception_fp_denorm_src 0
		.amdhsa_exception_fp_ieee_div_zero 0
		.amdhsa_exception_fp_ieee_overflow 0
		.amdhsa_exception_fp_ieee_underflow 0
		.amdhsa_exception_fp_ieee_inexact 0
		.amdhsa_exception_int_div_zero 0
	.end_amdhsa_kernel
	.section	.text._ZN7rocprim17ROCPRIM_400000_NS6detail17trampoline_kernelINS0_14default_configENS1_35adjacent_difference_config_selectorILb1EdEEZNS1_24adjacent_difference_implIS3_Lb1ELb0EPKdPdN6thrust23THRUST_200600_302600_NS4plusIdEEEE10hipError_tPvRmT2_T3_mT4_P12ihipStream_tbEUlT_E_NS1_11comp_targetILNS1_3genE8ELNS1_11target_archE1030ELNS1_3gpuE2ELNS1_3repE0EEENS1_30default_config_static_selectorELNS0_4arch9wavefront6targetE1EEEvT1_,"axG",@progbits,_ZN7rocprim17ROCPRIM_400000_NS6detail17trampoline_kernelINS0_14default_configENS1_35adjacent_difference_config_selectorILb1EdEEZNS1_24adjacent_difference_implIS3_Lb1ELb0EPKdPdN6thrust23THRUST_200600_302600_NS4plusIdEEEE10hipError_tPvRmT2_T3_mT4_P12ihipStream_tbEUlT_E_NS1_11comp_targetILNS1_3genE8ELNS1_11target_archE1030ELNS1_3gpuE2ELNS1_3repE0EEENS1_30default_config_static_selectorELNS0_4arch9wavefront6targetE1EEEvT1_,comdat
.Lfunc_end665:
	.size	_ZN7rocprim17ROCPRIM_400000_NS6detail17trampoline_kernelINS0_14default_configENS1_35adjacent_difference_config_selectorILb1EdEEZNS1_24adjacent_difference_implIS3_Lb1ELb0EPKdPdN6thrust23THRUST_200600_302600_NS4plusIdEEEE10hipError_tPvRmT2_T3_mT4_P12ihipStream_tbEUlT_E_NS1_11comp_targetILNS1_3genE8ELNS1_11target_archE1030ELNS1_3gpuE2ELNS1_3repE0EEENS1_30default_config_static_selectorELNS0_4arch9wavefront6targetE1EEEvT1_, .Lfunc_end665-_ZN7rocprim17ROCPRIM_400000_NS6detail17trampoline_kernelINS0_14default_configENS1_35adjacent_difference_config_selectorILb1EdEEZNS1_24adjacent_difference_implIS3_Lb1ELb0EPKdPdN6thrust23THRUST_200600_302600_NS4plusIdEEEE10hipError_tPvRmT2_T3_mT4_P12ihipStream_tbEUlT_E_NS1_11comp_targetILNS1_3genE8ELNS1_11target_archE1030ELNS1_3gpuE2ELNS1_3repE0EEENS1_30default_config_static_selectorELNS0_4arch9wavefront6targetE1EEEvT1_
                                        ; -- End function
	.section	.AMDGPU.csdata,"",@progbits
; Kernel info:
; codeLenInByte = 0
; NumSgprs: 6
; NumVgprs: 0
; NumAgprs: 0
; TotalNumVgprs: 0
; ScratchSize: 0
; MemoryBound: 0
; FloatMode: 240
; IeeeMode: 1
; LDSByteSize: 0 bytes/workgroup (compile time only)
; SGPRBlocks: 0
; VGPRBlocks: 0
; NumSGPRsForWavesPerEU: 6
; NumVGPRsForWavesPerEU: 1
; AccumOffset: 4
; Occupancy: 8
; WaveLimiterHint : 0
; COMPUTE_PGM_RSRC2:SCRATCH_EN: 0
; COMPUTE_PGM_RSRC2:USER_SGPR: 2
; COMPUTE_PGM_RSRC2:TRAP_HANDLER: 0
; COMPUTE_PGM_RSRC2:TGID_X_EN: 1
; COMPUTE_PGM_RSRC2:TGID_Y_EN: 0
; COMPUTE_PGM_RSRC2:TGID_Z_EN: 0
; COMPUTE_PGM_RSRC2:TIDIG_COMP_CNT: 0
; COMPUTE_PGM_RSRC3_GFX90A:ACCUM_OFFSET: 0
; COMPUTE_PGM_RSRC3_GFX90A:TG_SPLIT: 0
	.section	.text._ZN7rocprim17ROCPRIM_400000_NS6detail17trampoline_kernelINS0_14default_configENS1_25transform_config_selectorIaLb0EEEZNS1_14transform_implILb0ES3_S5_NS0_18transform_iteratorINS0_17counting_iteratorImlEEZNS1_24adjacent_difference_implIS3_Lb1ELb0EPaN6thrust23THRUST_200600_302600_NS16discard_iteratorINSD_11use_defaultEEENSD_5minusIaEEEE10hipError_tPvRmT2_T3_mT4_P12ihipStream_tbEUlmE_aEESB_NS0_8identityIvEEEESJ_SM_SN_mSO_SQ_bEUlT_E_NS1_11comp_targetILNS1_3genE0ELNS1_11target_archE4294967295ELNS1_3gpuE0ELNS1_3repE0EEENS1_30default_config_static_selectorELNS0_4arch9wavefront6targetE1EEEvT1_,"axG",@progbits,_ZN7rocprim17ROCPRIM_400000_NS6detail17trampoline_kernelINS0_14default_configENS1_25transform_config_selectorIaLb0EEEZNS1_14transform_implILb0ES3_S5_NS0_18transform_iteratorINS0_17counting_iteratorImlEEZNS1_24adjacent_difference_implIS3_Lb1ELb0EPaN6thrust23THRUST_200600_302600_NS16discard_iteratorINSD_11use_defaultEEENSD_5minusIaEEEE10hipError_tPvRmT2_T3_mT4_P12ihipStream_tbEUlmE_aEESB_NS0_8identityIvEEEESJ_SM_SN_mSO_SQ_bEUlT_E_NS1_11comp_targetILNS1_3genE0ELNS1_11target_archE4294967295ELNS1_3gpuE0ELNS1_3repE0EEENS1_30default_config_static_selectorELNS0_4arch9wavefront6targetE1EEEvT1_,comdat
	.protected	_ZN7rocprim17ROCPRIM_400000_NS6detail17trampoline_kernelINS0_14default_configENS1_25transform_config_selectorIaLb0EEEZNS1_14transform_implILb0ES3_S5_NS0_18transform_iteratorINS0_17counting_iteratorImlEEZNS1_24adjacent_difference_implIS3_Lb1ELb0EPaN6thrust23THRUST_200600_302600_NS16discard_iteratorINSD_11use_defaultEEENSD_5minusIaEEEE10hipError_tPvRmT2_T3_mT4_P12ihipStream_tbEUlmE_aEESB_NS0_8identityIvEEEESJ_SM_SN_mSO_SQ_bEUlT_E_NS1_11comp_targetILNS1_3genE0ELNS1_11target_archE4294967295ELNS1_3gpuE0ELNS1_3repE0EEENS1_30default_config_static_selectorELNS0_4arch9wavefront6targetE1EEEvT1_ ; -- Begin function _ZN7rocprim17ROCPRIM_400000_NS6detail17trampoline_kernelINS0_14default_configENS1_25transform_config_selectorIaLb0EEEZNS1_14transform_implILb0ES3_S5_NS0_18transform_iteratorINS0_17counting_iteratorImlEEZNS1_24adjacent_difference_implIS3_Lb1ELb0EPaN6thrust23THRUST_200600_302600_NS16discard_iteratorINSD_11use_defaultEEENSD_5minusIaEEEE10hipError_tPvRmT2_T3_mT4_P12ihipStream_tbEUlmE_aEESB_NS0_8identityIvEEEESJ_SM_SN_mSO_SQ_bEUlT_E_NS1_11comp_targetILNS1_3genE0ELNS1_11target_archE4294967295ELNS1_3gpuE0ELNS1_3repE0EEENS1_30default_config_static_selectorELNS0_4arch9wavefront6targetE1EEEvT1_
	.globl	_ZN7rocprim17ROCPRIM_400000_NS6detail17trampoline_kernelINS0_14default_configENS1_25transform_config_selectorIaLb0EEEZNS1_14transform_implILb0ES3_S5_NS0_18transform_iteratorINS0_17counting_iteratorImlEEZNS1_24adjacent_difference_implIS3_Lb1ELb0EPaN6thrust23THRUST_200600_302600_NS16discard_iteratorINSD_11use_defaultEEENSD_5minusIaEEEE10hipError_tPvRmT2_T3_mT4_P12ihipStream_tbEUlmE_aEESB_NS0_8identityIvEEEESJ_SM_SN_mSO_SQ_bEUlT_E_NS1_11comp_targetILNS1_3genE0ELNS1_11target_archE4294967295ELNS1_3gpuE0ELNS1_3repE0EEENS1_30default_config_static_selectorELNS0_4arch9wavefront6targetE1EEEvT1_
	.p2align	8
	.type	_ZN7rocprim17ROCPRIM_400000_NS6detail17trampoline_kernelINS0_14default_configENS1_25transform_config_selectorIaLb0EEEZNS1_14transform_implILb0ES3_S5_NS0_18transform_iteratorINS0_17counting_iteratorImlEEZNS1_24adjacent_difference_implIS3_Lb1ELb0EPaN6thrust23THRUST_200600_302600_NS16discard_iteratorINSD_11use_defaultEEENSD_5minusIaEEEE10hipError_tPvRmT2_T3_mT4_P12ihipStream_tbEUlmE_aEESB_NS0_8identityIvEEEESJ_SM_SN_mSO_SQ_bEUlT_E_NS1_11comp_targetILNS1_3genE0ELNS1_11target_archE4294967295ELNS1_3gpuE0ELNS1_3repE0EEENS1_30default_config_static_selectorELNS0_4arch9wavefront6targetE1EEEvT1_,@function
_ZN7rocprim17ROCPRIM_400000_NS6detail17trampoline_kernelINS0_14default_configENS1_25transform_config_selectorIaLb0EEEZNS1_14transform_implILb0ES3_S5_NS0_18transform_iteratorINS0_17counting_iteratorImlEEZNS1_24adjacent_difference_implIS3_Lb1ELb0EPaN6thrust23THRUST_200600_302600_NS16discard_iteratorINSD_11use_defaultEEENSD_5minusIaEEEE10hipError_tPvRmT2_T3_mT4_P12ihipStream_tbEUlmE_aEESB_NS0_8identityIvEEEESJ_SM_SN_mSO_SQ_bEUlT_E_NS1_11comp_targetILNS1_3genE0ELNS1_11target_archE4294967295ELNS1_3gpuE0ELNS1_3repE0EEENS1_30default_config_static_selectorELNS0_4arch9wavefront6targetE1EEEvT1_: ; @_ZN7rocprim17ROCPRIM_400000_NS6detail17trampoline_kernelINS0_14default_configENS1_25transform_config_selectorIaLb0EEEZNS1_14transform_implILb0ES3_S5_NS0_18transform_iteratorINS0_17counting_iteratorImlEEZNS1_24adjacent_difference_implIS3_Lb1ELb0EPaN6thrust23THRUST_200600_302600_NS16discard_iteratorINSD_11use_defaultEEENSD_5minusIaEEEE10hipError_tPvRmT2_T3_mT4_P12ihipStream_tbEUlmE_aEESB_NS0_8identityIvEEEESJ_SM_SN_mSO_SQ_bEUlT_E_NS1_11comp_targetILNS1_3genE0ELNS1_11target_archE4294967295ELNS1_3gpuE0ELNS1_3repE0EEENS1_30default_config_static_selectorELNS0_4arch9wavefront6targetE1EEEvT1_
; %bb.0:
	.section	.rodata,"a",@progbits
	.p2align	6, 0x0
	.amdhsa_kernel _ZN7rocprim17ROCPRIM_400000_NS6detail17trampoline_kernelINS0_14default_configENS1_25transform_config_selectorIaLb0EEEZNS1_14transform_implILb0ES3_S5_NS0_18transform_iteratorINS0_17counting_iteratorImlEEZNS1_24adjacent_difference_implIS3_Lb1ELb0EPaN6thrust23THRUST_200600_302600_NS16discard_iteratorINSD_11use_defaultEEENSD_5minusIaEEEE10hipError_tPvRmT2_T3_mT4_P12ihipStream_tbEUlmE_aEESB_NS0_8identityIvEEEESJ_SM_SN_mSO_SQ_bEUlT_E_NS1_11comp_targetILNS1_3genE0ELNS1_11target_archE4294967295ELNS1_3gpuE0ELNS1_3repE0EEENS1_30default_config_static_selectorELNS0_4arch9wavefront6targetE1EEEvT1_
		.amdhsa_group_segment_fixed_size 0
		.amdhsa_private_segment_fixed_size 0
		.amdhsa_kernarg_size 56
		.amdhsa_user_sgpr_count 2
		.amdhsa_user_sgpr_dispatch_ptr 0
		.amdhsa_user_sgpr_queue_ptr 0
		.amdhsa_user_sgpr_kernarg_segment_ptr 1
		.amdhsa_user_sgpr_dispatch_id 0
		.amdhsa_user_sgpr_kernarg_preload_length 0
		.amdhsa_user_sgpr_kernarg_preload_offset 0
		.amdhsa_user_sgpr_private_segment_size 0
		.amdhsa_uses_dynamic_stack 0
		.amdhsa_enable_private_segment 0
		.amdhsa_system_sgpr_workgroup_id_x 1
		.amdhsa_system_sgpr_workgroup_id_y 0
		.amdhsa_system_sgpr_workgroup_id_z 0
		.amdhsa_system_sgpr_workgroup_info 0
		.amdhsa_system_vgpr_workitem_id 0
		.amdhsa_next_free_vgpr 1
		.amdhsa_next_free_sgpr 0
		.amdhsa_accum_offset 4
		.amdhsa_reserve_vcc 0
		.amdhsa_float_round_mode_32 0
		.amdhsa_float_round_mode_16_64 0
		.amdhsa_float_denorm_mode_32 3
		.amdhsa_float_denorm_mode_16_64 3
		.amdhsa_dx10_clamp 1
		.amdhsa_ieee_mode 1
		.amdhsa_fp16_overflow 0
		.amdhsa_tg_split 0
		.amdhsa_exception_fp_ieee_invalid_op 0
		.amdhsa_exception_fp_denorm_src 0
		.amdhsa_exception_fp_ieee_div_zero 0
		.amdhsa_exception_fp_ieee_overflow 0
		.amdhsa_exception_fp_ieee_underflow 0
		.amdhsa_exception_fp_ieee_inexact 0
		.amdhsa_exception_int_div_zero 0
	.end_amdhsa_kernel
	.section	.text._ZN7rocprim17ROCPRIM_400000_NS6detail17trampoline_kernelINS0_14default_configENS1_25transform_config_selectorIaLb0EEEZNS1_14transform_implILb0ES3_S5_NS0_18transform_iteratorINS0_17counting_iteratorImlEEZNS1_24adjacent_difference_implIS3_Lb1ELb0EPaN6thrust23THRUST_200600_302600_NS16discard_iteratorINSD_11use_defaultEEENSD_5minusIaEEEE10hipError_tPvRmT2_T3_mT4_P12ihipStream_tbEUlmE_aEESB_NS0_8identityIvEEEESJ_SM_SN_mSO_SQ_bEUlT_E_NS1_11comp_targetILNS1_3genE0ELNS1_11target_archE4294967295ELNS1_3gpuE0ELNS1_3repE0EEENS1_30default_config_static_selectorELNS0_4arch9wavefront6targetE1EEEvT1_,"axG",@progbits,_ZN7rocprim17ROCPRIM_400000_NS6detail17trampoline_kernelINS0_14default_configENS1_25transform_config_selectorIaLb0EEEZNS1_14transform_implILb0ES3_S5_NS0_18transform_iteratorINS0_17counting_iteratorImlEEZNS1_24adjacent_difference_implIS3_Lb1ELb0EPaN6thrust23THRUST_200600_302600_NS16discard_iteratorINSD_11use_defaultEEENSD_5minusIaEEEE10hipError_tPvRmT2_T3_mT4_P12ihipStream_tbEUlmE_aEESB_NS0_8identityIvEEEESJ_SM_SN_mSO_SQ_bEUlT_E_NS1_11comp_targetILNS1_3genE0ELNS1_11target_archE4294967295ELNS1_3gpuE0ELNS1_3repE0EEENS1_30default_config_static_selectorELNS0_4arch9wavefront6targetE1EEEvT1_,comdat
.Lfunc_end666:
	.size	_ZN7rocprim17ROCPRIM_400000_NS6detail17trampoline_kernelINS0_14default_configENS1_25transform_config_selectorIaLb0EEEZNS1_14transform_implILb0ES3_S5_NS0_18transform_iteratorINS0_17counting_iteratorImlEEZNS1_24adjacent_difference_implIS3_Lb1ELb0EPaN6thrust23THRUST_200600_302600_NS16discard_iteratorINSD_11use_defaultEEENSD_5minusIaEEEE10hipError_tPvRmT2_T3_mT4_P12ihipStream_tbEUlmE_aEESB_NS0_8identityIvEEEESJ_SM_SN_mSO_SQ_bEUlT_E_NS1_11comp_targetILNS1_3genE0ELNS1_11target_archE4294967295ELNS1_3gpuE0ELNS1_3repE0EEENS1_30default_config_static_selectorELNS0_4arch9wavefront6targetE1EEEvT1_, .Lfunc_end666-_ZN7rocprim17ROCPRIM_400000_NS6detail17trampoline_kernelINS0_14default_configENS1_25transform_config_selectorIaLb0EEEZNS1_14transform_implILb0ES3_S5_NS0_18transform_iteratorINS0_17counting_iteratorImlEEZNS1_24adjacent_difference_implIS3_Lb1ELb0EPaN6thrust23THRUST_200600_302600_NS16discard_iteratorINSD_11use_defaultEEENSD_5minusIaEEEE10hipError_tPvRmT2_T3_mT4_P12ihipStream_tbEUlmE_aEESB_NS0_8identityIvEEEESJ_SM_SN_mSO_SQ_bEUlT_E_NS1_11comp_targetILNS1_3genE0ELNS1_11target_archE4294967295ELNS1_3gpuE0ELNS1_3repE0EEENS1_30default_config_static_selectorELNS0_4arch9wavefront6targetE1EEEvT1_
                                        ; -- End function
	.section	.AMDGPU.csdata,"",@progbits
; Kernel info:
; codeLenInByte = 0
; NumSgprs: 6
; NumVgprs: 0
; NumAgprs: 0
; TotalNumVgprs: 0
; ScratchSize: 0
; MemoryBound: 0
; FloatMode: 240
; IeeeMode: 1
; LDSByteSize: 0 bytes/workgroup (compile time only)
; SGPRBlocks: 0
; VGPRBlocks: 0
; NumSGPRsForWavesPerEU: 6
; NumVGPRsForWavesPerEU: 1
; AccumOffset: 4
; Occupancy: 8
; WaveLimiterHint : 0
; COMPUTE_PGM_RSRC2:SCRATCH_EN: 0
; COMPUTE_PGM_RSRC2:USER_SGPR: 2
; COMPUTE_PGM_RSRC2:TRAP_HANDLER: 0
; COMPUTE_PGM_RSRC2:TGID_X_EN: 1
; COMPUTE_PGM_RSRC2:TGID_Y_EN: 0
; COMPUTE_PGM_RSRC2:TGID_Z_EN: 0
; COMPUTE_PGM_RSRC2:TIDIG_COMP_CNT: 0
; COMPUTE_PGM_RSRC3_GFX90A:ACCUM_OFFSET: 0
; COMPUTE_PGM_RSRC3_GFX90A:TG_SPLIT: 0
	.section	.text._ZN7rocprim17ROCPRIM_400000_NS6detail17trampoline_kernelINS0_14default_configENS1_25transform_config_selectorIaLb0EEEZNS1_14transform_implILb0ES3_S5_NS0_18transform_iteratorINS0_17counting_iteratorImlEEZNS1_24adjacent_difference_implIS3_Lb1ELb0EPaN6thrust23THRUST_200600_302600_NS16discard_iteratorINSD_11use_defaultEEENSD_5minusIaEEEE10hipError_tPvRmT2_T3_mT4_P12ihipStream_tbEUlmE_aEESB_NS0_8identityIvEEEESJ_SM_SN_mSO_SQ_bEUlT_E_NS1_11comp_targetILNS1_3genE5ELNS1_11target_archE942ELNS1_3gpuE9ELNS1_3repE0EEENS1_30default_config_static_selectorELNS0_4arch9wavefront6targetE1EEEvT1_,"axG",@progbits,_ZN7rocprim17ROCPRIM_400000_NS6detail17trampoline_kernelINS0_14default_configENS1_25transform_config_selectorIaLb0EEEZNS1_14transform_implILb0ES3_S5_NS0_18transform_iteratorINS0_17counting_iteratorImlEEZNS1_24adjacent_difference_implIS3_Lb1ELb0EPaN6thrust23THRUST_200600_302600_NS16discard_iteratorINSD_11use_defaultEEENSD_5minusIaEEEE10hipError_tPvRmT2_T3_mT4_P12ihipStream_tbEUlmE_aEESB_NS0_8identityIvEEEESJ_SM_SN_mSO_SQ_bEUlT_E_NS1_11comp_targetILNS1_3genE5ELNS1_11target_archE942ELNS1_3gpuE9ELNS1_3repE0EEENS1_30default_config_static_selectorELNS0_4arch9wavefront6targetE1EEEvT1_,comdat
	.protected	_ZN7rocprim17ROCPRIM_400000_NS6detail17trampoline_kernelINS0_14default_configENS1_25transform_config_selectorIaLb0EEEZNS1_14transform_implILb0ES3_S5_NS0_18transform_iteratorINS0_17counting_iteratorImlEEZNS1_24adjacent_difference_implIS3_Lb1ELb0EPaN6thrust23THRUST_200600_302600_NS16discard_iteratorINSD_11use_defaultEEENSD_5minusIaEEEE10hipError_tPvRmT2_T3_mT4_P12ihipStream_tbEUlmE_aEESB_NS0_8identityIvEEEESJ_SM_SN_mSO_SQ_bEUlT_E_NS1_11comp_targetILNS1_3genE5ELNS1_11target_archE942ELNS1_3gpuE9ELNS1_3repE0EEENS1_30default_config_static_selectorELNS0_4arch9wavefront6targetE1EEEvT1_ ; -- Begin function _ZN7rocprim17ROCPRIM_400000_NS6detail17trampoline_kernelINS0_14default_configENS1_25transform_config_selectorIaLb0EEEZNS1_14transform_implILb0ES3_S5_NS0_18transform_iteratorINS0_17counting_iteratorImlEEZNS1_24adjacent_difference_implIS3_Lb1ELb0EPaN6thrust23THRUST_200600_302600_NS16discard_iteratorINSD_11use_defaultEEENSD_5minusIaEEEE10hipError_tPvRmT2_T3_mT4_P12ihipStream_tbEUlmE_aEESB_NS0_8identityIvEEEESJ_SM_SN_mSO_SQ_bEUlT_E_NS1_11comp_targetILNS1_3genE5ELNS1_11target_archE942ELNS1_3gpuE9ELNS1_3repE0EEENS1_30default_config_static_selectorELNS0_4arch9wavefront6targetE1EEEvT1_
	.globl	_ZN7rocprim17ROCPRIM_400000_NS6detail17trampoline_kernelINS0_14default_configENS1_25transform_config_selectorIaLb0EEEZNS1_14transform_implILb0ES3_S5_NS0_18transform_iteratorINS0_17counting_iteratorImlEEZNS1_24adjacent_difference_implIS3_Lb1ELb0EPaN6thrust23THRUST_200600_302600_NS16discard_iteratorINSD_11use_defaultEEENSD_5minusIaEEEE10hipError_tPvRmT2_T3_mT4_P12ihipStream_tbEUlmE_aEESB_NS0_8identityIvEEEESJ_SM_SN_mSO_SQ_bEUlT_E_NS1_11comp_targetILNS1_3genE5ELNS1_11target_archE942ELNS1_3gpuE9ELNS1_3repE0EEENS1_30default_config_static_selectorELNS0_4arch9wavefront6targetE1EEEvT1_
	.p2align	8
	.type	_ZN7rocprim17ROCPRIM_400000_NS6detail17trampoline_kernelINS0_14default_configENS1_25transform_config_selectorIaLb0EEEZNS1_14transform_implILb0ES3_S5_NS0_18transform_iteratorINS0_17counting_iteratorImlEEZNS1_24adjacent_difference_implIS3_Lb1ELb0EPaN6thrust23THRUST_200600_302600_NS16discard_iteratorINSD_11use_defaultEEENSD_5minusIaEEEE10hipError_tPvRmT2_T3_mT4_P12ihipStream_tbEUlmE_aEESB_NS0_8identityIvEEEESJ_SM_SN_mSO_SQ_bEUlT_E_NS1_11comp_targetILNS1_3genE5ELNS1_11target_archE942ELNS1_3gpuE9ELNS1_3repE0EEENS1_30default_config_static_selectorELNS0_4arch9wavefront6targetE1EEEvT1_,@function
_ZN7rocprim17ROCPRIM_400000_NS6detail17trampoline_kernelINS0_14default_configENS1_25transform_config_selectorIaLb0EEEZNS1_14transform_implILb0ES3_S5_NS0_18transform_iteratorINS0_17counting_iteratorImlEEZNS1_24adjacent_difference_implIS3_Lb1ELb0EPaN6thrust23THRUST_200600_302600_NS16discard_iteratorINSD_11use_defaultEEENSD_5minusIaEEEE10hipError_tPvRmT2_T3_mT4_P12ihipStream_tbEUlmE_aEESB_NS0_8identityIvEEEESJ_SM_SN_mSO_SQ_bEUlT_E_NS1_11comp_targetILNS1_3genE5ELNS1_11target_archE942ELNS1_3gpuE9ELNS1_3repE0EEENS1_30default_config_static_selectorELNS0_4arch9wavefront6targetE1EEEvT1_: ; @_ZN7rocprim17ROCPRIM_400000_NS6detail17trampoline_kernelINS0_14default_configENS1_25transform_config_selectorIaLb0EEEZNS1_14transform_implILb0ES3_S5_NS0_18transform_iteratorINS0_17counting_iteratorImlEEZNS1_24adjacent_difference_implIS3_Lb1ELb0EPaN6thrust23THRUST_200600_302600_NS16discard_iteratorINSD_11use_defaultEEENSD_5minusIaEEEE10hipError_tPvRmT2_T3_mT4_P12ihipStream_tbEUlmE_aEESB_NS0_8identityIvEEEESJ_SM_SN_mSO_SQ_bEUlT_E_NS1_11comp_targetILNS1_3genE5ELNS1_11target_archE942ELNS1_3gpuE9ELNS1_3repE0EEENS1_30default_config_static_selectorELNS0_4arch9wavefront6targetE1EEEvT1_
; %bb.0:
	s_load_dwordx4 s[4:7], s[0:1], 0x18
	s_load_dwordx2 s[8:9], s[0:1], 0x28
	s_load_dword s3, s[0:1], 0x38
	s_load_dwordx4 s[12:15], s[0:1], 0x0
	s_load_dword s18, s[0:1], 0x10
	s_mov_b32 s19, 0
	s_waitcnt lgkmcnt(0)
	s_add_u32 s24, s8, s4
	s_addc_u32 s25, s9, s5
	s_lshl_b32 s26, s2, 13
	s_add_i32 s3, s3, -1
	s_add_u32 s0, s12, s26
	s_addc_u32 s1, s13, 0
	s_add_u32 s20, s0, s4
	s_addc_u32 s21, s1, s5
	s_cmp_lg_u32 s2, s3
	s_cbranch_scc0 .LBB667_2
; %bb.1:
	v_mov_b32_e32 v1, 0
	v_lshl_add_u64 v[2:3], s[20:21], 0, v[0:1]
	v_mov_b64_e32 v[4:5], s[14:15]
	v_mad_u64_u32 v[4:5], s[0:1], v2, s18, v[4:5]
	v_mov_b32_e32 v2, v5
	v_mad_u64_u32 v[2:3], s[0:1], v3, s18, v[2:3]
	v_mov_b32_e32 v5, v2
	s_lshl_b64 s[0:1], s[18:19], 10
	v_lshl_add_u64 v[2:3], v[4:5], 0, s[0:1]
	global_load_ubyte v10, v[4:5], off
	v_lshl_add_u64 v[4:5], v[2:3], 0, s[0:1]
	v_lshl_add_u64 v[6:7], v[4:5], 0, s[0:1]
	;; [unrolled: 1-line block ×3, first 2 shown]
	global_load_ubyte v11, v[2:3], off
	global_load_ubyte v12, v[4:5], off
	;; [unrolled: 1-line block ×4, first 2 shown]
	v_lshl_add_u64 v[2:3], v[8:9], 0, s[0:1]
	global_load_ubyte v4, v[2:3], off
	v_lshl_add_u64 v[2:3], v[2:3], 0, s[0:1]
	global_load_ubyte v8, v[2:3], off
	;; [unrolled: 2-line block ×3, first 2 shown]
	s_add_u32 s2, s24, s26
	s_addc_u32 s3, s25, 0
	v_lshl_add_u64 v[2:3], s[2:3], 0, v[0:1]
	v_add_co_u32_e32 v6, vcc, 0x1000, v2
	s_nop 1
	v_addc_co_u32_e32 v7, vcc, 0, v3, vcc
	s_mov_b64 s[16:17], -1
	s_waitcnt vmcnt(7)
	global_store_byte v0, v10, s[2:3]
	s_waitcnt vmcnt(7)
	global_store_byte v0, v11, s[2:3] offset:1024
	s_waitcnt vmcnt(7)
	global_store_byte v0, v12, s[2:3] offset:2048
	;; [unrolled: 2-line block ×3, first 2 shown]
	s_waitcnt vmcnt(7)
	global_store_byte v[6:7], v14, off
	s_waitcnt vmcnt(7)
	global_store_byte v[6:7], v4, off offset:1024
	s_waitcnt vmcnt(7)
	global_store_byte v[6:7], v8, off offset:2048
	s_cbranch_execz .LBB667_3
	s_branch .LBB667_36
.LBB667_2:
	s_mov_b64 s[16:17], 0
                                        ; implicit-def: $vgpr5
                                        ; implicit-def: $vgpr2_vgpr3
.LBB667_3:
	s_sub_i32 s19, s6, s26
	v_cmp_gt_u32_e32 vcc, s19, v0
                                        ; implicit-def: $vgpr1
	s_and_saveexec_b64 s[0:1], vcc
	s_cbranch_execz .LBB667_5
; %bb.4:
	v_mov_b32_e32 v1, 0
	v_lshl_add_u64 v[2:3], s[20:21], 0, v[0:1]
	s_waitcnt vmcnt(7)
	v_mov_b64_e32 v[4:5], s[14:15]
	v_mad_u64_u32 v[4:5], s[2:3], v2, s18, v[4:5]
	v_mov_b32_e32 v2, v5
	v_mad_u64_u32 v[2:3], s[2:3], v3, s18, v[2:3]
	v_mov_b32_e32 v5, v2
	global_load_ubyte v1, v[4:5], off
.LBB667_5:
	s_or_b64 exec, exec, s[0:1]
	v_or_b32_e32 v2, 0x400, v0
	v_cmp_gt_u32_e64 s[0:1], s19, v2
                                        ; implicit-def: $vgpr4
	s_and_saveexec_b64 s[2:3], s[0:1]
	s_cbranch_execz .LBB667_7
; %bb.6:
	v_mov_b32_e32 v3, 0
	v_lshl_add_u64 v[2:3], s[20:21], 0, v[2:3]
	s_waitcnt vmcnt(7)
	v_mov_b64_e32 v[4:5], s[14:15]
	v_mad_u64_u32 v[4:5], s[4:5], v2, s18, v[4:5]
	v_mov_b32_e32 v2, v5
	v_mad_u64_u32 v[2:3], s[4:5], v3, s18, v[2:3]
	v_mov_b32_e32 v5, v2
	global_load_ubyte v4, v[4:5], off
.LBB667_7:
	s_or_b64 exec, exec, s[2:3]
	v_or_b32_e32 v2, 0x800, v0
	v_cmp_gt_u32_e64 s[2:3], s19, v2
                                        ; implicit-def: $vgpr5
	s_and_saveexec_b64 s[4:5], s[2:3]
	s_cbranch_execz .LBB667_9
; %bb.8:
	v_mov_b32_e32 v3, 0
	v_lshl_add_u64 v[2:3], s[20:21], 0, v[2:3]
	v_mov_b64_e32 v[6:7], s[14:15]
	v_mad_u64_u32 v[6:7], s[6:7], v2, s18, v[6:7]
	v_mov_b32_e32 v2, v7
	v_mad_u64_u32 v[2:3], s[6:7], v3, s18, v[2:3]
	v_mov_b32_e32 v7, v2
	global_load_ubyte v5, v[6:7], off
.LBB667_9:
	s_or_b64 exec, exec, s[4:5]
	v_or_b32_e32 v2, 0xc00, v0
	v_cmp_gt_u32_e64 s[4:5], s19, v2
                                        ; implicit-def: $vgpr6
	s_and_saveexec_b64 s[6:7], s[4:5]
	s_cbranch_execz .LBB667_11
; %bb.10:
	v_mov_b32_e32 v3, 0
	v_lshl_add_u64 v[2:3], s[20:21], 0, v[2:3]
	v_mov_b64_e32 v[6:7], s[14:15]
	v_mad_u64_u32 v[6:7], s[8:9], v2, s18, v[6:7]
	v_mov_b32_e32 v2, v7
	v_mad_u64_u32 v[2:3], s[8:9], v3, s18, v[2:3]
	v_mov_b32_e32 v7, v2
	global_load_ubyte v6, v[6:7], off
.LBB667_11:
	s_or_b64 exec, exec, s[6:7]
	v_or_b32_e32 v2, 0x1000, v0
	v_cmp_gt_u32_e64 s[6:7], s19, v2
                                        ; implicit-def: $vgpr7
	s_and_saveexec_b64 s[8:9], s[6:7]
	s_cbranch_execz .LBB667_13
; %bb.12:
	v_mov_b32_e32 v3, 0
	v_lshl_add_u64 v[2:3], s[20:21], 0, v[2:3]
	v_mov_b64_e32 v[8:9], s[14:15]
	v_mad_u64_u32 v[8:9], s[10:11], v2, s18, v[8:9]
	v_mov_b32_e32 v2, v9
	v_mad_u64_u32 v[2:3], s[10:11], v3, s18, v[2:3]
	v_mov_b32_e32 v9, v2
	global_load_ubyte v7, v[8:9], off
.LBB667_13:
	s_or_b64 exec, exec, s[8:9]
	v_or_b32_e32 v2, 0x1400, v0
	v_cmp_gt_u32_e64 s[8:9], s19, v2
                                        ; implicit-def: $vgpr8
	s_and_saveexec_b64 s[10:11], s[8:9]
	s_cbranch_execz .LBB667_15
; %bb.14:
	v_mov_b32_e32 v3, 0
	v_lshl_add_u64 v[2:3], s[20:21], 0, v[2:3]
	v_mov_b64_e32 v[8:9], s[14:15]
	v_mad_u64_u32 v[8:9], s[12:13], v2, s18, v[8:9]
	v_mov_b32_e32 v2, v9
	v_mad_u64_u32 v[2:3], s[12:13], v3, s18, v[2:3]
	v_mov_b32_e32 v9, v2
	global_load_ubyte v8, v[8:9], off
.LBB667_15:
	s_or_b64 exec, exec, s[10:11]
	v_or_b32_e32 v2, 0x1800, v0
	v_cmp_gt_u32_e64 s[10:11], s19, v2
                                        ; implicit-def: $vgpr9
	s_and_saveexec_b64 s[12:13], s[10:11]
	s_cbranch_execz .LBB667_17
; %bb.16:
	v_mov_b32_e32 v3, 0
	v_lshl_add_u64 v[2:3], s[20:21], 0, v[2:3]
	v_mov_b64_e32 v[10:11], s[14:15]
	v_mad_u64_u32 v[10:11], s[22:23], v2, s18, v[10:11]
	v_mov_b32_e32 v2, v11
	v_mad_u64_u32 v[2:3], s[22:23], v3, s18, v[2:3]
	v_mov_b32_e32 v11, v2
	global_load_ubyte v9, v[10:11], off
.LBB667_17:
	s_or_b64 exec, exec, s[12:13]
	v_or_b32_e32 v2, 0x1c00, v0
	v_cmp_gt_u32_e64 s[12:13], s19, v2
                                        ; implicit-def: $vgpr3
	s_and_saveexec_b64 s[22:23], s[12:13]
	s_cbranch_execz .LBB667_19
; %bb.18:
	v_mov_b32_e32 v3, 0
	v_lshl_add_u64 v[2:3], s[20:21], 0, v[2:3]
	v_mov_b64_e32 v[10:11], s[14:15]
	v_mad_u64_u32 v[10:11], s[14:15], v2, s18, v[10:11]
	v_mov_b32_e32 v2, v11
	v_mad_u64_u32 v[2:3], s[14:15], v3, s18, v[2:3]
	v_mov_b32_e32 v11, v2
	global_load_ubyte v3, v[10:11], off
.LBB667_19:
	s_or_b64 exec, exec, s[22:23]
	s_waitcnt vmcnt(0)
	v_lshlrev_b16_e32 v2, 8, v4
	v_or_b32_sdwa v1, v1, v2 dst_sel:DWORD dst_unused:UNUSED_PAD src0_sel:BYTE_0 src1_sel:DWORD
	v_lshlrev_b16_e32 v2, 8, v6
	v_or_b32_sdwa v2, v5, v2 dst_sel:WORD_1 dst_unused:UNUSED_PAD src0_sel:BYTE_0 src1_sel:DWORD
	s_add_u32 s14, s24, s26
	v_or_b32_sdwa v5, v1, v2 dst_sel:DWORD dst_unused:UNUSED_PAD src0_sel:WORD_0 src1_sel:DWORD
	v_lshlrev_b16_e32 v1, 8, v8
	v_lshlrev_b16_e32 v2, 8, v3
	v_or_b32_sdwa v1, v7, v1 dst_sel:DWORD dst_unused:UNUSED_PAD src0_sel:BYTE_0 src1_sel:DWORD
	v_or_b32_sdwa v2, v9, v2 dst_sel:WORD_1 dst_unused:UNUSED_PAD src0_sel:BYTE_0 src1_sel:DWORD
	s_addc_u32 s15, s25, 0
	v_or_b32_sdwa v4, v1, v2 dst_sel:DWORD dst_unused:UNUSED_PAD src0_sel:WORD_0 src1_sel:DWORD
	v_mov_b32_e32 v1, 0
	v_lshl_add_u64 v[2:3], s[14:15], 0, v[0:1]
	s_and_saveexec_b64 s[14:15], vcc
	s_cbranch_execz .LBB667_21
; %bb.20:
	global_store_byte v[2:3], v5, off
.LBB667_21:
	s_or_b64 exec, exec, s[14:15]
	s_and_saveexec_b64 s[14:15], s[0:1]
	s_cbranch_execz .LBB667_23
; %bb.22:
	v_lshrrev_b32_e32 v0, 8, v5
	global_store_byte v[2:3], v0, off offset:1024
.LBB667_23:
	s_or_b64 exec, exec, s[14:15]
	s_mov_b32 s0, 0x7060104
	v_perm_b32 v0, v5, v5, s0
	s_movk_i32 s15, 0xff
	s_mov_b32 s14, 0xffff
	v_cndmask_b32_e64 v1, v0, v5, s[2:3]
	s_and_saveexec_b64 s[0:1], s[2:3]
	s_cbranch_execz .LBB667_25
; %bb.24:
	global_store_byte_d16_hi v[2:3], v1, off offset:2048
.LBB667_25:
	s_or_b64 exec, exec, s[0:1]
	s_movk_i32 s0, 0xff00
	v_and_b32_sdwa v6, v0, s0 dst_sel:DWORD dst_unused:UNUSED_PAD src0_sel:WORD_1 src1_sel:DWORD
	v_and_b32_sdwa v1, v1, s15 dst_sel:DWORD dst_unused:UNUSED_PAD src0_sel:WORD_1 src1_sel:DWORD
	v_or_b32_sdwa v1, v1, v6 dst_sel:WORD_1 dst_unused:UNUSED_PAD src0_sel:DWORD src1_sel:DWORD
	s_nop 0
	v_and_or_b32 v0, v0, s14, v1
	v_cndmask_b32_e64 v0, v0, v5, s[4:5]
	s_and_saveexec_b64 s[0:1], s[4:5]
	s_cbranch_execz .LBB667_27
; %bb.26:
	v_lshrrev_b32_e32 v0, 24, v0
	global_store_byte v[2:3], v0, off offset:3072
.LBB667_27:
	s_or_b64 exec, exec, s[0:1]
	s_and_saveexec_b64 s[0:1], s[6:7]
	s_cbranch_execz .LBB667_29
; %bb.28:
	v_add_co_u32_e32 v0, vcc, 0x1000, v2
	s_nop 1
	v_addc_co_u32_e32 v1, vcc, 0, v3, vcc
	global_store_byte v[0:1], v4, off
.LBB667_29:
	s_or_b64 exec, exec, s[0:1]
	s_mov_b32 s0, 0x3020104
	v_perm_b32 v1, v4, v4, s0
	v_cndmask_b32_e64 v0, v1, v4, s[8:9]
	s_and_saveexec_b64 s[0:1], s[8:9]
	s_cbranch_execz .LBB667_31
; %bb.30:
	v_add_co_u32_e32 v6, vcc, 0x1000, v2
	v_lshrrev_b32_e32 v5, 8, v0
	s_nop 0
	v_addc_co_u32_e32 v7, vcc, 0, v3, vcc
	global_store_byte v[6:7], v5, off offset:1024
.LBB667_31:
	s_or_b64 exec, exec, s[0:1]
	s_mov_b32 s0, 0x7060104
	v_perm_b32 v0, v1, v0, s0
	s_and_saveexec_b64 s[0:1], s[10:11]
	s_cbranch_execz .LBB667_33
; %bb.32:
	v_add_co_u32_e32 v6, vcc, 0x1000, v2
	v_cndmask_b32_e64 v1, v0, v4, s[10:11]
	s_nop 0
	v_addc_co_u32_e32 v7, vcc, 0, v3, vcc
	global_store_byte_d16_hi v[6:7], v1, off offset:2048
.LBB667_33:
	s_or_b64 exec, exec, s[0:1]
                                        ; implicit-def: $vgpr5
	s_and_saveexec_b64 s[0:1], s[12:13]
; %bb.34:
	v_cndmask_b32_e64 v0, v0, v4, s[12:13]
	v_lshrrev_b32_e32 v5, 24, v0
	s_or_b64 s[16:17], s[16:17], exec
; %bb.35:
	s_or_b64 exec, exec, s[0:1]
.LBB667_36:
	s_and_saveexec_b64 s[0:1], s[16:17]
	s_cbranch_execnz .LBB667_38
; %bb.37:
	s_endpgm
.LBB667_38:
	v_add_co_u32_e32 v0, vcc, 0x1000, v2
	s_nop 1
	v_addc_co_u32_e32 v1, vcc, 0, v3, vcc
	s_waitcnt vmcnt(7)
	global_store_byte v[0:1], v5, off offset:3072
	s_endpgm
	.section	.rodata,"a",@progbits
	.p2align	6, 0x0
	.amdhsa_kernel _ZN7rocprim17ROCPRIM_400000_NS6detail17trampoline_kernelINS0_14default_configENS1_25transform_config_selectorIaLb0EEEZNS1_14transform_implILb0ES3_S5_NS0_18transform_iteratorINS0_17counting_iteratorImlEEZNS1_24adjacent_difference_implIS3_Lb1ELb0EPaN6thrust23THRUST_200600_302600_NS16discard_iteratorINSD_11use_defaultEEENSD_5minusIaEEEE10hipError_tPvRmT2_T3_mT4_P12ihipStream_tbEUlmE_aEESB_NS0_8identityIvEEEESJ_SM_SN_mSO_SQ_bEUlT_E_NS1_11comp_targetILNS1_3genE5ELNS1_11target_archE942ELNS1_3gpuE9ELNS1_3repE0EEENS1_30default_config_static_selectorELNS0_4arch9wavefront6targetE1EEEvT1_
		.amdhsa_group_segment_fixed_size 0
		.amdhsa_private_segment_fixed_size 0
		.amdhsa_kernarg_size 312
		.amdhsa_user_sgpr_count 2
		.amdhsa_user_sgpr_dispatch_ptr 0
		.amdhsa_user_sgpr_queue_ptr 0
		.amdhsa_user_sgpr_kernarg_segment_ptr 1
		.amdhsa_user_sgpr_dispatch_id 0
		.amdhsa_user_sgpr_kernarg_preload_length 0
		.amdhsa_user_sgpr_kernarg_preload_offset 0
		.amdhsa_user_sgpr_private_segment_size 0
		.amdhsa_uses_dynamic_stack 0
		.amdhsa_enable_private_segment 0
		.amdhsa_system_sgpr_workgroup_id_x 1
		.amdhsa_system_sgpr_workgroup_id_y 0
		.amdhsa_system_sgpr_workgroup_id_z 0
		.amdhsa_system_sgpr_workgroup_info 0
		.amdhsa_system_vgpr_workitem_id 0
		.amdhsa_next_free_vgpr 15
		.amdhsa_next_free_sgpr 27
		.amdhsa_accum_offset 16
		.amdhsa_reserve_vcc 1
		.amdhsa_float_round_mode_32 0
		.amdhsa_float_round_mode_16_64 0
		.amdhsa_float_denorm_mode_32 3
		.amdhsa_float_denorm_mode_16_64 3
		.amdhsa_dx10_clamp 1
		.amdhsa_ieee_mode 1
		.amdhsa_fp16_overflow 0
		.amdhsa_tg_split 0
		.amdhsa_exception_fp_ieee_invalid_op 0
		.amdhsa_exception_fp_denorm_src 0
		.amdhsa_exception_fp_ieee_div_zero 0
		.amdhsa_exception_fp_ieee_overflow 0
		.amdhsa_exception_fp_ieee_underflow 0
		.amdhsa_exception_fp_ieee_inexact 0
		.amdhsa_exception_int_div_zero 0
	.end_amdhsa_kernel
	.section	.text._ZN7rocprim17ROCPRIM_400000_NS6detail17trampoline_kernelINS0_14default_configENS1_25transform_config_selectorIaLb0EEEZNS1_14transform_implILb0ES3_S5_NS0_18transform_iteratorINS0_17counting_iteratorImlEEZNS1_24adjacent_difference_implIS3_Lb1ELb0EPaN6thrust23THRUST_200600_302600_NS16discard_iteratorINSD_11use_defaultEEENSD_5minusIaEEEE10hipError_tPvRmT2_T3_mT4_P12ihipStream_tbEUlmE_aEESB_NS0_8identityIvEEEESJ_SM_SN_mSO_SQ_bEUlT_E_NS1_11comp_targetILNS1_3genE5ELNS1_11target_archE942ELNS1_3gpuE9ELNS1_3repE0EEENS1_30default_config_static_selectorELNS0_4arch9wavefront6targetE1EEEvT1_,"axG",@progbits,_ZN7rocprim17ROCPRIM_400000_NS6detail17trampoline_kernelINS0_14default_configENS1_25transform_config_selectorIaLb0EEEZNS1_14transform_implILb0ES3_S5_NS0_18transform_iteratorINS0_17counting_iteratorImlEEZNS1_24adjacent_difference_implIS3_Lb1ELb0EPaN6thrust23THRUST_200600_302600_NS16discard_iteratorINSD_11use_defaultEEENSD_5minusIaEEEE10hipError_tPvRmT2_T3_mT4_P12ihipStream_tbEUlmE_aEESB_NS0_8identityIvEEEESJ_SM_SN_mSO_SQ_bEUlT_E_NS1_11comp_targetILNS1_3genE5ELNS1_11target_archE942ELNS1_3gpuE9ELNS1_3repE0EEENS1_30default_config_static_selectorELNS0_4arch9wavefront6targetE1EEEvT1_,comdat
.Lfunc_end667:
	.size	_ZN7rocprim17ROCPRIM_400000_NS6detail17trampoline_kernelINS0_14default_configENS1_25transform_config_selectorIaLb0EEEZNS1_14transform_implILb0ES3_S5_NS0_18transform_iteratorINS0_17counting_iteratorImlEEZNS1_24adjacent_difference_implIS3_Lb1ELb0EPaN6thrust23THRUST_200600_302600_NS16discard_iteratorINSD_11use_defaultEEENSD_5minusIaEEEE10hipError_tPvRmT2_T3_mT4_P12ihipStream_tbEUlmE_aEESB_NS0_8identityIvEEEESJ_SM_SN_mSO_SQ_bEUlT_E_NS1_11comp_targetILNS1_3genE5ELNS1_11target_archE942ELNS1_3gpuE9ELNS1_3repE0EEENS1_30default_config_static_selectorELNS0_4arch9wavefront6targetE1EEEvT1_, .Lfunc_end667-_ZN7rocprim17ROCPRIM_400000_NS6detail17trampoline_kernelINS0_14default_configENS1_25transform_config_selectorIaLb0EEEZNS1_14transform_implILb0ES3_S5_NS0_18transform_iteratorINS0_17counting_iteratorImlEEZNS1_24adjacent_difference_implIS3_Lb1ELb0EPaN6thrust23THRUST_200600_302600_NS16discard_iteratorINSD_11use_defaultEEENSD_5minusIaEEEE10hipError_tPvRmT2_T3_mT4_P12ihipStream_tbEUlmE_aEESB_NS0_8identityIvEEEESJ_SM_SN_mSO_SQ_bEUlT_E_NS1_11comp_targetILNS1_3genE5ELNS1_11target_archE942ELNS1_3gpuE9ELNS1_3repE0EEENS1_30default_config_static_selectorELNS0_4arch9wavefront6targetE1EEEvT1_
                                        ; -- End function
	.section	.AMDGPU.csdata,"",@progbits
; Kernel info:
; codeLenInByte = 1480
; NumSgprs: 33
; NumVgprs: 15
; NumAgprs: 0
; TotalNumVgprs: 15
; ScratchSize: 0
; MemoryBound: 0
; FloatMode: 240
; IeeeMode: 1
; LDSByteSize: 0 bytes/workgroup (compile time only)
; SGPRBlocks: 4
; VGPRBlocks: 1
; NumSGPRsForWavesPerEU: 33
; NumVGPRsForWavesPerEU: 15
; AccumOffset: 16
; Occupancy: 8
; WaveLimiterHint : 1
; COMPUTE_PGM_RSRC2:SCRATCH_EN: 0
; COMPUTE_PGM_RSRC2:USER_SGPR: 2
; COMPUTE_PGM_RSRC2:TRAP_HANDLER: 0
; COMPUTE_PGM_RSRC2:TGID_X_EN: 1
; COMPUTE_PGM_RSRC2:TGID_Y_EN: 0
; COMPUTE_PGM_RSRC2:TGID_Z_EN: 0
; COMPUTE_PGM_RSRC2:TIDIG_COMP_CNT: 0
; COMPUTE_PGM_RSRC3_GFX90A:ACCUM_OFFSET: 3
; COMPUTE_PGM_RSRC3_GFX90A:TG_SPLIT: 0
	.section	.text._ZN7rocprim17ROCPRIM_400000_NS6detail17trampoline_kernelINS0_14default_configENS1_25transform_config_selectorIaLb0EEEZNS1_14transform_implILb0ES3_S5_NS0_18transform_iteratorINS0_17counting_iteratorImlEEZNS1_24adjacent_difference_implIS3_Lb1ELb0EPaN6thrust23THRUST_200600_302600_NS16discard_iteratorINSD_11use_defaultEEENSD_5minusIaEEEE10hipError_tPvRmT2_T3_mT4_P12ihipStream_tbEUlmE_aEESB_NS0_8identityIvEEEESJ_SM_SN_mSO_SQ_bEUlT_E_NS1_11comp_targetILNS1_3genE4ELNS1_11target_archE910ELNS1_3gpuE8ELNS1_3repE0EEENS1_30default_config_static_selectorELNS0_4arch9wavefront6targetE1EEEvT1_,"axG",@progbits,_ZN7rocprim17ROCPRIM_400000_NS6detail17trampoline_kernelINS0_14default_configENS1_25transform_config_selectorIaLb0EEEZNS1_14transform_implILb0ES3_S5_NS0_18transform_iteratorINS0_17counting_iteratorImlEEZNS1_24adjacent_difference_implIS3_Lb1ELb0EPaN6thrust23THRUST_200600_302600_NS16discard_iteratorINSD_11use_defaultEEENSD_5minusIaEEEE10hipError_tPvRmT2_T3_mT4_P12ihipStream_tbEUlmE_aEESB_NS0_8identityIvEEEESJ_SM_SN_mSO_SQ_bEUlT_E_NS1_11comp_targetILNS1_3genE4ELNS1_11target_archE910ELNS1_3gpuE8ELNS1_3repE0EEENS1_30default_config_static_selectorELNS0_4arch9wavefront6targetE1EEEvT1_,comdat
	.protected	_ZN7rocprim17ROCPRIM_400000_NS6detail17trampoline_kernelINS0_14default_configENS1_25transform_config_selectorIaLb0EEEZNS1_14transform_implILb0ES3_S5_NS0_18transform_iteratorINS0_17counting_iteratorImlEEZNS1_24adjacent_difference_implIS3_Lb1ELb0EPaN6thrust23THRUST_200600_302600_NS16discard_iteratorINSD_11use_defaultEEENSD_5minusIaEEEE10hipError_tPvRmT2_T3_mT4_P12ihipStream_tbEUlmE_aEESB_NS0_8identityIvEEEESJ_SM_SN_mSO_SQ_bEUlT_E_NS1_11comp_targetILNS1_3genE4ELNS1_11target_archE910ELNS1_3gpuE8ELNS1_3repE0EEENS1_30default_config_static_selectorELNS0_4arch9wavefront6targetE1EEEvT1_ ; -- Begin function _ZN7rocprim17ROCPRIM_400000_NS6detail17trampoline_kernelINS0_14default_configENS1_25transform_config_selectorIaLb0EEEZNS1_14transform_implILb0ES3_S5_NS0_18transform_iteratorINS0_17counting_iteratorImlEEZNS1_24adjacent_difference_implIS3_Lb1ELb0EPaN6thrust23THRUST_200600_302600_NS16discard_iteratorINSD_11use_defaultEEENSD_5minusIaEEEE10hipError_tPvRmT2_T3_mT4_P12ihipStream_tbEUlmE_aEESB_NS0_8identityIvEEEESJ_SM_SN_mSO_SQ_bEUlT_E_NS1_11comp_targetILNS1_3genE4ELNS1_11target_archE910ELNS1_3gpuE8ELNS1_3repE0EEENS1_30default_config_static_selectorELNS0_4arch9wavefront6targetE1EEEvT1_
	.globl	_ZN7rocprim17ROCPRIM_400000_NS6detail17trampoline_kernelINS0_14default_configENS1_25transform_config_selectorIaLb0EEEZNS1_14transform_implILb0ES3_S5_NS0_18transform_iteratorINS0_17counting_iteratorImlEEZNS1_24adjacent_difference_implIS3_Lb1ELb0EPaN6thrust23THRUST_200600_302600_NS16discard_iteratorINSD_11use_defaultEEENSD_5minusIaEEEE10hipError_tPvRmT2_T3_mT4_P12ihipStream_tbEUlmE_aEESB_NS0_8identityIvEEEESJ_SM_SN_mSO_SQ_bEUlT_E_NS1_11comp_targetILNS1_3genE4ELNS1_11target_archE910ELNS1_3gpuE8ELNS1_3repE0EEENS1_30default_config_static_selectorELNS0_4arch9wavefront6targetE1EEEvT1_
	.p2align	8
	.type	_ZN7rocprim17ROCPRIM_400000_NS6detail17trampoline_kernelINS0_14default_configENS1_25transform_config_selectorIaLb0EEEZNS1_14transform_implILb0ES3_S5_NS0_18transform_iteratorINS0_17counting_iteratorImlEEZNS1_24adjacent_difference_implIS3_Lb1ELb0EPaN6thrust23THRUST_200600_302600_NS16discard_iteratorINSD_11use_defaultEEENSD_5minusIaEEEE10hipError_tPvRmT2_T3_mT4_P12ihipStream_tbEUlmE_aEESB_NS0_8identityIvEEEESJ_SM_SN_mSO_SQ_bEUlT_E_NS1_11comp_targetILNS1_3genE4ELNS1_11target_archE910ELNS1_3gpuE8ELNS1_3repE0EEENS1_30default_config_static_selectorELNS0_4arch9wavefront6targetE1EEEvT1_,@function
_ZN7rocprim17ROCPRIM_400000_NS6detail17trampoline_kernelINS0_14default_configENS1_25transform_config_selectorIaLb0EEEZNS1_14transform_implILb0ES3_S5_NS0_18transform_iteratorINS0_17counting_iteratorImlEEZNS1_24adjacent_difference_implIS3_Lb1ELb0EPaN6thrust23THRUST_200600_302600_NS16discard_iteratorINSD_11use_defaultEEENSD_5minusIaEEEE10hipError_tPvRmT2_T3_mT4_P12ihipStream_tbEUlmE_aEESB_NS0_8identityIvEEEESJ_SM_SN_mSO_SQ_bEUlT_E_NS1_11comp_targetILNS1_3genE4ELNS1_11target_archE910ELNS1_3gpuE8ELNS1_3repE0EEENS1_30default_config_static_selectorELNS0_4arch9wavefront6targetE1EEEvT1_: ; @_ZN7rocprim17ROCPRIM_400000_NS6detail17trampoline_kernelINS0_14default_configENS1_25transform_config_selectorIaLb0EEEZNS1_14transform_implILb0ES3_S5_NS0_18transform_iteratorINS0_17counting_iteratorImlEEZNS1_24adjacent_difference_implIS3_Lb1ELb0EPaN6thrust23THRUST_200600_302600_NS16discard_iteratorINSD_11use_defaultEEENSD_5minusIaEEEE10hipError_tPvRmT2_T3_mT4_P12ihipStream_tbEUlmE_aEESB_NS0_8identityIvEEEESJ_SM_SN_mSO_SQ_bEUlT_E_NS1_11comp_targetILNS1_3genE4ELNS1_11target_archE910ELNS1_3gpuE8ELNS1_3repE0EEENS1_30default_config_static_selectorELNS0_4arch9wavefront6targetE1EEEvT1_
; %bb.0:
	.section	.rodata,"a",@progbits
	.p2align	6, 0x0
	.amdhsa_kernel _ZN7rocprim17ROCPRIM_400000_NS6detail17trampoline_kernelINS0_14default_configENS1_25transform_config_selectorIaLb0EEEZNS1_14transform_implILb0ES3_S5_NS0_18transform_iteratorINS0_17counting_iteratorImlEEZNS1_24adjacent_difference_implIS3_Lb1ELb0EPaN6thrust23THRUST_200600_302600_NS16discard_iteratorINSD_11use_defaultEEENSD_5minusIaEEEE10hipError_tPvRmT2_T3_mT4_P12ihipStream_tbEUlmE_aEESB_NS0_8identityIvEEEESJ_SM_SN_mSO_SQ_bEUlT_E_NS1_11comp_targetILNS1_3genE4ELNS1_11target_archE910ELNS1_3gpuE8ELNS1_3repE0EEENS1_30default_config_static_selectorELNS0_4arch9wavefront6targetE1EEEvT1_
		.amdhsa_group_segment_fixed_size 0
		.amdhsa_private_segment_fixed_size 0
		.amdhsa_kernarg_size 56
		.amdhsa_user_sgpr_count 2
		.amdhsa_user_sgpr_dispatch_ptr 0
		.amdhsa_user_sgpr_queue_ptr 0
		.amdhsa_user_sgpr_kernarg_segment_ptr 1
		.amdhsa_user_sgpr_dispatch_id 0
		.amdhsa_user_sgpr_kernarg_preload_length 0
		.amdhsa_user_sgpr_kernarg_preload_offset 0
		.amdhsa_user_sgpr_private_segment_size 0
		.amdhsa_uses_dynamic_stack 0
		.amdhsa_enable_private_segment 0
		.amdhsa_system_sgpr_workgroup_id_x 1
		.amdhsa_system_sgpr_workgroup_id_y 0
		.amdhsa_system_sgpr_workgroup_id_z 0
		.amdhsa_system_sgpr_workgroup_info 0
		.amdhsa_system_vgpr_workitem_id 0
		.amdhsa_next_free_vgpr 1
		.amdhsa_next_free_sgpr 0
		.amdhsa_accum_offset 4
		.amdhsa_reserve_vcc 0
		.amdhsa_float_round_mode_32 0
		.amdhsa_float_round_mode_16_64 0
		.amdhsa_float_denorm_mode_32 3
		.amdhsa_float_denorm_mode_16_64 3
		.amdhsa_dx10_clamp 1
		.amdhsa_ieee_mode 1
		.amdhsa_fp16_overflow 0
		.amdhsa_tg_split 0
		.amdhsa_exception_fp_ieee_invalid_op 0
		.amdhsa_exception_fp_denorm_src 0
		.amdhsa_exception_fp_ieee_div_zero 0
		.amdhsa_exception_fp_ieee_overflow 0
		.amdhsa_exception_fp_ieee_underflow 0
		.amdhsa_exception_fp_ieee_inexact 0
		.amdhsa_exception_int_div_zero 0
	.end_amdhsa_kernel
	.section	.text._ZN7rocprim17ROCPRIM_400000_NS6detail17trampoline_kernelINS0_14default_configENS1_25transform_config_selectorIaLb0EEEZNS1_14transform_implILb0ES3_S5_NS0_18transform_iteratorINS0_17counting_iteratorImlEEZNS1_24adjacent_difference_implIS3_Lb1ELb0EPaN6thrust23THRUST_200600_302600_NS16discard_iteratorINSD_11use_defaultEEENSD_5minusIaEEEE10hipError_tPvRmT2_T3_mT4_P12ihipStream_tbEUlmE_aEESB_NS0_8identityIvEEEESJ_SM_SN_mSO_SQ_bEUlT_E_NS1_11comp_targetILNS1_3genE4ELNS1_11target_archE910ELNS1_3gpuE8ELNS1_3repE0EEENS1_30default_config_static_selectorELNS0_4arch9wavefront6targetE1EEEvT1_,"axG",@progbits,_ZN7rocprim17ROCPRIM_400000_NS6detail17trampoline_kernelINS0_14default_configENS1_25transform_config_selectorIaLb0EEEZNS1_14transform_implILb0ES3_S5_NS0_18transform_iteratorINS0_17counting_iteratorImlEEZNS1_24adjacent_difference_implIS3_Lb1ELb0EPaN6thrust23THRUST_200600_302600_NS16discard_iteratorINSD_11use_defaultEEENSD_5minusIaEEEE10hipError_tPvRmT2_T3_mT4_P12ihipStream_tbEUlmE_aEESB_NS0_8identityIvEEEESJ_SM_SN_mSO_SQ_bEUlT_E_NS1_11comp_targetILNS1_3genE4ELNS1_11target_archE910ELNS1_3gpuE8ELNS1_3repE0EEENS1_30default_config_static_selectorELNS0_4arch9wavefront6targetE1EEEvT1_,comdat
.Lfunc_end668:
	.size	_ZN7rocprim17ROCPRIM_400000_NS6detail17trampoline_kernelINS0_14default_configENS1_25transform_config_selectorIaLb0EEEZNS1_14transform_implILb0ES3_S5_NS0_18transform_iteratorINS0_17counting_iteratorImlEEZNS1_24adjacent_difference_implIS3_Lb1ELb0EPaN6thrust23THRUST_200600_302600_NS16discard_iteratorINSD_11use_defaultEEENSD_5minusIaEEEE10hipError_tPvRmT2_T3_mT4_P12ihipStream_tbEUlmE_aEESB_NS0_8identityIvEEEESJ_SM_SN_mSO_SQ_bEUlT_E_NS1_11comp_targetILNS1_3genE4ELNS1_11target_archE910ELNS1_3gpuE8ELNS1_3repE0EEENS1_30default_config_static_selectorELNS0_4arch9wavefront6targetE1EEEvT1_, .Lfunc_end668-_ZN7rocprim17ROCPRIM_400000_NS6detail17trampoline_kernelINS0_14default_configENS1_25transform_config_selectorIaLb0EEEZNS1_14transform_implILb0ES3_S5_NS0_18transform_iteratorINS0_17counting_iteratorImlEEZNS1_24adjacent_difference_implIS3_Lb1ELb0EPaN6thrust23THRUST_200600_302600_NS16discard_iteratorINSD_11use_defaultEEENSD_5minusIaEEEE10hipError_tPvRmT2_T3_mT4_P12ihipStream_tbEUlmE_aEESB_NS0_8identityIvEEEESJ_SM_SN_mSO_SQ_bEUlT_E_NS1_11comp_targetILNS1_3genE4ELNS1_11target_archE910ELNS1_3gpuE8ELNS1_3repE0EEENS1_30default_config_static_selectorELNS0_4arch9wavefront6targetE1EEEvT1_
                                        ; -- End function
	.section	.AMDGPU.csdata,"",@progbits
; Kernel info:
; codeLenInByte = 0
; NumSgprs: 6
; NumVgprs: 0
; NumAgprs: 0
; TotalNumVgprs: 0
; ScratchSize: 0
; MemoryBound: 0
; FloatMode: 240
; IeeeMode: 1
; LDSByteSize: 0 bytes/workgroup (compile time only)
; SGPRBlocks: 0
; VGPRBlocks: 0
; NumSGPRsForWavesPerEU: 6
; NumVGPRsForWavesPerEU: 1
; AccumOffset: 4
; Occupancy: 8
; WaveLimiterHint : 0
; COMPUTE_PGM_RSRC2:SCRATCH_EN: 0
; COMPUTE_PGM_RSRC2:USER_SGPR: 2
; COMPUTE_PGM_RSRC2:TRAP_HANDLER: 0
; COMPUTE_PGM_RSRC2:TGID_X_EN: 1
; COMPUTE_PGM_RSRC2:TGID_Y_EN: 0
; COMPUTE_PGM_RSRC2:TGID_Z_EN: 0
; COMPUTE_PGM_RSRC2:TIDIG_COMP_CNT: 0
; COMPUTE_PGM_RSRC3_GFX90A:ACCUM_OFFSET: 0
; COMPUTE_PGM_RSRC3_GFX90A:TG_SPLIT: 0
	.section	.text._ZN7rocprim17ROCPRIM_400000_NS6detail17trampoline_kernelINS0_14default_configENS1_25transform_config_selectorIaLb0EEEZNS1_14transform_implILb0ES3_S5_NS0_18transform_iteratorINS0_17counting_iteratorImlEEZNS1_24adjacent_difference_implIS3_Lb1ELb0EPaN6thrust23THRUST_200600_302600_NS16discard_iteratorINSD_11use_defaultEEENSD_5minusIaEEEE10hipError_tPvRmT2_T3_mT4_P12ihipStream_tbEUlmE_aEESB_NS0_8identityIvEEEESJ_SM_SN_mSO_SQ_bEUlT_E_NS1_11comp_targetILNS1_3genE3ELNS1_11target_archE908ELNS1_3gpuE7ELNS1_3repE0EEENS1_30default_config_static_selectorELNS0_4arch9wavefront6targetE1EEEvT1_,"axG",@progbits,_ZN7rocprim17ROCPRIM_400000_NS6detail17trampoline_kernelINS0_14default_configENS1_25transform_config_selectorIaLb0EEEZNS1_14transform_implILb0ES3_S5_NS0_18transform_iteratorINS0_17counting_iteratorImlEEZNS1_24adjacent_difference_implIS3_Lb1ELb0EPaN6thrust23THRUST_200600_302600_NS16discard_iteratorINSD_11use_defaultEEENSD_5minusIaEEEE10hipError_tPvRmT2_T3_mT4_P12ihipStream_tbEUlmE_aEESB_NS0_8identityIvEEEESJ_SM_SN_mSO_SQ_bEUlT_E_NS1_11comp_targetILNS1_3genE3ELNS1_11target_archE908ELNS1_3gpuE7ELNS1_3repE0EEENS1_30default_config_static_selectorELNS0_4arch9wavefront6targetE1EEEvT1_,comdat
	.protected	_ZN7rocprim17ROCPRIM_400000_NS6detail17trampoline_kernelINS0_14default_configENS1_25transform_config_selectorIaLb0EEEZNS1_14transform_implILb0ES3_S5_NS0_18transform_iteratorINS0_17counting_iteratorImlEEZNS1_24adjacent_difference_implIS3_Lb1ELb0EPaN6thrust23THRUST_200600_302600_NS16discard_iteratorINSD_11use_defaultEEENSD_5minusIaEEEE10hipError_tPvRmT2_T3_mT4_P12ihipStream_tbEUlmE_aEESB_NS0_8identityIvEEEESJ_SM_SN_mSO_SQ_bEUlT_E_NS1_11comp_targetILNS1_3genE3ELNS1_11target_archE908ELNS1_3gpuE7ELNS1_3repE0EEENS1_30default_config_static_selectorELNS0_4arch9wavefront6targetE1EEEvT1_ ; -- Begin function _ZN7rocprim17ROCPRIM_400000_NS6detail17trampoline_kernelINS0_14default_configENS1_25transform_config_selectorIaLb0EEEZNS1_14transform_implILb0ES3_S5_NS0_18transform_iteratorINS0_17counting_iteratorImlEEZNS1_24adjacent_difference_implIS3_Lb1ELb0EPaN6thrust23THRUST_200600_302600_NS16discard_iteratorINSD_11use_defaultEEENSD_5minusIaEEEE10hipError_tPvRmT2_T3_mT4_P12ihipStream_tbEUlmE_aEESB_NS0_8identityIvEEEESJ_SM_SN_mSO_SQ_bEUlT_E_NS1_11comp_targetILNS1_3genE3ELNS1_11target_archE908ELNS1_3gpuE7ELNS1_3repE0EEENS1_30default_config_static_selectorELNS0_4arch9wavefront6targetE1EEEvT1_
	.globl	_ZN7rocprim17ROCPRIM_400000_NS6detail17trampoline_kernelINS0_14default_configENS1_25transform_config_selectorIaLb0EEEZNS1_14transform_implILb0ES3_S5_NS0_18transform_iteratorINS0_17counting_iteratorImlEEZNS1_24adjacent_difference_implIS3_Lb1ELb0EPaN6thrust23THRUST_200600_302600_NS16discard_iteratorINSD_11use_defaultEEENSD_5minusIaEEEE10hipError_tPvRmT2_T3_mT4_P12ihipStream_tbEUlmE_aEESB_NS0_8identityIvEEEESJ_SM_SN_mSO_SQ_bEUlT_E_NS1_11comp_targetILNS1_3genE3ELNS1_11target_archE908ELNS1_3gpuE7ELNS1_3repE0EEENS1_30default_config_static_selectorELNS0_4arch9wavefront6targetE1EEEvT1_
	.p2align	8
	.type	_ZN7rocprim17ROCPRIM_400000_NS6detail17trampoline_kernelINS0_14default_configENS1_25transform_config_selectorIaLb0EEEZNS1_14transform_implILb0ES3_S5_NS0_18transform_iteratorINS0_17counting_iteratorImlEEZNS1_24adjacent_difference_implIS3_Lb1ELb0EPaN6thrust23THRUST_200600_302600_NS16discard_iteratorINSD_11use_defaultEEENSD_5minusIaEEEE10hipError_tPvRmT2_T3_mT4_P12ihipStream_tbEUlmE_aEESB_NS0_8identityIvEEEESJ_SM_SN_mSO_SQ_bEUlT_E_NS1_11comp_targetILNS1_3genE3ELNS1_11target_archE908ELNS1_3gpuE7ELNS1_3repE0EEENS1_30default_config_static_selectorELNS0_4arch9wavefront6targetE1EEEvT1_,@function
_ZN7rocprim17ROCPRIM_400000_NS6detail17trampoline_kernelINS0_14default_configENS1_25transform_config_selectorIaLb0EEEZNS1_14transform_implILb0ES3_S5_NS0_18transform_iteratorINS0_17counting_iteratorImlEEZNS1_24adjacent_difference_implIS3_Lb1ELb0EPaN6thrust23THRUST_200600_302600_NS16discard_iteratorINSD_11use_defaultEEENSD_5minusIaEEEE10hipError_tPvRmT2_T3_mT4_P12ihipStream_tbEUlmE_aEESB_NS0_8identityIvEEEESJ_SM_SN_mSO_SQ_bEUlT_E_NS1_11comp_targetILNS1_3genE3ELNS1_11target_archE908ELNS1_3gpuE7ELNS1_3repE0EEENS1_30default_config_static_selectorELNS0_4arch9wavefront6targetE1EEEvT1_: ; @_ZN7rocprim17ROCPRIM_400000_NS6detail17trampoline_kernelINS0_14default_configENS1_25transform_config_selectorIaLb0EEEZNS1_14transform_implILb0ES3_S5_NS0_18transform_iteratorINS0_17counting_iteratorImlEEZNS1_24adjacent_difference_implIS3_Lb1ELb0EPaN6thrust23THRUST_200600_302600_NS16discard_iteratorINSD_11use_defaultEEENSD_5minusIaEEEE10hipError_tPvRmT2_T3_mT4_P12ihipStream_tbEUlmE_aEESB_NS0_8identityIvEEEESJ_SM_SN_mSO_SQ_bEUlT_E_NS1_11comp_targetILNS1_3genE3ELNS1_11target_archE908ELNS1_3gpuE7ELNS1_3repE0EEENS1_30default_config_static_selectorELNS0_4arch9wavefront6targetE1EEEvT1_
; %bb.0:
	.section	.rodata,"a",@progbits
	.p2align	6, 0x0
	.amdhsa_kernel _ZN7rocprim17ROCPRIM_400000_NS6detail17trampoline_kernelINS0_14default_configENS1_25transform_config_selectorIaLb0EEEZNS1_14transform_implILb0ES3_S5_NS0_18transform_iteratorINS0_17counting_iteratorImlEEZNS1_24adjacent_difference_implIS3_Lb1ELb0EPaN6thrust23THRUST_200600_302600_NS16discard_iteratorINSD_11use_defaultEEENSD_5minusIaEEEE10hipError_tPvRmT2_T3_mT4_P12ihipStream_tbEUlmE_aEESB_NS0_8identityIvEEEESJ_SM_SN_mSO_SQ_bEUlT_E_NS1_11comp_targetILNS1_3genE3ELNS1_11target_archE908ELNS1_3gpuE7ELNS1_3repE0EEENS1_30default_config_static_selectorELNS0_4arch9wavefront6targetE1EEEvT1_
		.amdhsa_group_segment_fixed_size 0
		.amdhsa_private_segment_fixed_size 0
		.amdhsa_kernarg_size 56
		.amdhsa_user_sgpr_count 2
		.amdhsa_user_sgpr_dispatch_ptr 0
		.amdhsa_user_sgpr_queue_ptr 0
		.amdhsa_user_sgpr_kernarg_segment_ptr 1
		.amdhsa_user_sgpr_dispatch_id 0
		.amdhsa_user_sgpr_kernarg_preload_length 0
		.amdhsa_user_sgpr_kernarg_preload_offset 0
		.amdhsa_user_sgpr_private_segment_size 0
		.amdhsa_uses_dynamic_stack 0
		.amdhsa_enable_private_segment 0
		.amdhsa_system_sgpr_workgroup_id_x 1
		.amdhsa_system_sgpr_workgroup_id_y 0
		.amdhsa_system_sgpr_workgroup_id_z 0
		.amdhsa_system_sgpr_workgroup_info 0
		.amdhsa_system_vgpr_workitem_id 0
		.amdhsa_next_free_vgpr 1
		.amdhsa_next_free_sgpr 0
		.amdhsa_accum_offset 4
		.amdhsa_reserve_vcc 0
		.amdhsa_float_round_mode_32 0
		.amdhsa_float_round_mode_16_64 0
		.amdhsa_float_denorm_mode_32 3
		.amdhsa_float_denorm_mode_16_64 3
		.amdhsa_dx10_clamp 1
		.amdhsa_ieee_mode 1
		.amdhsa_fp16_overflow 0
		.amdhsa_tg_split 0
		.amdhsa_exception_fp_ieee_invalid_op 0
		.amdhsa_exception_fp_denorm_src 0
		.amdhsa_exception_fp_ieee_div_zero 0
		.amdhsa_exception_fp_ieee_overflow 0
		.amdhsa_exception_fp_ieee_underflow 0
		.amdhsa_exception_fp_ieee_inexact 0
		.amdhsa_exception_int_div_zero 0
	.end_amdhsa_kernel
	.section	.text._ZN7rocprim17ROCPRIM_400000_NS6detail17trampoline_kernelINS0_14default_configENS1_25transform_config_selectorIaLb0EEEZNS1_14transform_implILb0ES3_S5_NS0_18transform_iteratorINS0_17counting_iteratorImlEEZNS1_24adjacent_difference_implIS3_Lb1ELb0EPaN6thrust23THRUST_200600_302600_NS16discard_iteratorINSD_11use_defaultEEENSD_5minusIaEEEE10hipError_tPvRmT2_T3_mT4_P12ihipStream_tbEUlmE_aEESB_NS0_8identityIvEEEESJ_SM_SN_mSO_SQ_bEUlT_E_NS1_11comp_targetILNS1_3genE3ELNS1_11target_archE908ELNS1_3gpuE7ELNS1_3repE0EEENS1_30default_config_static_selectorELNS0_4arch9wavefront6targetE1EEEvT1_,"axG",@progbits,_ZN7rocprim17ROCPRIM_400000_NS6detail17trampoline_kernelINS0_14default_configENS1_25transform_config_selectorIaLb0EEEZNS1_14transform_implILb0ES3_S5_NS0_18transform_iteratorINS0_17counting_iteratorImlEEZNS1_24adjacent_difference_implIS3_Lb1ELb0EPaN6thrust23THRUST_200600_302600_NS16discard_iteratorINSD_11use_defaultEEENSD_5minusIaEEEE10hipError_tPvRmT2_T3_mT4_P12ihipStream_tbEUlmE_aEESB_NS0_8identityIvEEEESJ_SM_SN_mSO_SQ_bEUlT_E_NS1_11comp_targetILNS1_3genE3ELNS1_11target_archE908ELNS1_3gpuE7ELNS1_3repE0EEENS1_30default_config_static_selectorELNS0_4arch9wavefront6targetE1EEEvT1_,comdat
.Lfunc_end669:
	.size	_ZN7rocprim17ROCPRIM_400000_NS6detail17trampoline_kernelINS0_14default_configENS1_25transform_config_selectorIaLb0EEEZNS1_14transform_implILb0ES3_S5_NS0_18transform_iteratorINS0_17counting_iteratorImlEEZNS1_24adjacent_difference_implIS3_Lb1ELb0EPaN6thrust23THRUST_200600_302600_NS16discard_iteratorINSD_11use_defaultEEENSD_5minusIaEEEE10hipError_tPvRmT2_T3_mT4_P12ihipStream_tbEUlmE_aEESB_NS0_8identityIvEEEESJ_SM_SN_mSO_SQ_bEUlT_E_NS1_11comp_targetILNS1_3genE3ELNS1_11target_archE908ELNS1_3gpuE7ELNS1_3repE0EEENS1_30default_config_static_selectorELNS0_4arch9wavefront6targetE1EEEvT1_, .Lfunc_end669-_ZN7rocprim17ROCPRIM_400000_NS6detail17trampoline_kernelINS0_14default_configENS1_25transform_config_selectorIaLb0EEEZNS1_14transform_implILb0ES3_S5_NS0_18transform_iteratorINS0_17counting_iteratorImlEEZNS1_24adjacent_difference_implIS3_Lb1ELb0EPaN6thrust23THRUST_200600_302600_NS16discard_iteratorINSD_11use_defaultEEENSD_5minusIaEEEE10hipError_tPvRmT2_T3_mT4_P12ihipStream_tbEUlmE_aEESB_NS0_8identityIvEEEESJ_SM_SN_mSO_SQ_bEUlT_E_NS1_11comp_targetILNS1_3genE3ELNS1_11target_archE908ELNS1_3gpuE7ELNS1_3repE0EEENS1_30default_config_static_selectorELNS0_4arch9wavefront6targetE1EEEvT1_
                                        ; -- End function
	.section	.AMDGPU.csdata,"",@progbits
; Kernel info:
; codeLenInByte = 0
; NumSgprs: 6
; NumVgprs: 0
; NumAgprs: 0
; TotalNumVgprs: 0
; ScratchSize: 0
; MemoryBound: 0
; FloatMode: 240
; IeeeMode: 1
; LDSByteSize: 0 bytes/workgroup (compile time only)
; SGPRBlocks: 0
; VGPRBlocks: 0
; NumSGPRsForWavesPerEU: 6
; NumVGPRsForWavesPerEU: 1
; AccumOffset: 4
; Occupancy: 8
; WaveLimiterHint : 0
; COMPUTE_PGM_RSRC2:SCRATCH_EN: 0
; COMPUTE_PGM_RSRC2:USER_SGPR: 2
; COMPUTE_PGM_RSRC2:TRAP_HANDLER: 0
; COMPUTE_PGM_RSRC2:TGID_X_EN: 1
; COMPUTE_PGM_RSRC2:TGID_Y_EN: 0
; COMPUTE_PGM_RSRC2:TGID_Z_EN: 0
; COMPUTE_PGM_RSRC2:TIDIG_COMP_CNT: 0
; COMPUTE_PGM_RSRC3_GFX90A:ACCUM_OFFSET: 0
; COMPUTE_PGM_RSRC3_GFX90A:TG_SPLIT: 0
	.section	.text._ZN7rocprim17ROCPRIM_400000_NS6detail17trampoline_kernelINS0_14default_configENS1_25transform_config_selectorIaLb0EEEZNS1_14transform_implILb0ES3_S5_NS0_18transform_iteratorINS0_17counting_iteratorImlEEZNS1_24adjacent_difference_implIS3_Lb1ELb0EPaN6thrust23THRUST_200600_302600_NS16discard_iteratorINSD_11use_defaultEEENSD_5minusIaEEEE10hipError_tPvRmT2_T3_mT4_P12ihipStream_tbEUlmE_aEESB_NS0_8identityIvEEEESJ_SM_SN_mSO_SQ_bEUlT_E_NS1_11comp_targetILNS1_3genE2ELNS1_11target_archE906ELNS1_3gpuE6ELNS1_3repE0EEENS1_30default_config_static_selectorELNS0_4arch9wavefront6targetE1EEEvT1_,"axG",@progbits,_ZN7rocprim17ROCPRIM_400000_NS6detail17trampoline_kernelINS0_14default_configENS1_25transform_config_selectorIaLb0EEEZNS1_14transform_implILb0ES3_S5_NS0_18transform_iteratorINS0_17counting_iteratorImlEEZNS1_24adjacent_difference_implIS3_Lb1ELb0EPaN6thrust23THRUST_200600_302600_NS16discard_iteratorINSD_11use_defaultEEENSD_5minusIaEEEE10hipError_tPvRmT2_T3_mT4_P12ihipStream_tbEUlmE_aEESB_NS0_8identityIvEEEESJ_SM_SN_mSO_SQ_bEUlT_E_NS1_11comp_targetILNS1_3genE2ELNS1_11target_archE906ELNS1_3gpuE6ELNS1_3repE0EEENS1_30default_config_static_selectorELNS0_4arch9wavefront6targetE1EEEvT1_,comdat
	.protected	_ZN7rocprim17ROCPRIM_400000_NS6detail17trampoline_kernelINS0_14default_configENS1_25transform_config_selectorIaLb0EEEZNS1_14transform_implILb0ES3_S5_NS0_18transform_iteratorINS0_17counting_iteratorImlEEZNS1_24adjacent_difference_implIS3_Lb1ELb0EPaN6thrust23THRUST_200600_302600_NS16discard_iteratorINSD_11use_defaultEEENSD_5minusIaEEEE10hipError_tPvRmT2_T3_mT4_P12ihipStream_tbEUlmE_aEESB_NS0_8identityIvEEEESJ_SM_SN_mSO_SQ_bEUlT_E_NS1_11comp_targetILNS1_3genE2ELNS1_11target_archE906ELNS1_3gpuE6ELNS1_3repE0EEENS1_30default_config_static_selectorELNS0_4arch9wavefront6targetE1EEEvT1_ ; -- Begin function _ZN7rocprim17ROCPRIM_400000_NS6detail17trampoline_kernelINS0_14default_configENS1_25transform_config_selectorIaLb0EEEZNS1_14transform_implILb0ES3_S5_NS0_18transform_iteratorINS0_17counting_iteratorImlEEZNS1_24adjacent_difference_implIS3_Lb1ELb0EPaN6thrust23THRUST_200600_302600_NS16discard_iteratorINSD_11use_defaultEEENSD_5minusIaEEEE10hipError_tPvRmT2_T3_mT4_P12ihipStream_tbEUlmE_aEESB_NS0_8identityIvEEEESJ_SM_SN_mSO_SQ_bEUlT_E_NS1_11comp_targetILNS1_3genE2ELNS1_11target_archE906ELNS1_3gpuE6ELNS1_3repE0EEENS1_30default_config_static_selectorELNS0_4arch9wavefront6targetE1EEEvT1_
	.globl	_ZN7rocprim17ROCPRIM_400000_NS6detail17trampoline_kernelINS0_14default_configENS1_25transform_config_selectorIaLb0EEEZNS1_14transform_implILb0ES3_S5_NS0_18transform_iteratorINS0_17counting_iteratorImlEEZNS1_24adjacent_difference_implIS3_Lb1ELb0EPaN6thrust23THRUST_200600_302600_NS16discard_iteratorINSD_11use_defaultEEENSD_5minusIaEEEE10hipError_tPvRmT2_T3_mT4_P12ihipStream_tbEUlmE_aEESB_NS0_8identityIvEEEESJ_SM_SN_mSO_SQ_bEUlT_E_NS1_11comp_targetILNS1_3genE2ELNS1_11target_archE906ELNS1_3gpuE6ELNS1_3repE0EEENS1_30default_config_static_selectorELNS0_4arch9wavefront6targetE1EEEvT1_
	.p2align	8
	.type	_ZN7rocprim17ROCPRIM_400000_NS6detail17trampoline_kernelINS0_14default_configENS1_25transform_config_selectorIaLb0EEEZNS1_14transform_implILb0ES3_S5_NS0_18transform_iteratorINS0_17counting_iteratorImlEEZNS1_24adjacent_difference_implIS3_Lb1ELb0EPaN6thrust23THRUST_200600_302600_NS16discard_iteratorINSD_11use_defaultEEENSD_5minusIaEEEE10hipError_tPvRmT2_T3_mT4_P12ihipStream_tbEUlmE_aEESB_NS0_8identityIvEEEESJ_SM_SN_mSO_SQ_bEUlT_E_NS1_11comp_targetILNS1_3genE2ELNS1_11target_archE906ELNS1_3gpuE6ELNS1_3repE0EEENS1_30default_config_static_selectorELNS0_4arch9wavefront6targetE1EEEvT1_,@function
_ZN7rocprim17ROCPRIM_400000_NS6detail17trampoline_kernelINS0_14default_configENS1_25transform_config_selectorIaLb0EEEZNS1_14transform_implILb0ES3_S5_NS0_18transform_iteratorINS0_17counting_iteratorImlEEZNS1_24adjacent_difference_implIS3_Lb1ELb0EPaN6thrust23THRUST_200600_302600_NS16discard_iteratorINSD_11use_defaultEEENSD_5minusIaEEEE10hipError_tPvRmT2_T3_mT4_P12ihipStream_tbEUlmE_aEESB_NS0_8identityIvEEEESJ_SM_SN_mSO_SQ_bEUlT_E_NS1_11comp_targetILNS1_3genE2ELNS1_11target_archE906ELNS1_3gpuE6ELNS1_3repE0EEENS1_30default_config_static_selectorELNS0_4arch9wavefront6targetE1EEEvT1_: ; @_ZN7rocprim17ROCPRIM_400000_NS6detail17trampoline_kernelINS0_14default_configENS1_25transform_config_selectorIaLb0EEEZNS1_14transform_implILb0ES3_S5_NS0_18transform_iteratorINS0_17counting_iteratorImlEEZNS1_24adjacent_difference_implIS3_Lb1ELb0EPaN6thrust23THRUST_200600_302600_NS16discard_iteratorINSD_11use_defaultEEENSD_5minusIaEEEE10hipError_tPvRmT2_T3_mT4_P12ihipStream_tbEUlmE_aEESB_NS0_8identityIvEEEESJ_SM_SN_mSO_SQ_bEUlT_E_NS1_11comp_targetILNS1_3genE2ELNS1_11target_archE906ELNS1_3gpuE6ELNS1_3repE0EEENS1_30default_config_static_selectorELNS0_4arch9wavefront6targetE1EEEvT1_
; %bb.0:
	.section	.rodata,"a",@progbits
	.p2align	6, 0x0
	.amdhsa_kernel _ZN7rocprim17ROCPRIM_400000_NS6detail17trampoline_kernelINS0_14default_configENS1_25transform_config_selectorIaLb0EEEZNS1_14transform_implILb0ES3_S5_NS0_18transform_iteratorINS0_17counting_iteratorImlEEZNS1_24adjacent_difference_implIS3_Lb1ELb0EPaN6thrust23THRUST_200600_302600_NS16discard_iteratorINSD_11use_defaultEEENSD_5minusIaEEEE10hipError_tPvRmT2_T3_mT4_P12ihipStream_tbEUlmE_aEESB_NS0_8identityIvEEEESJ_SM_SN_mSO_SQ_bEUlT_E_NS1_11comp_targetILNS1_3genE2ELNS1_11target_archE906ELNS1_3gpuE6ELNS1_3repE0EEENS1_30default_config_static_selectorELNS0_4arch9wavefront6targetE1EEEvT1_
		.amdhsa_group_segment_fixed_size 0
		.amdhsa_private_segment_fixed_size 0
		.amdhsa_kernarg_size 56
		.amdhsa_user_sgpr_count 2
		.amdhsa_user_sgpr_dispatch_ptr 0
		.amdhsa_user_sgpr_queue_ptr 0
		.amdhsa_user_sgpr_kernarg_segment_ptr 1
		.amdhsa_user_sgpr_dispatch_id 0
		.amdhsa_user_sgpr_kernarg_preload_length 0
		.amdhsa_user_sgpr_kernarg_preload_offset 0
		.amdhsa_user_sgpr_private_segment_size 0
		.amdhsa_uses_dynamic_stack 0
		.amdhsa_enable_private_segment 0
		.amdhsa_system_sgpr_workgroup_id_x 1
		.amdhsa_system_sgpr_workgroup_id_y 0
		.amdhsa_system_sgpr_workgroup_id_z 0
		.amdhsa_system_sgpr_workgroup_info 0
		.amdhsa_system_vgpr_workitem_id 0
		.amdhsa_next_free_vgpr 1
		.amdhsa_next_free_sgpr 0
		.amdhsa_accum_offset 4
		.amdhsa_reserve_vcc 0
		.amdhsa_float_round_mode_32 0
		.amdhsa_float_round_mode_16_64 0
		.amdhsa_float_denorm_mode_32 3
		.amdhsa_float_denorm_mode_16_64 3
		.amdhsa_dx10_clamp 1
		.amdhsa_ieee_mode 1
		.amdhsa_fp16_overflow 0
		.amdhsa_tg_split 0
		.amdhsa_exception_fp_ieee_invalid_op 0
		.amdhsa_exception_fp_denorm_src 0
		.amdhsa_exception_fp_ieee_div_zero 0
		.amdhsa_exception_fp_ieee_overflow 0
		.amdhsa_exception_fp_ieee_underflow 0
		.amdhsa_exception_fp_ieee_inexact 0
		.amdhsa_exception_int_div_zero 0
	.end_amdhsa_kernel
	.section	.text._ZN7rocprim17ROCPRIM_400000_NS6detail17trampoline_kernelINS0_14default_configENS1_25transform_config_selectorIaLb0EEEZNS1_14transform_implILb0ES3_S5_NS0_18transform_iteratorINS0_17counting_iteratorImlEEZNS1_24adjacent_difference_implIS3_Lb1ELb0EPaN6thrust23THRUST_200600_302600_NS16discard_iteratorINSD_11use_defaultEEENSD_5minusIaEEEE10hipError_tPvRmT2_T3_mT4_P12ihipStream_tbEUlmE_aEESB_NS0_8identityIvEEEESJ_SM_SN_mSO_SQ_bEUlT_E_NS1_11comp_targetILNS1_3genE2ELNS1_11target_archE906ELNS1_3gpuE6ELNS1_3repE0EEENS1_30default_config_static_selectorELNS0_4arch9wavefront6targetE1EEEvT1_,"axG",@progbits,_ZN7rocprim17ROCPRIM_400000_NS6detail17trampoline_kernelINS0_14default_configENS1_25transform_config_selectorIaLb0EEEZNS1_14transform_implILb0ES3_S5_NS0_18transform_iteratorINS0_17counting_iteratorImlEEZNS1_24adjacent_difference_implIS3_Lb1ELb0EPaN6thrust23THRUST_200600_302600_NS16discard_iteratorINSD_11use_defaultEEENSD_5minusIaEEEE10hipError_tPvRmT2_T3_mT4_P12ihipStream_tbEUlmE_aEESB_NS0_8identityIvEEEESJ_SM_SN_mSO_SQ_bEUlT_E_NS1_11comp_targetILNS1_3genE2ELNS1_11target_archE906ELNS1_3gpuE6ELNS1_3repE0EEENS1_30default_config_static_selectorELNS0_4arch9wavefront6targetE1EEEvT1_,comdat
.Lfunc_end670:
	.size	_ZN7rocprim17ROCPRIM_400000_NS6detail17trampoline_kernelINS0_14default_configENS1_25transform_config_selectorIaLb0EEEZNS1_14transform_implILb0ES3_S5_NS0_18transform_iteratorINS0_17counting_iteratorImlEEZNS1_24adjacent_difference_implIS3_Lb1ELb0EPaN6thrust23THRUST_200600_302600_NS16discard_iteratorINSD_11use_defaultEEENSD_5minusIaEEEE10hipError_tPvRmT2_T3_mT4_P12ihipStream_tbEUlmE_aEESB_NS0_8identityIvEEEESJ_SM_SN_mSO_SQ_bEUlT_E_NS1_11comp_targetILNS1_3genE2ELNS1_11target_archE906ELNS1_3gpuE6ELNS1_3repE0EEENS1_30default_config_static_selectorELNS0_4arch9wavefront6targetE1EEEvT1_, .Lfunc_end670-_ZN7rocprim17ROCPRIM_400000_NS6detail17trampoline_kernelINS0_14default_configENS1_25transform_config_selectorIaLb0EEEZNS1_14transform_implILb0ES3_S5_NS0_18transform_iteratorINS0_17counting_iteratorImlEEZNS1_24adjacent_difference_implIS3_Lb1ELb0EPaN6thrust23THRUST_200600_302600_NS16discard_iteratorINSD_11use_defaultEEENSD_5minusIaEEEE10hipError_tPvRmT2_T3_mT4_P12ihipStream_tbEUlmE_aEESB_NS0_8identityIvEEEESJ_SM_SN_mSO_SQ_bEUlT_E_NS1_11comp_targetILNS1_3genE2ELNS1_11target_archE906ELNS1_3gpuE6ELNS1_3repE0EEENS1_30default_config_static_selectorELNS0_4arch9wavefront6targetE1EEEvT1_
                                        ; -- End function
	.section	.AMDGPU.csdata,"",@progbits
; Kernel info:
; codeLenInByte = 0
; NumSgprs: 6
; NumVgprs: 0
; NumAgprs: 0
; TotalNumVgprs: 0
; ScratchSize: 0
; MemoryBound: 0
; FloatMode: 240
; IeeeMode: 1
; LDSByteSize: 0 bytes/workgroup (compile time only)
; SGPRBlocks: 0
; VGPRBlocks: 0
; NumSGPRsForWavesPerEU: 6
; NumVGPRsForWavesPerEU: 1
; AccumOffset: 4
; Occupancy: 8
; WaveLimiterHint : 0
; COMPUTE_PGM_RSRC2:SCRATCH_EN: 0
; COMPUTE_PGM_RSRC2:USER_SGPR: 2
; COMPUTE_PGM_RSRC2:TRAP_HANDLER: 0
; COMPUTE_PGM_RSRC2:TGID_X_EN: 1
; COMPUTE_PGM_RSRC2:TGID_Y_EN: 0
; COMPUTE_PGM_RSRC2:TGID_Z_EN: 0
; COMPUTE_PGM_RSRC2:TIDIG_COMP_CNT: 0
; COMPUTE_PGM_RSRC3_GFX90A:ACCUM_OFFSET: 0
; COMPUTE_PGM_RSRC3_GFX90A:TG_SPLIT: 0
	.section	.text._ZN7rocprim17ROCPRIM_400000_NS6detail17trampoline_kernelINS0_14default_configENS1_25transform_config_selectorIaLb0EEEZNS1_14transform_implILb0ES3_S5_NS0_18transform_iteratorINS0_17counting_iteratorImlEEZNS1_24adjacent_difference_implIS3_Lb1ELb0EPaN6thrust23THRUST_200600_302600_NS16discard_iteratorINSD_11use_defaultEEENSD_5minusIaEEEE10hipError_tPvRmT2_T3_mT4_P12ihipStream_tbEUlmE_aEESB_NS0_8identityIvEEEESJ_SM_SN_mSO_SQ_bEUlT_E_NS1_11comp_targetILNS1_3genE10ELNS1_11target_archE1201ELNS1_3gpuE5ELNS1_3repE0EEENS1_30default_config_static_selectorELNS0_4arch9wavefront6targetE1EEEvT1_,"axG",@progbits,_ZN7rocprim17ROCPRIM_400000_NS6detail17trampoline_kernelINS0_14default_configENS1_25transform_config_selectorIaLb0EEEZNS1_14transform_implILb0ES3_S5_NS0_18transform_iteratorINS0_17counting_iteratorImlEEZNS1_24adjacent_difference_implIS3_Lb1ELb0EPaN6thrust23THRUST_200600_302600_NS16discard_iteratorINSD_11use_defaultEEENSD_5minusIaEEEE10hipError_tPvRmT2_T3_mT4_P12ihipStream_tbEUlmE_aEESB_NS0_8identityIvEEEESJ_SM_SN_mSO_SQ_bEUlT_E_NS1_11comp_targetILNS1_3genE10ELNS1_11target_archE1201ELNS1_3gpuE5ELNS1_3repE0EEENS1_30default_config_static_selectorELNS0_4arch9wavefront6targetE1EEEvT1_,comdat
	.protected	_ZN7rocprim17ROCPRIM_400000_NS6detail17trampoline_kernelINS0_14default_configENS1_25transform_config_selectorIaLb0EEEZNS1_14transform_implILb0ES3_S5_NS0_18transform_iteratorINS0_17counting_iteratorImlEEZNS1_24adjacent_difference_implIS3_Lb1ELb0EPaN6thrust23THRUST_200600_302600_NS16discard_iteratorINSD_11use_defaultEEENSD_5minusIaEEEE10hipError_tPvRmT2_T3_mT4_P12ihipStream_tbEUlmE_aEESB_NS0_8identityIvEEEESJ_SM_SN_mSO_SQ_bEUlT_E_NS1_11comp_targetILNS1_3genE10ELNS1_11target_archE1201ELNS1_3gpuE5ELNS1_3repE0EEENS1_30default_config_static_selectorELNS0_4arch9wavefront6targetE1EEEvT1_ ; -- Begin function _ZN7rocprim17ROCPRIM_400000_NS6detail17trampoline_kernelINS0_14default_configENS1_25transform_config_selectorIaLb0EEEZNS1_14transform_implILb0ES3_S5_NS0_18transform_iteratorINS0_17counting_iteratorImlEEZNS1_24adjacent_difference_implIS3_Lb1ELb0EPaN6thrust23THRUST_200600_302600_NS16discard_iteratorINSD_11use_defaultEEENSD_5minusIaEEEE10hipError_tPvRmT2_T3_mT4_P12ihipStream_tbEUlmE_aEESB_NS0_8identityIvEEEESJ_SM_SN_mSO_SQ_bEUlT_E_NS1_11comp_targetILNS1_3genE10ELNS1_11target_archE1201ELNS1_3gpuE5ELNS1_3repE0EEENS1_30default_config_static_selectorELNS0_4arch9wavefront6targetE1EEEvT1_
	.globl	_ZN7rocprim17ROCPRIM_400000_NS6detail17trampoline_kernelINS0_14default_configENS1_25transform_config_selectorIaLb0EEEZNS1_14transform_implILb0ES3_S5_NS0_18transform_iteratorINS0_17counting_iteratorImlEEZNS1_24adjacent_difference_implIS3_Lb1ELb0EPaN6thrust23THRUST_200600_302600_NS16discard_iteratorINSD_11use_defaultEEENSD_5minusIaEEEE10hipError_tPvRmT2_T3_mT4_P12ihipStream_tbEUlmE_aEESB_NS0_8identityIvEEEESJ_SM_SN_mSO_SQ_bEUlT_E_NS1_11comp_targetILNS1_3genE10ELNS1_11target_archE1201ELNS1_3gpuE5ELNS1_3repE0EEENS1_30default_config_static_selectorELNS0_4arch9wavefront6targetE1EEEvT1_
	.p2align	8
	.type	_ZN7rocprim17ROCPRIM_400000_NS6detail17trampoline_kernelINS0_14default_configENS1_25transform_config_selectorIaLb0EEEZNS1_14transform_implILb0ES3_S5_NS0_18transform_iteratorINS0_17counting_iteratorImlEEZNS1_24adjacent_difference_implIS3_Lb1ELb0EPaN6thrust23THRUST_200600_302600_NS16discard_iteratorINSD_11use_defaultEEENSD_5minusIaEEEE10hipError_tPvRmT2_T3_mT4_P12ihipStream_tbEUlmE_aEESB_NS0_8identityIvEEEESJ_SM_SN_mSO_SQ_bEUlT_E_NS1_11comp_targetILNS1_3genE10ELNS1_11target_archE1201ELNS1_3gpuE5ELNS1_3repE0EEENS1_30default_config_static_selectorELNS0_4arch9wavefront6targetE1EEEvT1_,@function
_ZN7rocprim17ROCPRIM_400000_NS6detail17trampoline_kernelINS0_14default_configENS1_25transform_config_selectorIaLb0EEEZNS1_14transform_implILb0ES3_S5_NS0_18transform_iteratorINS0_17counting_iteratorImlEEZNS1_24adjacent_difference_implIS3_Lb1ELb0EPaN6thrust23THRUST_200600_302600_NS16discard_iteratorINSD_11use_defaultEEENSD_5minusIaEEEE10hipError_tPvRmT2_T3_mT4_P12ihipStream_tbEUlmE_aEESB_NS0_8identityIvEEEESJ_SM_SN_mSO_SQ_bEUlT_E_NS1_11comp_targetILNS1_3genE10ELNS1_11target_archE1201ELNS1_3gpuE5ELNS1_3repE0EEENS1_30default_config_static_selectorELNS0_4arch9wavefront6targetE1EEEvT1_: ; @_ZN7rocprim17ROCPRIM_400000_NS6detail17trampoline_kernelINS0_14default_configENS1_25transform_config_selectorIaLb0EEEZNS1_14transform_implILb0ES3_S5_NS0_18transform_iteratorINS0_17counting_iteratorImlEEZNS1_24adjacent_difference_implIS3_Lb1ELb0EPaN6thrust23THRUST_200600_302600_NS16discard_iteratorINSD_11use_defaultEEENSD_5minusIaEEEE10hipError_tPvRmT2_T3_mT4_P12ihipStream_tbEUlmE_aEESB_NS0_8identityIvEEEESJ_SM_SN_mSO_SQ_bEUlT_E_NS1_11comp_targetILNS1_3genE10ELNS1_11target_archE1201ELNS1_3gpuE5ELNS1_3repE0EEENS1_30default_config_static_selectorELNS0_4arch9wavefront6targetE1EEEvT1_
; %bb.0:
	.section	.rodata,"a",@progbits
	.p2align	6, 0x0
	.amdhsa_kernel _ZN7rocprim17ROCPRIM_400000_NS6detail17trampoline_kernelINS0_14default_configENS1_25transform_config_selectorIaLb0EEEZNS1_14transform_implILb0ES3_S5_NS0_18transform_iteratorINS0_17counting_iteratorImlEEZNS1_24adjacent_difference_implIS3_Lb1ELb0EPaN6thrust23THRUST_200600_302600_NS16discard_iteratorINSD_11use_defaultEEENSD_5minusIaEEEE10hipError_tPvRmT2_T3_mT4_P12ihipStream_tbEUlmE_aEESB_NS0_8identityIvEEEESJ_SM_SN_mSO_SQ_bEUlT_E_NS1_11comp_targetILNS1_3genE10ELNS1_11target_archE1201ELNS1_3gpuE5ELNS1_3repE0EEENS1_30default_config_static_selectorELNS0_4arch9wavefront6targetE1EEEvT1_
		.amdhsa_group_segment_fixed_size 0
		.amdhsa_private_segment_fixed_size 0
		.amdhsa_kernarg_size 56
		.amdhsa_user_sgpr_count 2
		.amdhsa_user_sgpr_dispatch_ptr 0
		.amdhsa_user_sgpr_queue_ptr 0
		.amdhsa_user_sgpr_kernarg_segment_ptr 1
		.amdhsa_user_sgpr_dispatch_id 0
		.amdhsa_user_sgpr_kernarg_preload_length 0
		.amdhsa_user_sgpr_kernarg_preload_offset 0
		.amdhsa_user_sgpr_private_segment_size 0
		.amdhsa_uses_dynamic_stack 0
		.amdhsa_enable_private_segment 0
		.amdhsa_system_sgpr_workgroup_id_x 1
		.amdhsa_system_sgpr_workgroup_id_y 0
		.amdhsa_system_sgpr_workgroup_id_z 0
		.amdhsa_system_sgpr_workgroup_info 0
		.amdhsa_system_vgpr_workitem_id 0
		.amdhsa_next_free_vgpr 1
		.amdhsa_next_free_sgpr 0
		.amdhsa_accum_offset 4
		.amdhsa_reserve_vcc 0
		.amdhsa_float_round_mode_32 0
		.amdhsa_float_round_mode_16_64 0
		.amdhsa_float_denorm_mode_32 3
		.amdhsa_float_denorm_mode_16_64 3
		.amdhsa_dx10_clamp 1
		.amdhsa_ieee_mode 1
		.amdhsa_fp16_overflow 0
		.amdhsa_tg_split 0
		.amdhsa_exception_fp_ieee_invalid_op 0
		.amdhsa_exception_fp_denorm_src 0
		.amdhsa_exception_fp_ieee_div_zero 0
		.amdhsa_exception_fp_ieee_overflow 0
		.amdhsa_exception_fp_ieee_underflow 0
		.amdhsa_exception_fp_ieee_inexact 0
		.amdhsa_exception_int_div_zero 0
	.end_amdhsa_kernel
	.section	.text._ZN7rocprim17ROCPRIM_400000_NS6detail17trampoline_kernelINS0_14default_configENS1_25transform_config_selectorIaLb0EEEZNS1_14transform_implILb0ES3_S5_NS0_18transform_iteratorINS0_17counting_iteratorImlEEZNS1_24adjacent_difference_implIS3_Lb1ELb0EPaN6thrust23THRUST_200600_302600_NS16discard_iteratorINSD_11use_defaultEEENSD_5minusIaEEEE10hipError_tPvRmT2_T3_mT4_P12ihipStream_tbEUlmE_aEESB_NS0_8identityIvEEEESJ_SM_SN_mSO_SQ_bEUlT_E_NS1_11comp_targetILNS1_3genE10ELNS1_11target_archE1201ELNS1_3gpuE5ELNS1_3repE0EEENS1_30default_config_static_selectorELNS0_4arch9wavefront6targetE1EEEvT1_,"axG",@progbits,_ZN7rocprim17ROCPRIM_400000_NS6detail17trampoline_kernelINS0_14default_configENS1_25transform_config_selectorIaLb0EEEZNS1_14transform_implILb0ES3_S5_NS0_18transform_iteratorINS0_17counting_iteratorImlEEZNS1_24adjacent_difference_implIS3_Lb1ELb0EPaN6thrust23THRUST_200600_302600_NS16discard_iteratorINSD_11use_defaultEEENSD_5minusIaEEEE10hipError_tPvRmT2_T3_mT4_P12ihipStream_tbEUlmE_aEESB_NS0_8identityIvEEEESJ_SM_SN_mSO_SQ_bEUlT_E_NS1_11comp_targetILNS1_3genE10ELNS1_11target_archE1201ELNS1_3gpuE5ELNS1_3repE0EEENS1_30default_config_static_selectorELNS0_4arch9wavefront6targetE1EEEvT1_,comdat
.Lfunc_end671:
	.size	_ZN7rocprim17ROCPRIM_400000_NS6detail17trampoline_kernelINS0_14default_configENS1_25transform_config_selectorIaLb0EEEZNS1_14transform_implILb0ES3_S5_NS0_18transform_iteratorINS0_17counting_iteratorImlEEZNS1_24adjacent_difference_implIS3_Lb1ELb0EPaN6thrust23THRUST_200600_302600_NS16discard_iteratorINSD_11use_defaultEEENSD_5minusIaEEEE10hipError_tPvRmT2_T3_mT4_P12ihipStream_tbEUlmE_aEESB_NS0_8identityIvEEEESJ_SM_SN_mSO_SQ_bEUlT_E_NS1_11comp_targetILNS1_3genE10ELNS1_11target_archE1201ELNS1_3gpuE5ELNS1_3repE0EEENS1_30default_config_static_selectorELNS0_4arch9wavefront6targetE1EEEvT1_, .Lfunc_end671-_ZN7rocprim17ROCPRIM_400000_NS6detail17trampoline_kernelINS0_14default_configENS1_25transform_config_selectorIaLb0EEEZNS1_14transform_implILb0ES3_S5_NS0_18transform_iteratorINS0_17counting_iteratorImlEEZNS1_24adjacent_difference_implIS3_Lb1ELb0EPaN6thrust23THRUST_200600_302600_NS16discard_iteratorINSD_11use_defaultEEENSD_5minusIaEEEE10hipError_tPvRmT2_T3_mT4_P12ihipStream_tbEUlmE_aEESB_NS0_8identityIvEEEESJ_SM_SN_mSO_SQ_bEUlT_E_NS1_11comp_targetILNS1_3genE10ELNS1_11target_archE1201ELNS1_3gpuE5ELNS1_3repE0EEENS1_30default_config_static_selectorELNS0_4arch9wavefront6targetE1EEEvT1_
                                        ; -- End function
	.section	.AMDGPU.csdata,"",@progbits
; Kernel info:
; codeLenInByte = 0
; NumSgprs: 6
; NumVgprs: 0
; NumAgprs: 0
; TotalNumVgprs: 0
; ScratchSize: 0
; MemoryBound: 0
; FloatMode: 240
; IeeeMode: 1
; LDSByteSize: 0 bytes/workgroup (compile time only)
; SGPRBlocks: 0
; VGPRBlocks: 0
; NumSGPRsForWavesPerEU: 6
; NumVGPRsForWavesPerEU: 1
; AccumOffset: 4
; Occupancy: 8
; WaveLimiterHint : 0
; COMPUTE_PGM_RSRC2:SCRATCH_EN: 0
; COMPUTE_PGM_RSRC2:USER_SGPR: 2
; COMPUTE_PGM_RSRC2:TRAP_HANDLER: 0
; COMPUTE_PGM_RSRC2:TGID_X_EN: 1
; COMPUTE_PGM_RSRC2:TGID_Y_EN: 0
; COMPUTE_PGM_RSRC2:TGID_Z_EN: 0
; COMPUTE_PGM_RSRC2:TIDIG_COMP_CNT: 0
; COMPUTE_PGM_RSRC3_GFX90A:ACCUM_OFFSET: 0
; COMPUTE_PGM_RSRC3_GFX90A:TG_SPLIT: 0
	.section	.text._ZN7rocprim17ROCPRIM_400000_NS6detail17trampoline_kernelINS0_14default_configENS1_25transform_config_selectorIaLb0EEEZNS1_14transform_implILb0ES3_S5_NS0_18transform_iteratorINS0_17counting_iteratorImlEEZNS1_24adjacent_difference_implIS3_Lb1ELb0EPaN6thrust23THRUST_200600_302600_NS16discard_iteratorINSD_11use_defaultEEENSD_5minusIaEEEE10hipError_tPvRmT2_T3_mT4_P12ihipStream_tbEUlmE_aEESB_NS0_8identityIvEEEESJ_SM_SN_mSO_SQ_bEUlT_E_NS1_11comp_targetILNS1_3genE10ELNS1_11target_archE1200ELNS1_3gpuE4ELNS1_3repE0EEENS1_30default_config_static_selectorELNS0_4arch9wavefront6targetE1EEEvT1_,"axG",@progbits,_ZN7rocprim17ROCPRIM_400000_NS6detail17trampoline_kernelINS0_14default_configENS1_25transform_config_selectorIaLb0EEEZNS1_14transform_implILb0ES3_S5_NS0_18transform_iteratorINS0_17counting_iteratorImlEEZNS1_24adjacent_difference_implIS3_Lb1ELb0EPaN6thrust23THRUST_200600_302600_NS16discard_iteratorINSD_11use_defaultEEENSD_5minusIaEEEE10hipError_tPvRmT2_T3_mT4_P12ihipStream_tbEUlmE_aEESB_NS0_8identityIvEEEESJ_SM_SN_mSO_SQ_bEUlT_E_NS1_11comp_targetILNS1_3genE10ELNS1_11target_archE1200ELNS1_3gpuE4ELNS1_3repE0EEENS1_30default_config_static_selectorELNS0_4arch9wavefront6targetE1EEEvT1_,comdat
	.protected	_ZN7rocprim17ROCPRIM_400000_NS6detail17trampoline_kernelINS0_14default_configENS1_25transform_config_selectorIaLb0EEEZNS1_14transform_implILb0ES3_S5_NS0_18transform_iteratorINS0_17counting_iteratorImlEEZNS1_24adjacent_difference_implIS3_Lb1ELb0EPaN6thrust23THRUST_200600_302600_NS16discard_iteratorINSD_11use_defaultEEENSD_5minusIaEEEE10hipError_tPvRmT2_T3_mT4_P12ihipStream_tbEUlmE_aEESB_NS0_8identityIvEEEESJ_SM_SN_mSO_SQ_bEUlT_E_NS1_11comp_targetILNS1_3genE10ELNS1_11target_archE1200ELNS1_3gpuE4ELNS1_3repE0EEENS1_30default_config_static_selectorELNS0_4arch9wavefront6targetE1EEEvT1_ ; -- Begin function _ZN7rocprim17ROCPRIM_400000_NS6detail17trampoline_kernelINS0_14default_configENS1_25transform_config_selectorIaLb0EEEZNS1_14transform_implILb0ES3_S5_NS0_18transform_iteratorINS0_17counting_iteratorImlEEZNS1_24adjacent_difference_implIS3_Lb1ELb0EPaN6thrust23THRUST_200600_302600_NS16discard_iteratorINSD_11use_defaultEEENSD_5minusIaEEEE10hipError_tPvRmT2_T3_mT4_P12ihipStream_tbEUlmE_aEESB_NS0_8identityIvEEEESJ_SM_SN_mSO_SQ_bEUlT_E_NS1_11comp_targetILNS1_3genE10ELNS1_11target_archE1200ELNS1_3gpuE4ELNS1_3repE0EEENS1_30default_config_static_selectorELNS0_4arch9wavefront6targetE1EEEvT1_
	.globl	_ZN7rocprim17ROCPRIM_400000_NS6detail17trampoline_kernelINS0_14default_configENS1_25transform_config_selectorIaLb0EEEZNS1_14transform_implILb0ES3_S5_NS0_18transform_iteratorINS0_17counting_iteratorImlEEZNS1_24adjacent_difference_implIS3_Lb1ELb0EPaN6thrust23THRUST_200600_302600_NS16discard_iteratorINSD_11use_defaultEEENSD_5minusIaEEEE10hipError_tPvRmT2_T3_mT4_P12ihipStream_tbEUlmE_aEESB_NS0_8identityIvEEEESJ_SM_SN_mSO_SQ_bEUlT_E_NS1_11comp_targetILNS1_3genE10ELNS1_11target_archE1200ELNS1_3gpuE4ELNS1_3repE0EEENS1_30default_config_static_selectorELNS0_4arch9wavefront6targetE1EEEvT1_
	.p2align	8
	.type	_ZN7rocprim17ROCPRIM_400000_NS6detail17trampoline_kernelINS0_14default_configENS1_25transform_config_selectorIaLb0EEEZNS1_14transform_implILb0ES3_S5_NS0_18transform_iteratorINS0_17counting_iteratorImlEEZNS1_24adjacent_difference_implIS3_Lb1ELb0EPaN6thrust23THRUST_200600_302600_NS16discard_iteratorINSD_11use_defaultEEENSD_5minusIaEEEE10hipError_tPvRmT2_T3_mT4_P12ihipStream_tbEUlmE_aEESB_NS0_8identityIvEEEESJ_SM_SN_mSO_SQ_bEUlT_E_NS1_11comp_targetILNS1_3genE10ELNS1_11target_archE1200ELNS1_3gpuE4ELNS1_3repE0EEENS1_30default_config_static_selectorELNS0_4arch9wavefront6targetE1EEEvT1_,@function
_ZN7rocprim17ROCPRIM_400000_NS6detail17trampoline_kernelINS0_14default_configENS1_25transform_config_selectorIaLb0EEEZNS1_14transform_implILb0ES3_S5_NS0_18transform_iteratorINS0_17counting_iteratorImlEEZNS1_24adjacent_difference_implIS3_Lb1ELb0EPaN6thrust23THRUST_200600_302600_NS16discard_iteratorINSD_11use_defaultEEENSD_5minusIaEEEE10hipError_tPvRmT2_T3_mT4_P12ihipStream_tbEUlmE_aEESB_NS0_8identityIvEEEESJ_SM_SN_mSO_SQ_bEUlT_E_NS1_11comp_targetILNS1_3genE10ELNS1_11target_archE1200ELNS1_3gpuE4ELNS1_3repE0EEENS1_30default_config_static_selectorELNS0_4arch9wavefront6targetE1EEEvT1_: ; @_ZN7rocprim17ROCPRIM_400000_NS6detail17trampoline_kernelINS0_14default_configENS1_25transform_config_selectorIaLb0EEEZNS1_14transform_implILb0ES3_S5_NS0_18transform_iteratorINS0_17counting_iteratorImlEEZNS1_24adjacent_difference_implIS3_Lb1ELb0EPaN6thrust23THRUST_200600_302600_NS16discard_iteratorINSD_11use_defaultEEENSD_5minusIaEEEE10hipError_tPvRmT2_T3_mT4_P12ihipStream_tbEUlmE_aEESB_NS0_8identityIvEEEESJ_SM_SN_mSO_SQ_bEUlT_E_NS1_11comp_targetILNS1_3genE10ELNS1_11target_archE1200ELNS1_3gpuE4ELNS1_3repE0EEENS1_30default_config_static_selectorELNS0_4arch9wavefront6targetE1EEEvT1_
; %bb.0:
	.section	.rodata,"a",@progbits
	.p2align	6, 0x0
	.amdhsa_kernel _ZN7rocprim17ROCPRIM_400000_NS6detail17trampoline_kernelINS0_14default_configENS1_25transform_config_selectorIaLb0EEEZNS1_14transform_implILb0ES3_S5_NS0_18transform_iteratorINS0_17counting_iteratorImlEEZNS1_24adjacent_difference_implIS3_Lb1ELb0EPaN6thrust23THRUST_200600_302600_NS16discard_iteratorINSD_11use_defaultEEENSD_5minusIaEEEE10hipError_tPvRmT2_T3_mT4_P12ihipStream_tbEUlmE_aEESB_NS0_8identityIvEEEESJ_SM_SN_mSO_SQ_bEUlT_E_NS1_11comp_targetILNS1_3genE10ELNS1_11target_archE1200ELNS1_3gpuE4ELNS1_3repE0EEENS1_30default_config_static_selectorELNS0_4arch9wavefront6targetE1EEEvT1_
		.amdhsa_group_segment_fixed_size 0
		.amdhsa_private_segment_fixed_size 0
		.amdhsa_kernarg_size 56
		.amdhsa_user_sgpr_count 2
		.amdhsa_user_sgpr_dispatch_ptr 0
		.amdhsa_user_sgpr_queue_ptr 0
		.amdhsa_user_sgpr_kernarg_segment_ptr 1
		.amdhsa_user_sgpr_dispatch_id 0
		.amdhsa_user_sgpr_kernarg_preload_length 0
		.amdhsa_user_sgpr_kernarg_preload_offset 0
		.amdhsa_user_sgpr_private_segment_size 0
		.amdhsa_uses_dynamic_stack 0
		.amdhsa_enable_private_segment 0
		.amdhsa_system_sgpr_workgroup_id_x 1
		.amdhsa_system_sgpr_workgroup_id_y 0
		.amdhsa_system_sgpr_workgroup_id_z 0
		.amdhsa_system_sgpr_workgroup_info 0
		.amdhsa_system_vgpr_workitem_id 0
		.amdhsa_next_free_vgpr 1
		.amdhsa_next_free_sgpr 0
		.amdhsa_accum_offset 4
		.amdhsa_reserve_vcc 0
		.amdhsa_float_round_mode_32 0
		.amdhsa_float_round_mode_16_64 0
		.amdhsa_float_denorm_mode_32 3
		.amdhsa_float_denorm_mode_16_64 3
		.amdhsa_dx10_clamp 1
		.amdhsa_ieee_mode 1
		.amdhsa_fp16_overflow 0
		.amdhsa_tg_split 0
		.amdhsa_exception_fp_ieee_invalid_op 0
		.amdhsa_exception_fp_denorm_src 0
		.amdhsa_exception_fp_ieee_div_zero 0
		.amdhsa_exception_fp_ieee_overflow 0
		.amdhsa_exception_fp_ieee_underflow 0
		.amdhsa_exception_fp_ieee_inexact 0
		.amdhsa_exception_int_div_zero 0
	.end_amdhsa_kernel
	.section	.text._ZN7rocprim17ROCPRIM_400000_NS6detail17trampoline_kernelINS0_14default_configENS1_25transform_config_selectorIaLb0EEEZNS1_14transform_implILb0ES3_S5_NS0_18transform_iteratorINS0_17counting_iteratorImlEEZNS1_24adjacent_difference_implIS3_Lb1ELb0EPaN6thrust23THRUST_200600_302600_NS16discard_iteratorINSD_11use_defaultEEENSD_5minusIaEEEE10hipError_tPvRmT2_T3_mT4_P12ihipStream_tbEUlmE_aEESB_NS0_8identityIvEEEESJ_SM_SN_mSO_SQ_bEUlT_E_NS1_11comp_targetILNS1_3genE10ELNS1_11target_archE1200ELNS1_3gpuE4ELNS1_3repE0EEENS1_30default_config_static_selectorELNS0_4arch9wavefront6targetE1EEEvT1_,"axG",@progbits,_ZN7rocprim17ROCPRIM_400000_NS6detail17trampoline_kernelINS0_14default_configENS1_25transform_config_selectorIaLb0EEEZNS1_14transform_implILb0ES3_S5_NS0_18transform_iteratorINS0_17counting_iteratorImlEEZNS1_24adjacent_difference_implIS3_Lb1ELb0EPaN6thrust23THRUST_200600_302600_NS16discard_iteratorINSD_11use_defaultEEENSD_5minusIaEEEE10hipError_tPvRmT2_T3_mT4_P12ihipStream_tbEUlmE_aEESB_NS0_8identityIvEEEESJ_SM_SN_mSO_SQ_bEUlT_E_NS1_11comp_targetILNS1_3genE10ELNS1_11target_archE1200ELNS1_3gpuE4ELNS1_3repE0EEENS1_30default_config_static_selectorELNS0_4arch9wavefront6targetE1EEEvT1_,comdat
.Lfunc_end672:
	.size	_ZN7rocprim17ROCPRIM_400000_NS6detail17trampoline_kernelINS0_14default_configENS1_25transform_config_selectorIaLb0EEEZNS1_14transform_implILb0ES3_S5_NS0_18transform_iteratorINS0_17counting_iteratorImlEEZNS1_24adjacent_difference_implIS3_Lb1ELb0EPaN6thrust23THRUST_200600_302600_NS16discard_iteratorINSD_11use_defaultEEENSD_5minusIaEEEE10hipError_tPvRmT2_T3_mT4_P12ihipStream_tbEUlmE_aEESB_NS0_8identityIvEEEESJ_SM_SN_mSO_SQ_bEUlT_E_NS1_11comp_targetILNS1_3genE10ELNS1_11target_archE1200ELNS1_3gpuE4ELNS1_3repE0EEENS1_30default_config_static_selectorELNS0_4arch9wavefront6targetE1EEEvT1_, .Lfunc_end672-_ZN7rocprim17ROCPRIM_400000_NS6detail17trampoline_kernelINS0_14default_configENS1_25transform_config_selectorIaLb0EEEZNS1_14transform_implILb0ES3_S5_NS0_18transform_iteratorINS0_17counting_iteratorImlEEZNS1_24adjacent_difference_implIS3_Lb1ELb0EPaN6thrust23THRUST_200600_302600_NS16discard_iteratorINSD_11use_defaultEEENSD_5minusIaEEEE10hipError_tPvRmT2_T3_mT4_P12ihipStream_tbEUlmE_aEESB_NS0_8identityIvEEEESJ_SM_SN_mSO_SQ_bEUlT_E_NS1_11comp_targetILNS1_3genE10ELNS1_11target_archE1200ELNS1_3gpuE4ELNS1_3repE0EEENS1_30default_config_static_selectorELNS0_4arch9wavefront6targetE1EEEvT1_
                                        ; -- End function
	.section	.AMDGPU.csdata,"",@progbits
; Kernel info:
; codeLenInByte = 0
; NumSgprs: 6
; NumVgprs: 0
; NumAgprs: 0
; TotalNumVgprs: 0
; ScratchSize: 0
; MemoryBound: 0
; FloatMode: 240
; IeeeMode: 1
; LDSByteSize: 0 bytes/workgroup (compile time only)
; SGPRBlocks: 0
; VGPRBlocks: 0
; NumSGPRsForWavesPerEU: 6
; NumVGPRsForWavesPerEU: 1
; AccumOffset: 4
; Occupancy: 8
; WaveLimiterHint : 0
; COMPUTE_PGM_RSRC2:SCRATCH_EN: 0
; COMPUTE_PGM_RSRC2:USER_SGPR: 2
; COMPUTE_PGM_RSRC2:TRAP_HANDLER: 0
; COMPUTE_PGM_RSRC2:TGID_X_EN: 1
; COMPUTE_PGM_RSRC2:TGID_Y_EN: 0
; COMPUTE_PGM_RSRC2:TGID_Z_EN: 0
; COMPUTE_PGM_RSRC2:TIDIG_COMP_CNT: 0
; COMPUTE_PGM_RSRC3_GFX90A:ACCUM_OFFSET: 0
; COMPUTE_PGM_RSRC3_GFX90A:TG_SPLIT: 0
	.section	.text._ZN7rocprim17ROCPRIM_400000_NS6detail17trampoline_kernelINS0_14default_configENS1_25transform_config_selectorIaLb0EEEZNS1_14transform_implILb0ES3_S5_NS0_18transform_iteratorINS0_17counting_iteratorImlEEZNS1_24adjacent_difference_implIS3_Lb1ELb0EPaN6thrust23THRUST_200600_302600_NS16discard_iteratorINSD_11use_defaultEEENSD_5minusIaEEEE10hipError_tPvRmT2_T3_mT4_P12ihipStream_tbEUlmE_aEESB_NS0_8identityIvEEEESJ_SM_SN_mSO_SQ_bEUlT_E_NS1_11comp_targetILNS1_3genE9ELNS1_11target_archE1100ELNS1_3gpuE3ELNS1_3repE0EEENS1_30default_config_static_selectorELNS0_4arch9wavefront6targetE1EEEvT1_,"axG",@progbits,_ZN7rocprim17ROCPRIM_400000_NS6detail17trampoline_kernelINS0_14default_configENS1_25transform_config_selectorIaLb0EEEZNS1_14transform_implILb0ES3_S5_NS0_18transform_iteratorINS0_17counting_iteratorImlEEZNS1_24adjacent_difference_implIS3_Lb1ELb0EPaN6thrust23THRUST_200600_302600_NS16discard_iteratorINSD_11use_defaultEEENSD_5minusIaEEEE10hipError_tPvRmT2_T3_mT4_P12ihipStream_tbEUlmE_aEESB_NS0_8identityIvEEEESJ_SM_SN_mSO_SQ_bEUlT_E_NS1_11comp_targetILNS1_3genE9ELNS1_11target_archE1100ELNS1_3gpuE3ELNS1_3repE0EEENS1_30default_config_static_selectorELNS0_4arch9wavefront6targetE1EEEvT1_,comdat
	.protected	_ZN7rocprim17ROCPRIM_400000_NS6detail17trampoline_kernelINS0_14default_configENS1_25transform_config_selectorIaLb0EEEZNS1_14transform_implILb0ES3_S5_NS0_18transform_iteratorINS0_17counting_iteratorImlEEZNS1_24adjacent_difference_implIS3_Lb1ELb0EPaN6thrust23THRUST_200600_302600_NS16discard_iteratorINSD_11use_defaultEEENSD_5minusIaEEEE10hipError_tPvRmT2_T3_mT4_P12ihipStream_tbEUlmE_aEESB_NS0_8identityIvEEEESJ_SM_SN_mSO_SQ_bEUlT_E_NS1_11comp_targetILNS1_3genE9ELNS1_11target_archE1100ELNS1_3gpuE3ELNS1_3repE0EEENS1_30default_config_static_selectorELNS0_4arch9wavefront6targetE1EEEvT1_ ; -- Begin function _ZN7rocprim17ROCPRIM_400000_NS6detail17trampoline_kernelINS0_14default_configENS1_25transform_config_selectorIaLb0EEEZNS1_14transform_implILb0ES3_S5_NS0_18transform_iteratorINS0_17counting_iteratorImlEEZNS1_24adjacent_difference_implIS3_Lb1ELb0EPaN6thrust23THRUST_200600_302600_NS16discard_iteratorINSD_11use_defaultEEENSD_5minusIaEEEE10hipError_tPvRmT2_T3_mT4_P12ihipStream_tbEUlmE_aEESB_NS0_8identityIvEEEESJ_SM_SN_mSO_SQ_bEUlT_E_NS1_11comp_targetILNS1_3genE9ELNS1_11target_archE1100ELNS1_3gpuE3ELNS1_3repE0EEENS1_30default_config_static_selectorELNS0_4arch9wavefront6targetE1EEEvT1_
	.globl	_ZN7rocprim17ROCPRIM_400000_NS6detail17trampoline_kernelINS0_14default_configENS1_25transform_config_selectorIaLb0EEEZNS1_14transform_implILb0ES3_S5_NS0_18transform_iteratorINS0_17counting_iteratorImlEEZNS1_24adjacent_difference_implIS3_Lb1ELb0EPaN6thrust23THRUST_200600_302600_NS16discard_iteratorINSD_11use_defaultEEENSD_5minusIaEEEE10hipError_tPvRmT2_T3_mT4_P12ihipStream_tbEUlmE_aEESB_NS0_8identityIvEEEESJ_SM_SN_mSO_SQ_bEUlT_E_NS1_11comp_targetILNS1_3genE9ELNS1_11target_archE1100ELNS1_3gpuE3ELNS1_3repE0EEENS1_30default_config_static_selectorELNS0_4arch9wavefront6targetE1EEEvT1_
	.p2align	8
	.type	_ZN7rocprim17ROCPRIM_400000_NS6detail17trampoline_kernelINS0_14default_configENS1_25transform_config_selectorIaLb0EEEZNS1_14transform_implILb0ES3_S5_NS0_18transform_iteratorINS0_17counting_iteratorImlEEZNS1_24adjacent_difference_implIS3_Lb1ELb0EPaN6thrust23THRUST_200600_302600_NS16discard_iteratorINSD_11use_defaultEEENSD_5minusIaEEEE10hipError_tPvRmT2_T3_mT4_P12ihipStream_tbEUlmE_aEESB_NS0_8identityIvEEEESJ_SM_SN_mSO_SQ_bEUlT_E_NS1_11comp_targetILNS1_3genE9ELNS1_11target_archE1100ELNS1_3gpuE3ELNS1_3repE0EEENS1_30default_config_static_selectorELNS0_4arch9wavefront6targetE1EEEvT1_,@function
_ZN7rocprim17ROCPRIM_400000_NS6detail17trampoline_kernelINS0_14default_configENS1_25transform_config_selectorIaLb0EEEZNS1_14transform_implILb0ES3_S5_NS0_18transform_iteratorINS0_17counting_iteratorImlEEZNS1_24adjacent_difference_implIS3_Lb1ELb0EPaN6thrust23THRUST_200600_302600_NS16discard_iteratorINSD_11use_defaultEEENSD_5minusIaEEEE10hipError_tPvRmT2_T3_mT4_P12ihipStream_tbEUlmE_aEESB_NS0_8identityIvEEEESJ_SM_SN_mSO_SQ_bEUlT_E_NS1_11comp_targetILNS1_3genE9ELNS1_11target_archE1100ELNS1_3gpuE3ELNS1_3repE0EEENS1_30default_config_static_selectorELNS0_4arch9wavefront6targetE1EEEvT1_: ; @_ZN7rocprim17ROCPRIM_400000_NS6detail17trampoline_kernelINS0_14default_configENS1_25transform_config_selectorIaLb0EEEZNS1_14transform_implILb0ES3_S5_NS0_18transform_iteratorINS0_17counting_iteratorImlEEZNS1_24adjacent_difference_implIS3_Lb1ELb0EPaN6thrust23THRUST_200600_302600_NS16discard_iteratorINSD_11use_defaultEEENSD_5minusIaEEEE10hipError_tPvRmT2_T3_mT4_P12ihipStream_tbEUlmE_aEESB_NS0_8identityIvEEEESJ_SM_SN_mSO_SQ_bEUlT_E_NS1_11comp_targetILNS1_3genE9ELNS1_11target_archE1100ELNS1_3gpuE3ELNS1_3repE0EEENS1_30default_config_static_selectorELNS0_4arch9wavefront6targetE1EEEvT1_
; %bb.0:
	.section	.rodata,"a",@progbits
	.p2align	6, 0x0
	.amdhsa_kernel _ZN7rocprim17ROCPRIM_400000_NS6detail17trampoline_kernelINS0_14default_configENS1_25transform_config_selectorIaLb0EEEZNS1_14transform_implILb0ES3_S5_NS0_18transform_iteratorINS0_17counting_iteratorImlEEZNS1_24adjacent_difference_implIS3_Lb1ELb0EPaN6thrust23THRUST_200600_302600_NS16discard_iteratorINSD_11use_defaultEEENSD_5minusIaEEEE10hipError_tPvRmT2_T3_mT4_P12ihipStream_tbEUlmE_aEESB_NS0_8identityIvEEEESJ_SM_SN_mSO_SQ_bEUlT_E_NS1_11comp_targetILNS1_3genE9ELNS1_11target_archE1100ELNS1_3gpuE3ELNS1_3repE0EEENS1_30default_config_static_selectorELNS0_4arch9wavefront6targetE1EEEvT1_
		.amdhsa_group_segment_fixed_size 0
		.amdhsa_private_segment_fixed_size 0
		.amdhsa_kernarg_size 56
		.amdhsa_user_sgpr_count 2
		.amdhsa_user_sgpr_dispatch_ptr 0
		.amdhsa_user_sgpr_queue_ptr 0
		.amdhsa_user_sgpr_kernarg_segment_ptr 1
		.amdhsa_user_sgpr_dispatch_id 0
		.amdhsa_user_sgpr_kernarg_preload_length 0
		.amdhsa_user_sgpr_kernarg_preload_offset 0
		.amdhsa_user_sgpr_private_segment_size 0
		.amdhsa_uses_dynamic_stack 0
		.amdhsa_enable_private_segment 0
		.amdhsa_system_sgpr_workgroup_id_x 1
		.amdhsa_system_sgpr_workgroup_id_y 0
		.amdhsa_system_sgpr_workgroup_id_z 0
		.amdhsa_system_sgpr_workgroup_info 0
		.amdhsa_system_vgpr_workitem_id 0
		.amdhsa_next_free_vgpr 1
		.amdhsa_next_free_sgpr 0
		.amdhsa_accum_offset 4
		.amdhsa_reserve_vcc 0
		.amdhsa_float_round_mode_32 0
		.amdhsa_float_round_mode_16_64 0
		.amdhsa_float_denorm_mode_32 3
		.amdhsa_float_denorm_mode_16_64 3
		.amdhsa_dx10_clamp 1
		.amdhsa_ieee_mode 1
		.amdhsa_fp16_overflow 0
		.amdhsa_tg_split 0
		.amdhsa_exception_fp_ieee_invalid_op 0
		.amdhsa_exception_fp_denorm_src 0
		.amdhsa_exception_fp_ieee_div_zero 0
		.amdhsa_exception_fp_ieee_overflow 0
		.amdhsa_exception_fp_ieee_underflow 0
		.amdhsa_exception_fp_ieee_inexact 0
		.amdhsa_exception_int_div_zero 0
	.end_amdhsa_kernel
	.section	.text._ZN7rocprim17ROCPRIM_400000_NS6detail17trampoline_kernelINS0_14default_configENS1_25transform_config_selectorIaLb0EEEZNS1_14transform_implILb0ES3_S5_NS0_18transform_iteratorINS0_17counting_iteratorImlEEZNS1_24adjacent_difference_implIS3_Lb1ELb0EPaN6thrust23THRUST_200600_302600_NS16discard_iteratorINSD_11use_defaultEEENSD_5minusIaEEEE10hipError_tPvRmT2_T3_mT4_P12ihipStream_tbEUlmE_aEESB_NS0_8identityIvEEEESJ_SM_SN_mSO_SQ_bEUlT_E_NS1_11comp_targetILNS1_3genE9ELNS1_11target_archE1100ELNS1_3gpuE3ELNS1_3repE0EEENS1_30default_config_static_selectorELNS0_4arch9wavefront6targetE1EEEvT1_,"axG",@progbits,_ZN7rocprim17ROCPRIM_400000_NS6detail17trampoline_kernelINS0_14default_configENS1_25transform_config_selectorIaLb0EEEZNS1_14transform_implILb0ES3_S5_NS0_18transform_iteratorINS0_17counting_iteratorImlEEZNS1_24adjacent_difference_implIS3_Lb1ELb0EPaN6thrust23THRUST_200600_302600_NS16discard_iteratorINSD_11use_defaultEEENSD_5minusIaEEEE10hipError_tPvRmT2_T3_mT4_P12ihipStream_tbEUlmE_aEESB_NS0_8identityIvEEEESJ_SM_SN_mSO_SQ_bEUlT_E_NS1_11comp_targetILNS1_3genE9ELNS1_11target_archE1100ELNS1_3gpuE3ELNS1_3repE0EEENS1_30default_config_static_selectorELNS0_4arch9wavefront6targetE1EEEvT1_,comdat
.Lfunc_end673:
	.size	_ZN7rocprim17ROCPRIM_400000_NS6detail17trampoline_kernelINS0_14default_configENS1_25transform_config_selectorIaLb0EEEZNS1_14transform_implILb0ES3_S5_NS0_18transform_iteratorINS0_17counting_iteratorImlEEZNS1_24adjacent_difference_implIS3_Lb1ELb0EPaN6thrust23THRUST_200600_302600_NS16discard_iteratorINSD_11use_defaultEEENSD_5minusIaEEEE10hipError_tPvRmT2_T3_mT4_P12ihipStream_tbEUlmE_aEESB_NS0_8identityIvEEEESJ_SM_SN_mSO_SQ_bEUlT_E_NS1_11comp_targetILNS1_3genE9ELNS1_11target_archE1100ELNS1_3gpuE3ELNS1_3repE0EEENS1_30default_config_static_selectorELNS0_4arch9wavefront6targetE1EEEvT1_, .Lfunc_end673-_ZN7rocprim17ROCPRIM_400000_NS6detail17trampoline_kernelINS0_14default_configENS1_25transform_config_selectorIaLb0EEEZNS1_14transform_implILb0ES3_S5_NS0_18transform_iteratorINS0_17counting_iteratorImlEEZNS1_24adjacent_difference_implIS3_Lb1ELb0EPaN6thrust23THRUST_200600_302600_NS16discard_iteratorINSD_11use_defaultEEENSD_5minusIaEEEE10hipError_tPvRmT2_T3_mT4_P12ihipStream_tbEUlmE_aEESB_NS0_8identityIvEEEESJ_SM_SN_mSO_SQ_bEUlT_E_NS1_11comp_targetILNS1_3genE9ELNS1_11target_archE1100ELNS1_3gpuE3ELNS1_3repE0EEENS1_30default_config_static_selectorELNS0_4arch9wavefront6targetE1EEEvT1_
                                        ; -- End function
	.section	.AMDGPU.csdata,"",@progbits
; Kernel info:
; codeLenInByte = 0
; NumSgprs: 6
; NumVgprs: 0
; NumAgprs: 0
; TotalNumVgprs: 0
; ScratchSize: 0
; MemoryBound: 0
; FloatMode: 240
; IeeeMode: 1
; LDSByteSize: 0 bytes/workgroup (compile time only)
; SGPRBlocks: 0
; VGPRBlocks: 0
; NumSGPRsForWavesPerEU: 6
; NumVGPRsForWavesPerEU: 1
; AccumOffset: 4
; Occupancy: 8
; WaveLimiterHint : 0
; COMPUTE_PGM_RSRC2:SCRATCH_EN: 0
; COMPUTE_PGM_RSRC2:USER_SGPR: 2
; COMPUTE_PGM_RSRC2:TRAP_HANDLER: 0
; COMPUTE_PGM_RSRC2:TGID_X_EN: 1
; COMPUTE_PGM_RSRC2:TGID_Y_EN: 0
; COMPUTE_PGM_RSRC2:TGID_Z_EN: 0
; COMPUTE_PGM_RSRC2:TIDIG_COMP_CNT: 0
; COMPUTE_PGM_RSRC3_GFX90A:ACCUM_OFFSET: 0
; COMPUTE_PGM_RSRC3_GFX90A:TG_SPLIT: 0
	.section	.text._ZN7rocprim17ROCPRIM_400000_NS6detail17trampoline_kernelINS0_14default_configENS1_25transform_config_selectorIaLb0EEEZNS1_14transform_implILb0ES3_S5_NS0_18transform_iteratorINS0_17counting_iteratorImlEEZNS1_24adjacent_difference_implIS3_Lb1ELb0EPaN6thrust23THRUST_200600_302600_NS16discard_iteratorINSD_11use_defaultEEENSD_5minusIaEEEE10hipError_tPvRmT2_T3_mT4_P12ihipStream_tbEUlmE_aEESB_NS0_8identityIvEEEESJ_SM_SN_mSO_SQ_bEUlT_E_NS1_11comp_targetILNS1_3genE8ELNS1_11target_archE1030ELNS1_3gpuE2ELNS1_3repE0EEENS1_30default_config_static_selectorELNS0_4arch9wavefront6targetE1EEEvT1_,"axG",@progbits,_ZN7rocprim17ROCPRIM_400000_NS6detail17trampoline_kernelINS0_14default_configENS1_25transform_config_selectorIaLb0EEEZNS1_14transform_implILb0ES3_S5_NS0_18transform_iteratorINS0_17counting_iteratorImlEEZNS1_24adjacent_difference_implIS3_Lb1ELb0EPaN6thrust23THRUST_200600_302600_NS16discard_iteratorINSD_11use_defaultEEENSD_5minusIaEEEE10hipError_tPvRmT2_T3_mT4_P12ihipStream_tbEUlmE_aEESB_NS0_8identityIvEEEESJ_SM_SN_mSO_SQ_bEUlT_E_NS1_11comp_targetILNS1_3genE8ELNS1_11target_archE1030ELNS1_3gpuE2ELNS1_3repE0EEENS1_30default_config_static_selectorELNS0_4arch9wavefront6targetE1EEEvT1_,comdat
	.protected	_ZN7rocprim17ROCPRIM_400000_NS6detail17trampoline_kernelINS0_14default_configENS1_25transform_config_selectorIaLb0EEEZNS1_14transform_implILb0ES3_S5_NS0_18transform_iteratorINS0_17counting_iteratorImlEEZNS1_24adjacent_difference_implIS3_Lb1ELb0EPaN6thrust23THRUST_200600_302600_NS16discard_iteratorINSD_11use_defaultEEENSD_5minusIaEEEE10hipError_tPvRmT2_T3_mT4_P12ihipStream_tbEUlmE_aEESB_NS0_8identityIvEEEESJ_SM_SN_mSO_SQ_bEUlT_E_NS1_11comp_targetILNS1_3genE8ELNS1_11target_archE1030ELNS1_3gpuE2ELNS1_3repE0EEENS1_30default_config_static_selectorELNS0_4arch9wavefront6targetE1EEEvT1_ ; -- Begin function _ZN7rocprim17ROCPRIM_400000_NS6detail17trampoline_kernelINS0_14default_configENS1_25transform_config_selectorIaLb0EEEZNS1_14transform_implILb0ES3_S5_NS0_18transform_iteratorINS0_17counting_iteratorImlEEZNS1_24adjacent_difference_implIS3_Lb1ELb0EPaN6thrust23THRUST_200600_302600_NS16discard_iteratorINSD_11use_defaultEEENSD_5minusIaEEEE10hipError_tPvRmT2_T3_mT4_P12ihipStream_tbEUlmE_aEESB_NS0_8identityIvEEEESJ_SM_SN_mSO_SQ_bEUlT_E_NS1_11comp_targetILNS1_3genE8ELNS1_11target_archE1030ELNS1_3gpuE2ELNS1_3repE0EEENS1_30default_config_static_selectorELNS0_4arch9wavefront6targetE1EEEvT1_
	.globl	_ZN7rocprim17ROCPRIM_400000_NS6detail17trampoline_kernelINS0_14default_configENS1_25transform_config_selectorIaLb0EEEZNS1_14transform_implILb0ES3_S5_NS0_18transform_iteratorINS0_17counting_iteratorImlEEZNS1_24adjacent_difference_implIS3_Lb1ELb0EPaN6thrust23THRUST_200600_302600_NS16discard_iteratorINSD_11use_defaultEEENSD_5minusIaEEEE10hipError_tPvRmT2_T3_mT4_P12ihipStream_tbEUlmE_aEESB_NS0_8identityIvEEEESJ_SM_SN_mSO_SQ_bEUlT_E_NS1_11comp_targetILNS1_3genE8ELNS1_11target_archE1030ELNS1_3gpuE2ELNS1_3repE0EEENS1_30default_config_static_selectorELNS0_4arch9wavefront6targetE1EEEvT1_
	.p2align	8
	.type	_ZN7rocprim17ROCPRIM_400000_NS6detail17trampoline_kernelINS0_14default_configENS1_25transform_config_selectorIaLb0EEEZNS1_14transform_implILb0ES3_S5_NS0_18transform_iteratorINS0_17counting_iteratorImlEEZNS1_24adjacent_difference_implIS3_Lb1ELb0EPaN6thrust23THRUST_200600_302600_NS16discard_iteratorINSD_11use_defaultEEENSD_5minusIaEEEE10hipError_tPvRmT2_T3_mT4_P12ihipStream_tbEUlmE_aEESB_NS0_8identityIvEEEESJ_SM_SN_mSO_SQ_bEUlT_E_NS1_11comp_targetILNS1_3genE8ELNS1_11target_archE1030ELNS1_3gpuE2ELNS1_3repE0EEENS1_30default_config_static_selectorELNS0_4arch9wavefront6targetE1EEEvT1_,@function
_ZN7rocprim17ROCPRIM_400000_NS6detail17trampoline_kernelINS0_14default_configENS1_25transform_config_selectorIaLb0EEEZNS1_14transform_implILb0ES3_S5_NS0_18transform_iteratorINS0_17counting_iteratorImlEEZNS1_24adjacent_difference_implIS3_Lb1ELb0EPaN6thrust23THRUST_200600_302600_NS16discard_iteratorINSD_11use_defaultEEENSD_5minusIaEEEE10hipError_tPvRmT2_T3_mT4_P12ihipStream_tbEUlmE_aEESB_NS0_8identityIvEEEESJ_SM_SN_mSO_SQ_bEUlT_E_NS1_11comp_targetILNS1_3genE8ELNS1_11target_archE1030ELNS1_3gpuE2ELNS1_3repE0EEENS1_30default_config_static_selectorELNS0_4arch9wavefront6targetE1EEEvT1_: ; @_ZN7rocprim17ROCPRIM_400000_NS6detail17trampoline_kernelINS0_14default_configENS1_25transform_config_selectorIaLb0EEEZNS1_14transform_implILb0ES3_S5_NS0_18transform_iteratorINS0_17counting_iteratorImlEEZNS1_24adjacent_difference_implIS3_Lb1ELb0EPaN6thrust23THRUST_200600_302600_NS16discard_iteratorINSD_11use_defaultEEENSD_5minusIaEEEE10hipError_tPvRmT2_T3_mT4_P12ihipStream_tbEUlmE_aEESB_NS0_8identityIvEEEESJ_SM_SN_mSO_SQ_bEUlT_E_NS1_11comp_targetILNS1_3genE8ELNS1_11target_archE1030ELNS1_3gpuE2ELNS1_3repE0EEENS1_30default_config_static_selectorELNS0_4arch9wavefront6targetE1EEEvT1_
; %bb.0:
	.section	.rodata,"a",@progbits
	.p2align	6, 0x0
	.amdhsa_kernel _ZN7rocprim17ROCPRIM_400000_NS6detail17trampoline_kernelINS0_14default_configENS1_25transform_config_selectorIaLb0EEEZNS1_14transform_implILb0ES3_S5_NS0_18transform_iteratorINS0_17counting_iteratorImlEEZNS1_24adjacent_difference_implIS3_Lb1ELb0EPaN6thrust23THRUST_200600_302600_NS16discard_iteratorINSD_11use_defaultEEENSD_5minusIaEEEE10hipError_tPvRmT2_T3_mT4_P12ihipStream_tbEUlmE_aEESB_NS0_8identityIvEEEESJ_SM_SN_mSO_SQ_bEUlT_E_NS1_11comp_targetILNS1_3genE8ELNS1_11target_archE1030ELNS1_3gpuE2ELNS1_3repE0EEENS1_30default_config_static_selectorELNS0_4arch9wavefront6targetE1EEEvT1_
		.amdhsa_group_segment_fixed_size 0
		.amdhsa_private_segment_fixed_size 0
		.amdhsa_kernarg_size 56
		.amdhsa_user_sgpr_count 2
		.amdhsa_user_sgpr_dispatch_ptr 0
		.amdhsa_user_sgpr_queue_ptr 0
		.amdhsa_user_sgpr_kernarg_segment_ptr 1
		.amdhsa_user_sgpr_dispatch_id 0
		.amdhsa_user_sgpr_kernarg_preload_length 0
		.amdhsa_user_sgpr_kernarg_preload_offset 0
		.amdhsa_user_sgpr_private_segment_size 0
		.amdhsa_uses_dynamic_stack 0
		.amdhsa_enable_private_segment 0
		.amdhsa_system_sgpr_workgroup_id_x 1
		.amdhsa_system_sgpr_workgroup_id_y 0
		.amdhsa_system_sgpr_workgroup_id_z 0
		.amdhsa_system_sgpr_workgroup_info 0
		.amdhsa_system_vgpr_workitem_id 0
		.amdhsa_next_free_vgpr 1
		.amdhsa_next_free_sgpr 0
		.amdhsa_accum_offset 4
		.amdhsa_reserve_vcc 0
		.amdhsa_float_round_mode_32 0
		.amdhsa_float_round_mode_16_64 0
		.amdhsa_float_denorm_mode_32 3
		.amdhsa_float_denorm_mode_16_64 3
		.amdhsa_dx10_clamp 1
		.amdhsa_ieee_mode 1
		.amdhsa_fp16_overflow 0
		.amdhsa_tg_split 0
		.amdhsa_exception_fp_ieee_invalid_op 0
		.amdhsa_exception_fp_denorm_src 0
		.amdhsa_exception_fp_ieee_div_zero 0
		.amdhsa_exception_fp_ieee_overflow 0
		.amdhsa_exception_fp_ieee_underflow 0
		.amdhsa_exception_fp_ieee_inexact 0
		.amdhsa_exception_int_div_zero 0
	.end_amdhsa_kernel
	.section	.text._ZN7rocprim17ROCPRIM_400000_NS6detail17trampoline_kernelINS0_14default_configENS1_25transform_config_selectorIaLb0EEEZNS1_14transform_implILb0ES3_S5_NS0_18transform_iteratorINS0_17counting_iteratorImlEEZNS1_24adjacent_difference_implIS3_Lb1ELb0EPaN6thrust23THRUST_200600_302600_NS16discard_iteratorINSD_11use_defaultEEENSD_5minusIaEEEE10hipError_tPvRmT2_T3_mT4_P12ihipStream_tbEUlmE_aEESB_NS0_8identityIvEEEESJ_SM_SN_mSO_SQ_bEUlT_E_NS1_11comp_targetILNS1_3genE8ELNS1_11target_archE1030ELNS1_3gpuE2ELNS1_3repE0EEENS1_30default_config_static_selectorELNS0_4arch9wavefront6targetE1EEEvT1_,"axG",@progbits,_ZN7rocprim17ROCPRIM_400000_NS6detail17trampoline_kernelINS0_14default_configENS1_25transform_config_selectorIaLb0EEEZNS1_14transform_implILb0ES3_S5_NS0_18transform_iteratorINS0_17counting_iteratorImlEEZNS1_24adjacent_difference_implIS3_Lb1ELb0EPaN6thrust23THRUST_200600_302600_NS16discard_iteratorINSD_11use_defaultEEENSD_5minusIaEEEE10hipError_tPvRmT2_T3_mT4_P12ihipStream_tbEUlmE_aEESB_NS0_8identityIvEEEESJ_SM_SN_mSO_SQ_bEUlT_E_NS1_11comp_targetILNS1_3genE8ELNS1_11target_archE1030ELNS1_3gpuE2ELNS1_3repE0EEENS1_30default_config_static_selectorELNS0_4arch9wavefront6targetE1EEEvT1_,comdat
.Lfunc_end674:
	.size	_ZN7rocprim17ROCPRIM_400000_NS6detail17trampoline_kernelINS0_14default_configENS1_25transform_config_selectorIaLb0EEEZNS1_14transform_implILb0ES3_S5_NS0_18transform_iteratorINS0_17counting_iteratorImlEEZNS1_24adjacent_difference_implIS3_Lb1ELb0EPaN6thrust23THRUST_200600_302600_NS16discard_iteratorINSD_11use_defaultEEENSD_5minusIaEEEE10hipError_tPvRmT2_T3_mT4_P12ihipStream_tbEUlmE_aEESB_NS0_8identityIvEEEESJ_SM_SN_mSO_SQ_bEUlT_E_NS1_11comp_targetILNS1_3genE8ELNS1_11target_archE1030ELNS1_3gpuE2ELNS1_3repE0EEENS1_30default_config_static_selectorELNS0_4arch9wavefront6targetE1EEEvT1_, .Lfunc_end674-_ZN7rocprim17ROCPRIM_400000_NS6detail17trampoline_kernelINS0_14default_configENS1_25transform_config_selectorIaLb0EEEZNS1_14transform_implILb0ES3_S5_NS0_18transform_iteratorINS0_17counting_iteratorImlEEZNS1_24adjacent_difference_implIS3_Lb1ELb0EPaN6thrust23THRUST_200600_302600_NS16discard_iteratorINSD_11use_defaultEEENSD_5minusIaEEEE10hipError_tPvRmT2_T3_mT4_P12ihipStream_tbEUlmE_aEESB_NS0_8identityIvEEEESJ_SM_SN_mSO_SQ_bEUlT_E_NS1_11comp_targetILNS1_3genE8ELNS1_11target_archE1030ELNS1_3gpuE2ELNS1_3repE0EEENS1_30default_config_static_selectorELNS0_4arch9wavefront6targetE1EEEvT1_
                                        ; -- End function
	.section	.AMDGPU.csdata,"",@progbits
; Kernel info:
; codeLenInByte = 0
; NumSgprs: 6
; NumVgprs: 0
; NumAgprs: 0
; TotalNumVgprs: 0
; ScratchSize: 0
; MemoryBound: 0
; FloatMode: 240
; IeeeMode: 1
; LDSByteSize: 0 bytes/workgroup (compile time only)
; SGPRBlocks: 0
; VGPRBlocks: 0
; NumSGPRsForWavesPerEU: 6
; NumVGPRsForWavesPerEU: 1
; AccumOffset: 4
; Occupancy: 8
; WaveLimiterHint : 0
; COMPUTE_PGM_RSRC2:SCRATCH_EN: 0
; COMPUTE_PGM_RSRC2:USER_SGPR: 2
; COMPUTE_PGM_RSRC2:TRAP_HANDLER: 0
; COMPUTE_PGM_RSRC2:TGID_X_EN: 1
; COMPUTE_PGM_RSRC2:TGID_Y_EN: 0
; COMPUTE_PGM_RSRC2:TGID_Z_EN: 0
; COMPUTE_PGM_RSRC2:TIDIG_COMP_CNT: 0
; COMPUTE_PGM_RSRC3_GFX90A:ACCUM_OFFSET: 0
; COMPUTE_PGM_RSRC3_GFX90A:TG_SPLIT: 0
	.section	.text._ZN7rocprim17ROCPRIM_400000_NS6detail17trampoline_kernelINS0_14default_configENS1_35adjacent_difference_config_selectorILb1EaEEZNS1_24adjacent_difference_implIS3_Lb1ELb0EPaN6thrust23THRUST_200600_302600_NS16discard_iteratorINS9_11use_defaultEEENS9_5minusIaEEEE10hipError_tPvRmT2_T3_mT4_P12ihipStream_tbEUlT_E_NS1_11comp_targetILNS1_3genE0ELNS1_11target_archE4294967295ELNS1_3gpuE0ELNS1_3repE0EEENS1_30default_config_static_selectorELNS0_4arch9wavefront6targetE1EEEvT1_,"axG",@progbits,_ZN7rocprim17ROCPRIM_400000_NS6detail17trampoline_kernelINS0_14default_configENS1_35adjacent_difference_config_selectorILb1EaEEZNS1_24adjacent_difference_implIS3_Lb1ELb0EPaN6thrust23THRUST_200600_302600_NS16discard_iteratorINS9_11use_defaultEEENS9_5minusIaEEEE10hipError_tPvRmT2_T3_mT4_P12ihipStream_tbEUlT_E_NS1_11comp_targetILNS1_3genE0ELNS1_11target_archE4294967295ELNS1_3gpuE0ELNS1_3repE0EEENS1_30default_config_static_selectorELNS0_4arch9wavefront6targetE1EEEvT1_,comdat
	.protected	_ZN7rocprim17ROCPRIM_400000_NS6detail17trampoline_kernelINS0_14default_configENS1_35adjacent_difference_config_selectorILb1EaEEZNS1_24adjacent_difference_implIS3_Lb1ELb0EPaN6thrust23THRUST_200600_302600_NS16discard_iteratorINS9_11use_defaultEEENS9_5minusIaEEEE10hipError_tPvRmT2_T3_mT4_P12ihipStream_tbEUlT_E_NS1_11comp_targetILNS1_3genE0ELNS1_11target_archE4294967295ELNS1_3gpuE0ELNS1_3repE0EEENS1_30default_config_static_selectorELNS0_4arch9wavefront6targetE1EEEvT1_ ; -- Begin function _ZN7rocprim17ROCPRIM_400000_NS6detail17trampoline_kernelINS0_14default_configENS1_35adjacent_difference_config_selectorILb1EaEEZNS1_24adjacent_difference_implIS3_Lb1ELb0EPaN6thrust23THRUST_200600_302600_NS16discard_iteratorINS9_11use_defaultEEENS9_5minusIaEEEE10hipError_tPvRmT2_T3_mT4_P12ihipStream_tbEUlT_E_NS1_11comp_targetILNS1_3genE0ELNS1_11target_archE4294967295ELNS1_3gpuE0ELNS1_3repE0EEENS1_30default_config_static_selectorELNS0_4arch9wavefront6targetE1EEEvT1_
	.globl	_ZN7rocprim17ROCPRIM_400000_NS6detail17trampoline_kernelINS0_14default_configENS1_35adjacent_difference_config_selectorILb1EaEEZNS1_24adjacent_difference_implIS3_Lb1ELb0EPaN6thrust23THRUST_200600_302600_NS16discard_iteratorINS9_11use_defaultEEENS9_5minusIaEEEE10hipError_tPvRmT2_T3_mT4_P12ihipStream_tbEUlT_E_NS1_11comp_targetILNS1_3genE0ELNS1_11target_archE4294967295ELNS1_3gpuE0ELNS1_3repE0EEENS1_30default_config_static_selectorELNS0_4arch9wavefront6targetE1EEEvT1_
	.p2align	8
	.type	_ZN7rocprim17ROCPRIM_400000_NS6detail17trampoline_kernelINS0_14default_configENS1_35adjacent_difference_config_selectorILb1EaEEZNS1_24adjacent_difference_implIS3_Lb1ELb0EPaN6thrust23THRUST_200600_302600_NS16discard_iteratorINS9_11use_defaultEEENS9_5minusIaEEEE10hipError_tPvRmT2_T3_mT4_P12ihipStream_tbEUlT_E_NS1_11comp_targetILNS1_3genE0ELNS1_11target_archE4294967295ELNS1_3gpuE0ELNS1_3repE0EEENS1_30default_config_static_selectorELNS0_4arch9wavefront6targetE1EEEvT1_,@function
_ZN7rocprim17ROCPRIM_400000_NS6detail17trampoline_kernelINS0_14default_configENS1_35adjacent_difference_config_selectorILb1EaEEZNS1_24adjacent_difference_implIS3_Lb1ELb0EPaN6thrust23THRUST_200600_302600_NS16discard_iteratorINS9_11use_defaultEEENS9_5minusIaEEEE10hipError_tPvRmT2_T3_mT4_P12ihipStream_tbEUlT_E_NS1_11comp_targetILNS1_3genE0ELNS1_11target_archE4294967295ELNS1_3gpuE0ELNS1_3repE0EEENS1_30default_config_static_selectorELNS0_4arch9wavefront6targetE1EEEvT1_: ; @_ZN7rocprim17ROCPRIM_400000_NS6detail17trampoline_kernelINS0_14default_configENS1_35adjacent_difference_config_selectorILb1EaEEZNS1_24adjacent_difference_implIS3_Lb1ELb0EPaN6thrust23THRUST_200600_302600_NS16discard_iteratorINS9_11use_defaultEEENS9_5minusIaEEEE10hipError_tPvRmT2_T3_mT4_P12ihipStream_tbEUlT_E_NS1_11comp_targetILNS1_3genE0ELNS1_11target_archE4294967295ELNS1_3gpuE0ELNS1_3repE0EEENS1_30default_config_static_selectorELNS0_4arch9wavefront6targetE1EEEvT1_
; %bb.0:
	.section	.rodata,"a",@progbits
	.p2align	6, 0x0
	.amdhsa_kernel _ZN7rocprim17ROCPRIM_400000_NS6detail17trampoline_kernelINS0_14default_configENS1_35adjacent_difference_config_selectorILb1EaEEZNS1_24adjacent_difference_implIS3_Lb1ELb0EPaN6thrust23THRUST_200600_302600_NS16discard_iteratorINS9_11use_defaultEEENS9_5minusIaEEEE10hipError_tPvRmT2_T3_mT4_P12ihipStream_tbEUlT_E_NS1_11comp_targetILNS1_3genE0ELNS1_11target_archE4294967295ELNS1_3gpuE0ELNS1_3repE0EEENS1_30default_config_static_selectorELNS0_4arch9wavefront6targetE1EEEvT1_
		.amdhsa_group_segment_fixed_size 0
		.amdhsa_private_segment_fixed_size 0
		.amdhsa_kernarg_size 64
		.amdhsa_user_sgpr_count 2
		.amdhsa_user_sgpr_dispatch_ptr 0
		.amdhsa_user_sgpr_queue_ptr 0
		.amdhsa_user_sgpr_kernarg_segment_ptr 1
		.amdhsa_user_sgpr_dispatch_id 0
		.amdhsa_user_sgpr_kernarg_preload_length 0
		.amdhsa_user_sgpr_kernarg_preload_offset 0
		.amdhsa_user_sgpr_private_segment_size 0
		.amdhsa_uses_dynamic_stack 0
		.amdhsa_enable_private_segment 0
		.amdhsa_system_sgpr_workgroup_id_x 1
		.amdhsa_system_sgpr_workgroup_id_y 0
		.amdhsa_system_sgpr_workgroup_id_z 0
		.amdhsa_system_sgpr_workgroup_info 0
		.amdhsa_system_vgpr_workitem_id 0
		.amdhsa_next_free_vgpr 1
		.amdhsa_next_free_sgpr 0
		.amdhsa_accum_offset 4
		.amdhsa_reserve_vcc 0
		.amdhsa_float_round_mode_32 0
		.amdhsa_float_round_mode_16_64 0
		.amdhsa_float_denorm_mode_32 3
		.amdhsa_float_denorm_mode_16_64 3
		.amdhsa_dx10_clamp 1
		.amdhsa_ieee_mode 1
		.amdhsa_fp16_overflow 0
		.amdhsa_tg_split 0
		.amdhsa_exception_fp_ieee_invalid_op 0
		.amdhsa_exception_fp_denorm_src 0
		.amdhsa_exception_fp_ieee_div_zero 0
		.amdhsa_exception_fp_ieee_overflow 0
		.amdhsa_exception_fp_ieee_underflow 0
		.amdhsa_exception_fp_ieee_inexact 0
		.amdhsa_exception_int_div_zero 0
	.end_amdhsa_kernel
	.section	.text._ZN7rocprim17ROCPRIM_400000_NS6detail17trampoline_kernelINS0_14default_configENS1_35adjacent_difference_config_selectorILb1EaEEZNS1_24adjacent_difference_implIS3_Lb1ELb0EPaN6thrust23THRUST_200600_302600_NS16discard_iteratorINS9_11use_defaultEEENS9_5minusIaEEEE10hipError_tPvRmT2_T3_mT4_P12ihipStream_tbEUlT_E_NS1_11comp_targetILNS1_3genE0ELNS1_11target_archE4294967295ELNS1_3gpuE0ELNS1_3repE0EEENS1_30default_config_static_selectorELNS0_4arch9wavefront6targetE1EEEvT1_,"axG",@progbits,_ZN7rocprim17ROCPRIM_400000_NS6detail17trampoline_kernelINS0_14default_configENS1_35adjacent_difference_config_selectorILb1EaEEZNS1_24adjacent_difference_implIS3_Lb1ELb0EPaN6thrust23THRUST_200600_302600_NS16discard_iteratorINS9_11use_defaultEEENS9_5minusIaEEEE10hipError_tPvRmT2_T3_mT4_P12ihipStream_tbEUlT_E_NS1_11comp_targetILNS1_3genE0ELNS1_11target_archE4294967295ELNS1_3gpuE0ELNS1_3repE0EEENS1_30default_config_static_selectorELNS0_4arch9wavefront6targetE1EEEvT1_,comdat
.Lfunc_end675:
	.size	_ZN7rocprim17ROCPRIM_400000_NS6detail17trampoline_kernelINS0_14default_configENS1_35adjacent_difference_config_selectorILb1EaEEZNS1_24adjacent_difference_implIS3_Lb1ELb0EPaN6thrust23THRUST_200600_302600_NS16discard_iteratorINS9_11use_defaultEEENS9_5minusIaEEEE10hipError_tPvRmT2_T3_mT4_P12ihipStream_tbEUlT_E_NS1_11comp_targetILNS1_3genE0ELNS1_11target_archE4294967295ELNS1_3gpuE0ELNS1_3repE0EEENS1_30default_config_static_selectorELNS0_4arch9wavefront6targetE1EEEvT1_, .Lfunc_end675-_ZN7rocprim17ROCPRIM_400000_NS6detail17trampoline_kernelINS0_14default_configENS1_35adjacent_difference_config_selectorILb1EaEEZNS1_24adjacent_difference_implIS3_Lb1ELb0EPaN6thrust23THRUST_200600_302600_NS16discard_iteratorINS9_11use_defaultEEENS9_5minusIaEEEE10hipError_tPvRmT2_T3_mT4_P12ihipStream_tbEUlT_E_NS1_11comp_targetILNS1_3genE0ELNS1_11target_archE4294967295ELNS1_3gpuE0ELNS1_3repE0EEENS1_30default_config_static_selectorELNS0_4arch9wavefront6targetE1EEEvT1_
                                        ; -- End function
	.section	.AMDGPU.csdata,"",@progbits
; Kernel info:
; codeLenInByte = 0
; NumSgprs: 6
; NumVgprs: 0
; NumAgprs: 0
; TotalNumVgprs: 0
; ScratchSize: 0
; MemoryBound: 0
; FloatMode: 240
; IeeeMode: 1
; LDSByteSize: 0 bytes/workgroup (compile time only)
; SGPRBlocks: 0
; VGPRBlocks: 0
; NumSGPRsForWavesPerEU: 6
; NumVGPRsForWavesPerEU: 1
; AccumOffset: 4
; Occupancy: 8
; WaveLimiterHint : 0
; COMPUTE_PGM_RSRC2:SCRATCH_EN: 0
; COMPUTE_PGM_RSRC2:USER_SGPR: 2
; COMPUTE_PGM_RSRC2:TRAP_HANDLER: 0
; COMPUTE_PGM_RSRC2:TGID_X_EN: 1
; COMPUTE_PGM_RSRC2:TGID_Y_EN: 0
; COMPUTE_PGM_RSRC2:TGID_Z_EN: 0
; COMPUTE_PGM_RSRC2:TIDIG_COMP_CNT: 0
; COMPUTE_PGM_RSRC3_GFX90A:ACCUM_OFFSET: 0
; COMPUTE_PGM_RSRC3_GFX90A:TG_SPLIT: 0
	.section	.text._ZN7rocprim17ROCPRIM_400000_NS6detail17trampoline_kernelINS0_14default_configENS1_35adjacent_difference_config_selectorILb1EaEEZNS1_24adjacent_difference_implIS3_Lb1ELb0EPaN6thrust23THRUST_200600_302600_NS16discard_iteratorINS9_11use_defaultEEENS9_5minusIaEEEE10hipError_tPvRmT2_T3_mT4_P12ihipStream_tbEUlT_E_NS1_11comp_targetILNS1_3genE10ELNS1_11target_archE1201ELNS1_3gpuE5ELNS1_3repE0EEENS1_30default_config_static_selectorELNS0_4arch9wavefront6targetE1EEEvT1_,"axG",@progbits,_ZN7rocprim17ROCPRIM_400000_NS6detail17trampoline_kernelINS0_14default_configENS1_35adjacent_difference_config_selectorILb1EaEEZNS1_24adjacent_difference_implIS3_Lb1ELb0EPaN6thrust23THRUST_200600_302600_NS16discard_iteratorINS9_11use_defaultEEENS9_5minusIaEEEE10hipError_tPvRmT2_T3_mT4_P12ihipStream_tbEUlT_E_NS1_11comp_targetILNS1_3genE10ELNS1_11target_archE1201ELNS1_3gpuE5ELNS1_3repE0EEENS1_30default_config_static_selectorELNS0_4arch9wavefront6targetE1EEEvT1_,comdat
	.protected	_ZN7rocprim17ROCPRIM_400000_NS6detail17trampoline_kernelINS0_14default_configENS1_35adjacent_difference_config_selectorILb1EaEEZNS1_24adjacent_difference_implIS3_Lb1ELb0EPaN6thrust23THRUST_200600_302600_NS16discard_iteratorINS9_11use_defaultEEENS9_5minusIaEEEE10hipError_tPvRmT2_T3_mT4_P12ihipStream_tbEUlT_E_NS1_11comp_targetILNS1_3genE10ELNS1_11target_archE1201ELNS1_3gpuE5ELNS1_3repE0EEENS1_30default_config_static_selectorELNS0_4arch9wavefront6targetE1EEEvT1_ ; -- Begin function _ZN7rocprim17ROCPRIM_400000_NS6detail17trampoline_kernelINS0_14default_configENS1_35adjacent_difference_config_selectorILb1EaEEZNS1_24adjacent_difference_implIS3_Lb1ELb0EPaN6thrust23THRUST_200600_302600_NS16discard_iteratorINS9_11use_defaultEEENS9_5minusIaEEEE10hipError_tPvRmT2_T3_mT4_P12ihipStream_tbEUlT_E_NS1_11comp_targetILNS1_3genE10ELNS1_11target_archE1201ELNS1_3gpuE5ELNS1_3repE0EEENS1_30default_config_static_selectorELNS0_4arch9wavefront6targetE1EEEvT1_
	.globl	_ZN7rocprim17ROCPRIM_400000_NS6detail17trampoline_kernelINS0_14default_configENS1_35adjacent_difference_config_selectorILb1EaEEZNS1_24adjacent_difference_implIS3_Lb1ELb0EPaN6thrust23THRUST_200600_302600_NS16discard_iteratorINS9_11use_defaultEEENS9_5minusIaEEEE10hipError_tPvRmT2_T3_mT4_P12ihipStream_tbEUlT_E_NS1_11comp_targetILNS1_3genE10ELNS1_11target_archE1201ELNS1_3gpuE5ELNS1_3repE0EEENS1_30default_config_static_selectorELNS0_4arch9wavefront6targetE1EEEvT1_
	.p2align	8
	.type	_ZN7rocprim17ROCPRIM_400000_NS6detail17trampoline_kernelINS0_14default_configENS1_35adjacent_difference_config_selectorILb1EaEEZNS1_24adjacent_difference_implIS3_Lb1ELb0EPaN6thrust23THRUST_200600_302600_NS16discard_iteratorINS9_11use_defaultEEENS9_5minusIaEEEE10hipError_tPvRmT2_T3_mT4_P12ihipStream_tbEUlT_E_NS1_11comp_targetILNS1_3genE10ELNS1_11target_archE1201ELNS1_3gpuE5ELNS1_3repE0EEENS1_30default_config_static_selectorELNS0_4arch9wavefront6targetE1EEEvT1_,@function
_ZN7rocprim17ROCPRIM_400000_NS6detail17trampoline_kernelINS0_14default_configENS1_35adjacent_difference_config_selectorILb1EaEEZNS1_24adjacent_difference_implIS3_Lb1ELb0EPaN6thrust23THRUST_200600_302600_NS16discard_iteratorINS9_11use_defaultEEENS9_5minusIaEEEE10hipError_tPvRmT2_T3_mT4_P12ihipStream_tbEUlT_E_NS1_11comp_targetILNS1_3genE10ELNS1_11target_archE1201ELNS1_3gpuE5ELNS1_3repE0EEENS1_30default_config_static_selectorELNS0_4arch9wavefront6targetE1EEEvT1_: ; @_ZN7rocprim17ROCPRIM_400000_NS6detail17trampoline_kernelINS0_14default_configENS1_35adjacent_difference_config_selectorILb1EaEEZNS1_24adjacent_difference_implIS3_Lb1ELb0EPaN6thrust23THRUST_200600_302600_NS16discard_iteratorINS9_11use_defaultEEENS9_5minusIaEEEE10hipError_tPvRmT2_T3_mT4_P12ihipStream_tbEUlT_E_NS1_11comp_targetILNS1_3genE10ELNS1_11target_archE1201ELNS1_3gpuE5ELNS1_3repE0EEENS1_30default_config_static_selectorELNS0_4arch9wavefront6targetE1EEEvT1_
; %bb.0:
	.section	.rodata,"a",@progbits
	.p2align	6, 0x0
	.amdhsa_kernel _ZN7rocprim17ROCPRIM_400000_NS6detail17trampoline_kernelINS0_14default_configENS1_35adjacent_difference_config_selectorILb1EaEEZNS1_24adjacent_difference_implIS3_Lb1ELb0EPaN6thrust23THRUST_200600_302600_NS16discard_iteratorINS9_11use_defaultEEENS9_5minusIaEEEE10hipError_tPvRmT2_T3_mT4_P12ihipStream_tbEUlT_E_NS1_11comp_targetILNS1_3genE10ELNS1_11target_archE1201ELNS1_3gpuE5ELNS1_3repE0EEENS1_30default_config_static_selectorELNS0_4arch9wavefront6targetE1EEEvT1_
		.amdhsa_group_segment_fixed_size 0
		.amdhsa_private_segment_fixed_size 0
		.amdhsa_kernarg_size 64
		.amdhsa_user_sgpr_count 2
		.amdhsa_user_sgpr_dispatch_ptr 0
		.amdhsa_user_sgpr_queue_ptr 0
		.amdhsa_user_sgpr_kernarg_segment_ptr 1
		.amdhsa_user_sgpr_dispatch_id 0
		.amdhsa_user_sgpr_kernarg_preload_length 0
		.amdhsa_user_sgpr_kernarg_preload_offset 0
		.amdhsa_user_sgpr_private_segment_size 0
		.amdhsa_uses_dynamic_stack 0
		.amdhsa_enable_private_segment 0
		.amdhsa_system_sgpr_workgroup_id_x 1
		.amdhsa_system_sgpr_workgroup_id_y 0
		.amdhsa_system_sgpr_workgroup_id_z 0
		.amdhsa_system_sgpr_workgroup_info 0
		.amdhsa_system_vgpr_workitem_id 0
		.amdhsa_next_free_vgpr 1
		.amdhsa_next_free_sgpr 0
		.amdhsa_accum_offset 4
		.amdhsa_reserve_vcc 0
		.amdhsa_float_round_mode_32 0
		.amdhsa_float_round_mode_16_64 0
		.amdhsa_float_denorm_mode_32 3
		.amdhsa_float_denorm_mode_16_64 3
		.amdhsa_dx10_clamp 1
		.amdhsa_ieee_mode 1
		.amdhsa_fp16_overflow 0
		.amdhsa_tg_split 0
		.amdhsa_exception_fp_ieee_invalid_op 0
		.amdhsa_exception_fp_denorm_src 0
		.amdhsa_exception_fp_ieee_div_zero 0
		.amdhsa_exception_fp_ieee_overflow 0
		.amdhsa_exception_fp_ieee_underflow 0
		.amdhsa_exception_fp_ieee_inexact 0
		.amdhsa_exception_int_div_zero 0
	.end_amdhsa_kernel
	.section	.text._ZN7rocprim17ROCPRIM_400000_NS6detail17trampoline_kernelINS0_14default_configENS1_35adjacent_difference_config_selectorILb1EaEEZNS1_24adjacent_difference_implIS3_Lb1ELb0EPaN6thrust23THRUST_200600_302600_NS16discard_iteratorINS9_11use_defaultEEENS9_5minusIaEEEE10hipError_tPvRmT2_T3_mT4_P12ihipStream_tbEUlT_E_NS1_11comp_targetILNS1_3genE10ELNS1_11target_archE1201ELNS1_3gpuE5ELNS1_3repE0EEENS1_30default_config_static_selectorELNS0_4arch9wavefront6targetE1EEEvT1_,"axG",@progbits,_ZN7rocprim17ROCPRIM_400000_NS6detail17trampoline_kernelINS0_14default_configENS1_35adjacent_difference_config_selectorILb1EaEEZNS1_24adjacent_difference_implIS3_Lb1ELb0EPaN6thrust23THRUST_200600_302600_NS16discard_iteratorINS9_11use_defaultEEENS9_5minusIaEEEE10hipError_tPvRmT2_T3_mT4_P12ihipStream_tbEUlT_E_NS1_11comp_targetILNS1_3genE10ELNS1_11target_archE1201ELNS1_3gpuE5ELNS1_3repE0EEENS1_30default_config_static_selectorELNS0_4arch9wavefront6targetE1EEEvT1_,comdat
.Lfunc_end676:
	.size	_ZN7rocprim17ROCPRIM_400000_NS6detail17trampoline_kernelINS0_14default_configENS1_35adjacent_difference_config_selectorILb1EaEEZNS1_24adjacent_difference_implIS3_Lb1ELb0EPaN6thrust23THRUST_200600_302600_NS16discard_iteratorINS9_11use_defaultEEENS9_5minusIaEEEE10hipError_tPvRmT2_T3_mT4_P12ihipStream_tbEUlT_E_NS1_11comp_targetILNS1_3genE10ELNS1_11target_archE1201ELNS1_3gpuE5ELNS1_3repE0EEENS1_30default_config_static_selectorELNS0_4arch9wavefront6targetE1EEEvT1_, .Lfunc_end676-_ZN7rocprim17ROCPRIM_400000_NS6detail17trampoline_kernelINS0_14default_configENS1_35adjacent_difference_config_selectorILb1EaEEZNS1_24adjacent_difference_implIS3_Lb1ELb0EPaN6thrust23THRUST_200600_302600_NS16discard_iteratorINS9_11use_defaultEEENS9_5minusIaEEEE10hipError_tPvRmT2_T3_mT4_P12ihipStream_tbEUlT_E_NS1_11comp_targetILNS1_3genE10ELNS1_11target_archE1201ELNS1_3gpuE5ELNS1_3repE0EEENS1_30default_config_static_selectorELNS0_4arch9wavefront6targetE1EEEvT1_
                                        ; -- End function
	.section	.AMDGPU.csdata,"",@progbits
; Kernel info:
; codeLenInByte = 0
; NumSgprs: 6
; NumVgprs: 0
; NumAgprs: 0
; TotalNumVgprs: 0
; ScratchSize: 0
; MemoryBound: 0
; FloatMode: 240
; IeeeMode: 1
; LDSByteSize: 0 bytes/workgroup (compile time only)
; SGPRBlocks: 0
; VGPRBlocks: 0
; NumSGPRsForWavesPerEU: 6
; NumVGPRsForWavesPerEU: 1
; AccumOffset: 4
; Occupancy: 8
; WaveLimiterHint : 0
; COMPUTE_PGM_RSRC2:SCRATCH_EN: 0
; COMPUTE_PGM_RSRC2:USER_SGPR: 2
; COMPUTE_PGM_RSRC2:TRAP_HANDLER: 0
; COMPUTE_PGM_RSRC2:TGID_X_EN: 1
; COMPUTE_PGM_RSRC2:TGID_Y_EN: 0
; COMPUTE_PGM_RSRC2:TGID_Z_EN: 0
; COMPUTE_PGM_RSRC2:TIDIG_COMP_CNT: 0
; COMPUTE_PGM_RSRC3_GFX90A:ACCUM_OFFSET: 0
; COMPUTE_PGM_RSRC3_GFX90A:TG_SPLIT: 0
	.section	.text._ZN7rocprim17ROCPRIM_400000_NS6detail17trampoline_kernelINS0_14default_configENS1_35adjacent_difference_config_selectorILb1EaEEZNS1_24adjacent_difference_implIS3_Lb1ELb0EPaN6thrust23THRUST_200600_302600_NS16discard_iteratorINS9_11use_defaultEEENS9_5minusIaEEEE10hipError_tPvRmT2_T3_mT4_P12ihipStream_tbEUlT_E_NS1_11comp_targetILNS1_3genE5ELNS1_11target_archE942ELNS1_3gpuE9ELNS1_3repE0EEENS1_30default_config_static_selectorELNS0_4arch9wavefront6targetE1EEEvT1_,"axG",@progbits,_ZN7rocprim17ROCPRIM_400000_NS6detail17trampoline_kernelINS0_14default_configENS1_35adjacent_difference_config_selectorILb1EaEEZNS1_24adjacent_difference_implIS3_Lb1ELb0EPaN6thrust23THRUST_200600_302600_NS16discard_iteratorINS9_11use_defaultEEENS9_5minusIaEEEE10hipError_tPvRmT2_T3_mT4_P12ihipStream_tbEUlT_E_NS1_11comp_targetILNS1_3genE5ELNS1_11target_archE942ELNS1_3gpuE9ELNS1_3repE0EEENS1_30default_config_static_selectorELNS0_4arch9wavefront6targetE1EEEvT1_,comdat
	.protected	_ZN7rocprim17ROCPRIM_400000_NS6detail17trampoline_kernelINS0_14default_configENS1_35adjacent_difference_config_selectorILb1EaEEZNS1_24adjacent_difference_implIS3_Lb1ELb0EPaN6thrust23THRUST_200600_302600_NS16discard_iteratorINS9_11use_defaultEEENS9_5minusIaEEEE10hipError_tPvRmT2_T3_mT4_P12ihipStream_tbEUlT_E_NS1_11comp_targetILNS1_3genE5ELNS1_11target_archE942ELNS1_3gpuE9ELNS1_3repE0EEENS1_30default_config_static_selectorELNS0_4arch9wavefront6targetE1EEEvT1_ ; -- Begin function _ZN7rocprim17ROCPRIM_400000_NS6detail17trampoline_kernelINS0_14default_configENS1_35adjacent_difference_config_selectorILb1EaEEZNS1_24adjacent_difference_implIS3_Lb1ELb0EPaN6thrust23THRUST_200600_302600_NS16discard_iteratorINS9_11use_defaultEEENS9_5minusIaEEEE10hipError_tPvRmT2_T3_mT4_P12ihipStream_tbEUlT_E_NS1_11comp_targetILNS1_3genE5ELNS1_11target_archE942ELNS1_3gpuE9ELNS1_3repE0EEENS1_30default_config_static_selectorELNS0_4arch9wavefront6targetE1EEEvT1_
	.globl	_ZN7rocprim17ROCPRIM_400000_NS6detail17trampoline_kernelINS0_14default_configENS1_35adjacent_difference_config_selectorILb1EaEEZNS1_24adjacent_difference_implIS3_Lb1ELb0EPaN6thrust23THRUST_200600_302600_NS16discard_iteratorINS9_11use_defaultEEENS9_5minusIaEEEE10hipError_tPvRmT2_T3_mT4_P12ihipStream_tbEUlT_E_NS1_11comp_targetILNS1_3genE5ELNS1_11target_archE942ELNS1_3gpuE9ELNS1_3repE0EEENS1_30default_config_static_selectorELNS0_4arch9wavefront6targetE1EEEvT1_
	.p2align	8
	.type	_ZN7rocprim17ROCPRIM_400000_NS6detail17trampoline_kernelINS0_14default_configENS1_35adjacent_difference_config_selectorILb1EaEEZNS1_24adjacent_difference_implIS3_Lb1ELb0EPaN6thrust23THRUST_200600_302600_NS16discard_iteratorINS9_11use_defaultEEENS9_5minusIaEEEE10hipError_tPvRmT2_T3_mT4_P12ihipStream_tbEUlT_E_NS1_11comp_targetILNS1_3genE5ELNS1_11target_archE942ELNS1_3gpuE9ELNS1_3repE0EEENS1_30default_config_static_selectorELNS0_4arch9wavefront6targetE1EEEvT1_,@function
_ZN7rocprim17ROCPRIM_400000_NS6detail17trampoline_kernelINS0_14default_configENS1_35adjacent_difference_config_selectorILb1EaEEZNS1_24adjacent_difference_implIS3_Lb1ELb0EPaN6thrust23THRUST_200600_302600_NS16discard_iteratorINS9_11use_defaultEEENS9_5minusIaEEEE10hipError_tPvRmT2_T3_mT4_P12ihipStream_tbEUlT_E_NS1_11comp_targetILNS1_3genE5ELNS1_11target_archE942ELNS1_3gpuE9ELNS1_3repE0EEENS1_30default_config_static_selectorELNS0_4arch9wavefront6targetE1EEEvT1_: ; @_ZN7rocprim17ROCPRIM_400000_NS6detail17trampoline_kernelINS0_14default_configENS1_35adjacent_difference_config_selectorILb1EaEEZNS1_24adjacent_difference_implIS3_Lb1ELb0EPaN6thrust23THRUST_200600_302600_NS16discard_iteratorINS9_11use_defaultEEENS9_5minusIaEEEE10hipError_tPvRmT2_T3_mT4_P12ihipStream_tbEUlT_E_NS1_11comp_targetILNS1_3genE5ELNS1_11target_archE942ELNS1_3gpuE9ELNS1_3repE0EEENS1_30default_config_static_selectorELNS0_4arch9wavefront6targetE1EEEvT1_
; %bb.0:
	s_load_dwordx4 s[12:15], s[0:1], 0x0
	s_load_dwordx2 s[8:9], s[0:1], 0x20
	s_load_dwordx4 s[4:7], s[0:1], 0x30
	s_movk_i32 s0, 0xb80
	s_mul_i32 s17, s2, 0xb80
	s_waitcnt lgkmcnt(0)
	s_add_u32 s3, s12, s14
	s_addc_u32 s16, s13, s15
	s_add_u32 s1, 0, 0x590b2000
	s_addc_u32 s10, 0, 0
	s_add_i32 s10, s10, 0x1642c8
	s_mul_hi_u32 s18, s1, 0xfffff480
	s_sub_i32 s18, s18, s1
	s_mul_i32 s19, s10, 0xfffff480
	s_mul_i32 s11, s1, 0xfffff480
	s_add_i32 s18, s18, s19
	s_mul_hi_u32 s13, s10, s11
	s_mul_i32 s15, s10, s11
	s_mul_i32 s20, s1, s18
	s_mul_hi_u32 s11, s1, s11
	s_mul_hi_u32 s19, s1, s18
	s_add_u32 s11, s11, s20
	s_addc_u32 s19, 0, s19
	s_add_u32 s11, s11, s15
	s_mul_hi_u32 s20, s10, s18
	s_addc_u32 s11, s19, s13
	s_addc_u32 s13, s20, 0
	s_mul_i32 s15, s10, s18
	s_add_u32 s11, s11, s15
	v_mov_b32_e32 v1, s11
	s_addc_u32 s13, 0, s13
	v_add_co_u32_e32 v1, vcc, s1, v1
	s_cmp_lg_u64 vcc, 0
	s_addc_u32 s1, s10, s13
	v_readfirstlane_b32 s13, v1
	s_mul_i32 s11, s8, s1
	s_mul_hi_u32 s15, s8, s13
	s_mul_hi_u32 s10, s8, s1
	s_add_u32 s11, s15, s11
	s_addc_u32 s10, 0, s10
	s_mul_hi_u32 s18, s9, s13
	s_mul_i32 s13, s9, s13
	s_add_u32 s11, s11, s13
	s_mul_hi_u32 s15, s9, s1
	s_addc_u32 s10, s10, s18
	s_addc_u32 s11, s15, 0
	s_mul_i32 s1, s9, s1
	s_add_u32 s10, s10, s1
	s_addc_u32 s1, 0, s11
	s_add_u32 s11, s10, 1
	s_addc_u32 s13, s1, 0
	s_add_u32 s15, s10, 2
	s_mul_i32 s19, s1, 0xb80
	s_mul_hi_u32 s20, s10, 0xb80
	s_addc_u32 s18, s1, 0
	s_add_i32 s20, s20, s19
	s_mul_i32 s19, s10, 0xb80
	v_mov_b32_e32 v1, s19
	v_sub_co_u32_e32 v1, vcc, s8, v1
	s_cmp_lg_u64 vcc, 0
	s_subb_u32 s19, s9, s20
	v_subrev_co_u32_e32 v2, vcc, s0, v1
	s_cmp_lg_u64 vcc, 0
	s_subb_u32 s0, s19, 0
	v_readfirstlane_b32 s20, v2
	s_cmpk_gt_u32 s20, 0xb7f
	s_cselect_b32 s20, -1, 0
	s_cmp_eq_u32 s0, 0
	s_cselect_b32 s0, s20, -1
	s_cmp_lg_u32 s0, 0
	s_cselect_b32 s0, s15, s11
	s_cselect_b32 s11, s18, s13
	v_readfirstlane_b32 s13, v1
	s_cmpk_gt_u32 s13, 0xb7f
	s_cselect_b32 s13, -1, 0
	s_cmp_eq_u32 s19, 0
	s_cselect_b32 s13, s13, -1
	s_cmp_lg_u32 s13, 0
	s_cselect_b32 s1, s11, s1
	s_cselect_b32 s0, s0, s10
	s_mul_i32 s10, s1, 0xb80
	s_mul_hi_u32 s11, s0, 0xb80
	s_add_i32 s11, s11, s10
	s_mul_i32 s10, s0, 0xb80
	s_sub_u32 s10, s8, s10
	s_subb_u32 s11, s9, s11
	s_cmp_lg_u64 s[10:11], 0
	s_mov_b32 s12, 0
	s_cselect_b64 s[10:11], -1, 0
	v_cndmask_b32_e64 v2, 0, 1, s[10:11]
	v_mov_b32_e32 v3, s12
	v_lshl_add_u64 v[2:3], s[0:1], 0, v[2:3]
	s_add_u32 s10, s6, s2
	s_addc_u32 s11, s7, 0
	v_lshl_add_u64 v[8:9], v[2:3], 0, -1
	v_cmp_ge_u64_e64 s[0:1], s[10:11], v[8:9]
	s_movk_i32 s14, 0xf480
	s_mov_b64 s[12:13], -1
	s_and_b64 vcc, exec, s[0:1]
	s_cbranch_vccz .LBB677_48
; %bb.1:
	v_mul_lo_u32 v1, v8, s14
	v_add_u32_e32 v4, s8, v1
	s_add_u32 s12, s3, s17
	s_addc_u32 s13, s16, 0
	v_cmp_lt_u32_e32 vcc, v0, v4
                                        ; implicit-def: $vgpr1
	s_and_saveexec_b64 s[14:15], vcc
	s_cbranch_execz .LBB677_3
; %bb.2:
	global_load_ubyte v1, v0, s[12:13]
.LBB677_3:
	s_or_b64 exec, exec, s[14:15]
	v_or_b32_e32 v5, 0x80, v0
	v_cmp_lt_u32_e32 vcc, v5, v4
                                        ; implicit-def: $vgpr5
	s_and_saveexec_b64 s[14:15], vcc
	s_cbranch_execz .LBB677_5
; %bb.4:
	global_load_ubyte v5, v0, s[12:13] offset:128
.LBB677_5:
	s_or_b64 exec, exec, s[14:15]
	v_or_b32_e32 v6, 0x100, v0
	v_cmp_lt_u32_e32 vcc, v6, v4
                                        ; implicit-def: $vgpr6
	s_and_saveexec_b64 s[14:15], vcc
	s_cbranch_execz .LBB677_7
; %bb.6:
	global_load_ubyte v6, v0, s[12:13] offset:256
.LBB677_7:
	s_or_b64 exec, exec, s[14:15]
	v_or_b32_e32 v7, 0x180, v0
	v_cmp_lt_u32_e32 vcc, v7, v4
                                        ; implicit-def: $vgpr7
	s_and_saveexec_b64 s[14:15], vcc
	s_cbranch_execz .LBB677_9
; %bb.8:
	global_load_ubyte v7, v0, s[12:13] offset:384
.LBB677_9:
	s_or_b64 exec, exec, s[14:15]
	v_or_b32_e32 v10, 0x200, v0
	v_cmp_lt_u32_e32 vcc, v10, v4
                                        ; implicit-def: $vgpr10
	s_and_saveexec_b64 s[14:15], vcc
	s_cbranch_execz .LBB677_11
; %bb.10:
	global_load_ubyte v10, v0, s[12:13] offset:512
.LBB677_11:
	s_or_b64 exec, exec, s[14:15]
	v_or_b32_e32 v11, 0x280, v0
	v_cmp_lt_u32_e32 vcc, v11, v4
                                        ; implicit-def: $vgpr11
	s_and_saveexec_b64 s[14:15], vcc
	s_cbranch_execz .LBB677_13
; %bb.12:
	global_load_ubyte v11, v0, s[12:13] offset:640
.LBB677_13:
	s_or_b64 exec, exec, s[14:15]
	v_or_b32_e32 v12, 0x300, v0
	v_cmp_lt_u32_e32 vcc, v12, v4
                                        ; implicit-def: $vgpr12
	s_and_saveexec_b64 s[14:15], vcc
	s_cbranch_execz .LBB677_15
; %bb.14:
	global_load_ubyte v12, v0, s[12:13] offset:768
.LBB677_15:
	s_or_b64 exec, exec, s[14:15]
	v_or_b32_e32 v13, 0x380, v0
	v_cmp_lt_u32_e32 vcc, v13, v4
                                        ; implicit-def: $vgpr13
	s_and_saveexec_b64 s[14:15], vcc
	s_cbranch_execz .LBB677_17
; %bb.16:
	global_load_ubyte v13, v0, s[12:13] offset:896
.LBB677_17:
	s_or_b64 exec, exec, s[14:15]
	v_or_b32_e32 v14, 0x400, v0
	v_cmp_lt_u32_e32 vcc, v14, v4
                                        ; implicit-def: $vgpr14
	s_and_saveexec_b64 s[14:15], vcc
	s_cbranch_execz .LBB677_19
; %bb.18:
	global_load_ubyte v14, v0, s[12:13] offset:1024
.LBB677_19:
	s_or_b64 exec, exec, s[14:15]
	v_or_b32_e32 v15, 0x480, v0
	v_cmp_lt_u32_e32 vcc, v15, v4
                                        ; implicit-def: $vgpr15
	s_and_saveexec_b64 s[14:15], vcc
	s_cbranch_execz .LBB677_21
; %bb.20:
	global_load_ubyte v15, v0, s[12:13] offset:1152
.LBB677_21:
	s_or_b64 exec, exec, s[14:15]
	v_or_b32_e32 v16, 0x500, v0
	v_cmp_lt_u32_e32 vcc, v16, v4
                                        ; implicit-def: $vgpr16
	s_and_saveexec_b64 s[14:15], vcc
	s_cbranch_execz .LBB677_23
; %bb.22:
	global_load_ubyte v16, v0, s[12:13] offset:1280
.LBB677_23:
	s_or_b64 exec, exec, s[14:15]
	v_or_b32_e32 v17, 0x580, v0
	v_cmp_lt_u32_e32 vcc, v17, v4
                                        ; implicit-def: $vgpr17
	s_and_saveexec_b64 s[14:15], vcc
	s_cbranch_execz .LBB677_25
; %bb.24:
	global_load_ubyte v17, v0, s[12:13] offset:1408
.LBB677_25:
	s_or_b64 exec, exec, s[14:15]
	v_or_b32_e32 v18, 0x600, v0
	v_cmp_lt_u32_e32 vcc, v18, v4
                                        ; implicit-def: $vgpr18
	s_and_saveexec_b64 s[14:15], vcc
	s_cbranch_execz .LBB677_27
; %bb.26:
	global_load_ubyte v18, v0, s[12:13] offset:1536
.LBB677_27:
	s_or_b64 exec, exec, s[14:15]
	v_or_b32_e32 v19, 0x680, v0
	v_cmp_lt_u32_e32 vcc, v19, v4
                                        ; implicit-def: $vgpr19
	s_and_saveexec_b64 s[14:15], vcc
	s_cbranch_execz .LBB677_29
; %bb.28:
	global_load_ubyte v19, v0, s[12:13] offset:1664
.LBB677_29:
	s_or_b64 exec, exec, s[14:15]
	v_or_b32_e32 v20, 0x700, v0
	v_cmp_lt_u32_e32 vcc, v20, v4
                                        ; implicit-def: $vgpr20
	s_and_saveexec_b64 s[14:15], vcc
	s_cbranch_execz .LBB677_31
; %bb.30:
	global_load_ubyte v20, v0, s[12:13] offset:1792
.LBB677_31:
	s_or_b64 exec, exec, s[14:15]
	v_or_b32_e32 v21, 0x780, v0
	v_cmp_lt_u32_e32 vcc, v21, v4
                                        ; implicit-def: $vgpr21
	s_and_saveexec_b64 s[14:15], vcc
	s_cbranch_execz .LBB677_33
; %bb.32:
	global_load_ubyte v21, v0, s[12:13] offset:1920
.LBB677_33:
	s_or_b64 exec, exec, s[14:15]
	v_or_b32_e32 v22, 0x800, v0
	v_cmp_lt_u32_e32 vcc, v22, v4
                                        ; implicit-def: $vgpr22
	s_and_saveexec_b64 s[14:15], vcc
	s_cbranch_execz .LBB677_35
; %bb.34:
	global_load_ubyte v22, v0, s[12:13] offset:2048
.LBB677_35:
	s_or_b64 exec, exec, s[14:15]
	v_or_b32_e32 v23, 0x880, v0
	v_cmp_lt_u32_e32 vcc, v23, v4
                                        ; implicit-def: $vgpr23
	s_and_saveexec_b64 s[14:15], vcc
	s_cbranch_execz .LBB677_37
; %bb.36:
	global_load_ubyte v23, v0, s[12:13] offset:2176
.LBB677_37:
	s_or_b64 exec, exec, s[14:15]
	v_or_b32_e32 v24, 0x900, v0
	v_cmp_lt_u32_e32 vcc, v24, v4
                                        ; implicit-def: $vgpr24
	s_and_saveexec_b64 s[14:15], vcc
	s_cbranch_execz .LBB677_39
; %bb.38:
	global_load_ubyte v24, v0, s[12:13] offset:2304
.LBB677_39:
	s_or_b64 exec, exec, s[14:15]
	v_or_b32_e32 v25, 0x980, v0
	v_cmp_lt_u32_e32 vcc, v25, v4
                                        ; implicit-def: $vgpr25
	s_and_saveexec_b64 s[14:15], vcc
	s_cbranch_execz .LBB677_41
; %bb.40:
	global_load_ubyte v25, v0, s[12:13] offset:2432
.LBB677_41:
	s_or_b64 exec, exec, s[14:15]
	v_or_b32_e32 v26, 0xa00, v0
	v_cmp_lt_u32_e32 vcc, v26, v4
                                        ; implicit-def: $vgpr26
	s_and_saveexec_b64 s[14:15], vcc
	s_cbranch_execz .LBB677_43
; %bb.42:
	global_load_ubyte v26, v0, s[12:13] offset:2560
.LBB677_43:
	s_or_b64 exec, exec, s[14:15]
	v_or_b32_e32 v27, 0xa80, v0
	v_cmp_lt_u32_e32 vcc, v27, v4
                                        ; implicit-def: $vgpr27
	s_and_saveexec_b64 s[14:15], vcc
	s_cbranch_execz .LBB677_45
; %bb.44:
	global_load_ubyte v27, v0, s[12:13] offset:2688
.LBB677_45:
	s_or_b64 exec, exec, s[14:15]
	v_or_b32_e32 v28, 0xb00, v0
	v_cmp_lt_u32_e32 vcc, v28, v4
                                        ; implicit-def: $vgpr4
	s_and_saveexec_b64 s[14:15], vcc
	s_cbranch_execz .LBB677_47
; %bb.46:
	global_load_ubyte v4, v0, s[12:13] offset:2816
.LBB677_47:
	s_or_b64 exec, exec, s[14:15]
	s_mov_b64 s[12:13], 0
	s_waitcnt vmcnt(0)
	ds_write_b8 v0, v1
	ds_write_b8 v0, v5 offset:128
	ds_write_b8 v0, v6 offset:256
	ds_write_b8 v0, v7 offset:384
	ds_write_b8 v0, v10 offset:512
	ds_write_b8 v0, v11 offset:640
	ds_write_b8 v0, v12 offset:768
	ds_write_b8 v0, v13 offset:896
	ds_write_b8 v0, v14 offset:1024
	ds_write_b8 v0, v15 offset:1152
	ds_write_b8 v0, v16 offset:1280
	ds_write_b8 v0, v17 offset:1408
	ds_write_b8 v0, v18 offset:1536
	ds_write_b8 v0, v19 offset:1664
	ds_write_b8 v0, v20 offset:1792
	ds_write_b8 v0, v21 offset:1920
	ds_write_b8 v0, v22 offset:2048
	ds_write_b8 v0, v23 offset:2176
	ds_write_b8 v0, v24 offset:2304
	ds_write_b8 v0, v25 offset:2432
	ds_write_b8 v0, v26 offset:2560
	ds_write_b8 v0, v27 offset:2688
	ds_write_b8 v0, v4 offset:2816
	s_waitcnt lgkmcnt(0)
	s_barrier
.LBB677_48:
	s_and_b64 vcc, exec, s[12:13]
	s_cbranch_vccz .LBB677_50
; %bb.49:
	s_add_u32 s12, s3, s17
	s_addc_u32 s13, s16, 0
	global_load_ubyte v1, v0, s[12:13]
	global_load_ubyte v4, v0, s[12:13] offset:128
	global_load_ubyte v5, v0, s[12:13] offset:256
	global_load_ubyte v6, v0, s[12:13] offset:384
	global_load_ubyte v7, v0, s[12:13] offset:512
	global_load_ubyte v10, v0, s[12:13] offset:640
	global_load_ubyte v11, v0, s[12:13] offset:768
	global_load_ubyte v12, v0, s[12:13] offset:896
	global_load_ubyte v13, v0, s[12:13] offset:1024
	global_load_ubyte v14, v0, s[12:13] offset:1152
	global_load_ubyte v15, v0, s[12:13] offset:1280
	global_load_ubyte v16, v0, s[12:13] offset:1408
	global_load_ubyte v17, v0, s[12:13] offset:1536
	global_load_ubyte v18, v0, s[12:13] offset:1664
	global_load_ubyte v19, v0, s[12:13] offset:1792
	global_load_ubyte v20, v0, s[12:13] offset:1920
	global_load_ubyte v21, v0, s[12:13] offset:2048
	global_load_ubyte v22, v0, s[12:13] offset:2176
	global_load_ubyte v23, v0, s[12:13] offset:2304
	global_load_ubyte v24, v0, s[12:13] offset:2432
	global_load_ubyte v25, v0, s[12:13] offset:2560
	global_load_ubyte v26, v0, s[12:13] offset:2688
	global_load_ubyte v27, v0, s[12:13] offset:2816
	s_waitcnt vmcnt(22)
	ds_write_b8 v0, v1
	s_waitcnt vmcnt(21)
	ds_write_b8 v0, v4 offset:128
	s_waitcnt vmcnt(20)
	ds_write_b8 v0, v5 offset:256
	;; [unrolled: 2-line block ×22, first 2 shown]
	s_waitcnt lgkmcnt(0)
	s_barrier
.LBB677_50:
	v_mul_u32_u24_e32 v1, 23, v0
	ds_read_u8 v12, v1
	ds_read_b64 v[6:7], v1 offset:1
	ds_read_u8 v11, v1 offset:9
	ds_read_b64 v[4:5], v1 offset:10
	ds_read_u8 v10, v1 offset:18
	ds_read_b32 v1, v1 offset:19
	s_cmp_eq_u64 s[10:11], 0
	s_waitcnt lgkmcnt(0)
	s_barrier
	s_cbranch_scc1 .LBB677_55
; %bb.51:
	s_add_u32 s3, s4, s6
	s_addc_u32 s4, s5, s7
	s_add_u32 s2, s3, s2
	s_addc_u32 s3, s4, 0
	v_mov_b32_e32 v13, 0
	global_load_ubyte v16, v13, s[2:3] offset:-1
	v_cmp_eq_u64_e32 vcc, s[10:11], v[8:9]
	s_cbranch_vccnz .LBB677_56
; %bb.52:
	v_lshrrev_b32_e32 v8, 24, v1
	ds_write_b8 v0, v8
	v_cmp_ne_u32_e32 vcc, 0, v0
	s_waitcnt vmcnt(0)
	v_mov_b32_e32 v8, v16
	s_waitcnt lgkmcnt(0)
	s_barrier
	s_and_saveexec_b64 s[2:3], vcc
	s_cbranch_execz .LBB677_54
; %bb.53:
	v_add_u32_e32 v8, -1, v0
	ds_read_u8 v8, v8
.LBB677_54:
	s_or_b64 exec, exec, s[2:3]
	v_lshrrev_b32_e32 v9, 16, v6
	v_lshlrev_b16_e32 v18, 8, v6
	v_lshlrev_b16_e32 v19, 8, v9
	v_mov_b32_e32 v22, 8
	v_lshrrev_b32_e32 v9, 16, v4
	v_lshrrev_b32_sdwa v18, v22, v18 dst_sel:BYTE_1 dst_unused:UNUSED_PAD src0_sel:DWORD src1_sel:DWORD
	v_lshrrev_b32_sdwa v19, v22, v19 dst_sel:BYTE_1 dst_unused:UNUSED_PAD src0_sel:DWORD src1_sel:DWORD
	v_lshlrev_b16_e32 v20, 8, v4
	v_lshlrev_b16_e32 v21, 8, v9
	v_or_b32_sdwa v18, v12, v18 dst_sel:DWORD dst_unused:UNUSED_PAD src0_sel:BYTE_0 src1_sel:DWORD
	v_or_b32_sdwa v19, v6, v19 dst_sel:WORD_1 dst_unused:UNUSED_PAD src0_sel:BYTE_1 src1_sel:DWORD
	s_mov_b32 s2, 0x2010007
	v_or_b32_sdwa v19, v18, v19 dst_sel:DWORD dst_unused:UNUSED_PAD src0_sel:WORD_0 src1_sel:DWORD
	v_lshrrev_b32_sdwa v18, v22, v20 dst_sel:BYTE_1 dst_unused:UNUSED_PAD src0_sel:DWORD src1_sel:DWORD
	v_lshrrev_b32_sdwa v20, v22, v21 dst_sel:BYTE_1 dst_unused:UNUSED_PAD src0_sel:DWORD src1_sel:DWORD
	v_perm_b32 v17, v6, v7, s2
	v_perm_b32 v15, v4, v5, s2
	s_mov_b32 s2, 0x2010004
	v_or_b32_sdwa v18, v11, v18 dst_sel:DWORD dst_unused:UNUSED_PAD src0_sel:BYTE_0 src1_sel:DWORD
	v_or_b32_sdwa v20, v4, v20 dst_sel:WORD_1 dst_unused:UNUSED_PAD src0_sel:BYTE_1 src1_sel:DWORD
	s_waitcnt lgkmcnt(0)
	v_sub_u16_e32 v13, v12, v8
	v_lshrrev_b32_e32 v14, 24, v7
	v_lshrrev_b32_e32 v9, 24, v5
	v_perm_b32 v8, v10, v1, s2
	v_or_b32_sdwa v18, v18, v20 dst_sel:DWORD dst_unused:UNUSED_PAD src0_sel:WORD_0 src1_sel:DWORD
	s_branch .LBB677_60
.LBB677_55:
                                        ; implicit-def: $vgpr15
                                        ; implicit-def: $vgpr18
                                        ; implicit-def: $vgpr17
                                        ; implicit-def: $vgpr19
                                        ; implicit-def: $vgpr8
                                        ; implicit-def: $vgpr13
                                        ; implicit-def: $vgpr14
                                        ; implicit-def: $vgpr9
	s_branch .LBB677_61
.LBB677_56:
                                        ; implicit-def: $vgpr15
                                        ; implicit-def: $vgpr18
                                        ; implicit-def: $vgpr17
                                        ; implicit-def: $vgpr19
                                        ; implicit-def: $vgpr8
                                        ; implicit-def: $vgpr13
                                        ; implicit-def: $vgpr14
                                        ; implicit-def: $vgpr9
	s_cbranch_execz .LBB677_60
; %bb.57:
	v_lshrrev_b32_e32 v8, 24, v1
	v_mul_u32_u24_e32 v13, 23, v0
	v_cmp_ne_u32_e32 vcc, 0, v0
	ds_write_b8 v0, v8
	s_waitcnt lgkmcnt(0)
	s_barrier
	s_and_saveexec_b64 s[2:3], vcc
	s_cbranch_execz .LBB677_59
; %bb.58:
	v_add_u32_e32 v8, -1, v0
	s_waitcnt vmcnt(0)
	ds_read_u8 v16, v8
.LBB677_59:
	s_or_b64 exec, exec, s[2:3]
	s_mul_i32 s2, s10, 0xfffff480
	s_add_i32 s2, s2, s8
	v_add_u32_e32 v25, 20, v13
	v_add_u32_e32 v26, 19, v13
	v_cmp_gt_u32_e32 vcc, s2, v25
	v_add_u32_e32 v27, 21, v13
	v_lshrrev_b16_e32 v9, 8, v1
	v_cndmask_b32_e32 v25, 0, v1, vcc
	v_cmp_gt_u32_e32 vcc, s2, v26
	v_add_u32_e32 v28, 22, v13
	v_lshrrev_b32_e32 v8, 16, v1
	v_cndmask_b32_e32 v26, 0, v10, vcc
	v_cmp_gt_u32_e32 vcc, s2, v27
	v_lshlrev_b16_e32 v25, 8, v25
	v_or_b32_sdwa v25, v26, v25 dst_sel:DWORD dst_unused:UNUSED_PAD src0_sel:BYTE_0 src1_sel:DWORD
	v_cndmask_b32_e32 v9, 0, v9, vcc
	v_cmp_gt_u32_e32 vcc, s2, v28
	v_lshrrev_b16_e32 v24, 8, v5
	v_add_u32_e32 v26, 17, v13
	v_cndmask_b32_e32 v8, 0, v8, vcc
	v_lshlrev_b16_e32 v8, 8, v8
	v_or_b32_sdwa v8, v9, v8 dst_sel:WORD_1 dst_unused:UNUSED_PAD src0_sel:DWORD src1_sel:DWORD
	v_add_u32_e32 v9, 18, v13
	v_or_b32_sdwa v8, v25, v8 dst_sel:DWORD dst_unused:UNUSED_PAD src0_sel:WORD_0 src1_sel:DWORD
	v_lshrrev_b32_e32 v25, 24, v5
	v_cmp_gt_u32_e32 vcc, s2, v9
	v_lshrrev_b32_e32 v23, 16, v5
	v_add_u32_e32 v27, 14, v13
	v_cndmask_b32_e32 v9, 0, v25, vcc
	v_add_u32_e32 v25, 16, v13
	v_cmp_gt_u32_e32 vcc, s2, v25
	v_lshrrev_b32_e32 v22, 24, v4
	v_add_u32_e32 v28, 15, v13
	v_cndmask_b32_e32 v24, 0, v24, vcc
	v_cmp_gt_u32_e32 vcc, s2, v26
	v_add_u32_e32 v29, 12, v13
	v_lshrrev_b16_e32 v21, 8, v4
	v_cndmask_b32_e32 v23, 0, v23, vcc
	v_cmp_gt_u32_e32 vcc, s2, v27
	v_add_u32_e32 v30, 13, v13
	v_lshrrev_b32_e32 v14, 16, v4
	v_cndmask_b32_e32 v22, 0, v22, vcc
	v_cmp_gt_u32_e32 vcc, s2, v28
	v_add_u32_e32 v31, 11, v13
	v_add_u32_e32 v32, 10, v13
	v_cndmask_b32_e32 v26, 0, v5, vcc
	v_cmp_gt_u32_e32 vcc, s2, v29
	v_lshrrev_b16_e32 v20, 8, v7
	v_lshrrev_b32_e32 v19, 16, v7
	v_cndmask_b32_e32 v21, 0, v21, vcc
	v_cmp_gt_u32_e32 vcc, s2, v30
	v_lshrrev_b32_e32 v30, 24, v7
	v_lshrrev_b32_e32 v18, 24, v6
	v_cndmask_b32_e32 v14, 0, v14, vcc
	v_cmp_gt_u32_e32 vcc, s2, v31
	v_lshlrev_b16_e32 v27, 8, v14
	v_add_u32_e32 v31, 8, v13
	v_cndmask_b32_e32 v14, 0, v4, vcc
	v_lshlrev_b16_e32 v28, 8, v14
	v_cmp_gt_u32_e32 vcc, s2, v32
	v_add_u32_e32 v14, 9, v13
	v_add_u32_e32 v32, 5, v13
	v_cndmask_b32_e32 v29, 0, v11, vcc
	v_cmp_gt_u32_e32 vcc, s2, v14
	v_add_u32_e32 v33, 6, v13
	v_mov_b32_e32 v25, 8
	v_cndmask_b32_e32 v14, 0, v30, vcc
	v_add_u32_e32 v30, 7, v13
	v_cmp_gt_u32_e32 vcc, s2, v30
	v_add_u32_e32 v34, 3, v13
	v_lshrrev_b16_e32 v17, 8, v6
	v_cndmask_b32_e32 v20, 0, v20, vcc
	v_cmp_gt_u32_e32 vcc, s2, v31
	v_add_u32_e32 v35, 4, v13
	v_lshrrev_b32_e32 v15, 16, v6
	v_cndmask_b32_e32 v19, 0, v19, vcc
	v_cmp_gt_u32_e32 vcc, s2, v32
	v_lshlrev_b16_e32 v19, 8, v19
	v_lshrrev_b32_sdwa v30, v25, v19 dst_sel:BYTE_1 dst_unused:UNUSED_PAD src0_sel:DWORD src1_sel:DWORD
	v_cndmask_b32_e32 v18, 0, v18, vcc
	v_cmp_gt_u32_e32 vcc, s2, v33
	v_add_u32_e32 v36, 2, v13
	v_add_u32_e32 v37, 1, v13
	v_cndmask_b32_e32 v19, 0, v7, vcc
	v_cmp_gt_u32_e32 vcc, s2, v34
	v_lshlrev_b16_e32 v19, 8, v19
	v_lshrrev_b32_sdwa v31, v25, v19 dst_sel:BYTE_1 dst_unused:UNUSED_PAD src0_sel:DWORD src1_sel:DWORD
	v_cndmask_b32_e32 v17, 0, v17, vcc
	v_cmp_gt_u32_e32 vcc, s2, v35
	v_lshlrev_b16_e32 v23, 8, v23
	v_lshlrev_b16_e32 v26, 8, v26
	v_cndmask_b32_e32 v15, 0, v15, vcc
	v_cmp_gt_u32_e32 vcc, s2, v36
	v_lshlrev_b16_e32 v15, 8, v15
	v_lshrrev_b32_sdwa v15, v25, v15 dst_sel:BYTE_1 dst_unused:UNUSED_PAD src0_sel:DWORD src1_sel:DWORD
	v_cndmask_b32_e32 v19, 0, v6, vcc
	v_cmp_gt_u32_e32 vcc, s2, v37
	v_lshlrev_b16_e32 v19, 8, v19
	v_or_b32_sdwa v15, v17, v15 dst_sel:WORD_1 dst_unused:UNUSED_PAD src0_sel:DWORD src1_sel:DWORD
	v_cndmask_b32_e32 v32, 0, v12, vcc
	v_cmp_gt_u32_e32 vcc, s2, v13
	v_lshrrev_b32_sdwa v23, v25, v23 dst_sel:BYTE_1 dst_unused:UNUSED_PAD src0_sel:DWORD src1_sel:DWORD
	v_lshrrev_b32_sdwa v26, v25, v26 dst_sel:BYTE_1 dst_unused:UNUSED_PAD src0_sel:DWORD src1_sel:DWORD
	s_waitcnt vmcnt(0) lgkmcnt(0)
	v_cndmask_b32_e32 v13, 0, v16, vcc
	v_lshrrev_b32_sdwa v16, v25, v19 dst_sel:BYTE_1 dst_unused:UNUSED_PAD src0_sel:DWORD src1_sel:DWORD
	v_sub_u16_e32 v13, v12, v13
	v_or_b32_sdwa v16, v32, v16 dst_sel:DWORD dst_unused:UNUSED_PAD src0_sel:BYTE_0 src1_sel:DWORD
	v_or_b32_sdwa v19, v16, v15 dst_sel:DWORD dst_unused:UNUSED_PAD src0_sel:WORD_0 src1_sel:DWORD
	v_or_b32_e32 v15, v18, v31
	v_or_b32_sdwa v16, v20, v30 dst_sel:WORD_1 dst_unused:UNUSED_PAD src0_sel:DWORD src1_sel:DWORD
	s_nop 0
	v_or_b32_sdwa v17, v15, v16 dst_sel:DWORD dst_unused:UNUSED_PAD src0_sel:WORD_0 src1_sel:DWORD
	v_lshrrev_b32_sdwa v15, v25, v28 dst_sel:BYTE_1 dst_unused:UNUSED_PAD src0_sel:DWORD src1_sel:DWORD
	v_lshrrev_b32_sdwa v16, v25, v27 dst_sel:BYTE_1 dst_unused:UNUSED_PAD src0_sel:DWORD src1_sel:DWORD
	v_or_b32_sdwa v15, v29, v15 dst_sel:DWORD dst_unused:UNUSED_PAD src0_sel:BYTE_0 src1_sel:DWORD
	v_or_b32_sdwa v16, v21, v16 dst_sel:WORD_1 dst_unused:UNUSED_PAD src0_sel:DWORD src1_sel:DWORD
	s_nop 0
	v_or_b32_sdwa v18, v15, v16 dst_sel:DWORD dst_unused:UNUSED_PAD src0_sel:WORD_0 src1_sel:DWORD
	v_or_b32_e32 v15, v22, v26
	v_or_b32_sdwa v16, v24, v23 dst_sel:WORD_1 dst_unused:UNUSED_PAD src0_sel:DWORD src1_sel:DWORD
	s_nop 0
	v_or_b32_sdwa v15, v15, v16 dst_sel:DWORD dst_unused:UNUSED_PAD src0_sel:WORD_0 src1_sel:DWORD
.LBB677_60:
	s_cbranch_execnz .LBB677_70
.LBB677_61:
	v_cmp_eq_u64_e32 vcc, 1, v[2:3]
	v_cmp_ne_u32_e64 s[2:3], 0, v0
	s_cbranch_vccnz .LBB677_65
; %bb.62:
	v_lshrrev_b32_e32 v3, 16, v6
	v_lshlrev_b16_e32 v2, 8, v6
	v_lshlrev_b16_e32 v8, 8, v3
	v_lshrrev_b32_e32 v3, 16, v4
	v_mov_b32_e32 v14, 8
	v_lshlrev_b16_e32 v13, 8, v3
	v_lshrrev_b32_e32 v3, 24, v1
	v_lshrrev_b32_sdwa v2, v14, v2 dst_sel:BYTE_1 dst_unused:UNUSED_PAD src0_sel:DWORD src1_sel:DWORD
	v_lshlrev_b16_e32 v9, 8, v4
	ds_write_b8 v0, v3
	v_or_b32_sdwa v3, v12, v2 dst_sel:DWORD dst_unused:UNUSED_PAD src0_sel:BYTE_0 src1_sel:DWORD
	v_lshrrev_b32_sdwa v2, v14, v8 dst_sel:BYTE_1 dst_unused:UNUSED_PAD src0_sel:DWORD src1_sel:DWORD
	s_mov_b32 s7, 0x2010007
	s_waitcnt vmcnt(0)
	v_or_b32_sdwa v16, v6, v2 dst_sel:WORD_1 dst_unused:UNUSED_PAD src0_sel:BYTE_1 src1_sel:DWORD
	v_lshrrev_b32_sdwa v2, v14, v9 dst_sel:BYTE_1 dst_unused:UNUSED_PAD src0_sel:DWORD src1_sel:DWORD
	s_mov_b32 s6, 0x2010004
	v_or_b32_sdwa v18, v11, v2 dst_sel:DWORD dst_unused:UNUSED_PAD src0_sel:BYTE_0 src1_sel:DWORD
	v_lshrrev_b32_sdwa v2, v14, v13 dst_sel:BYTE_1 dst_unused:UNUSED_PAD src0_sel:DWORD src1_sel:DWORD
	v_mov_b32_e32 v13, v12
	v_or_b32_sdwa v20, v4, v2 dst_sel:WORD_1 dst_unused:UNUSED_PAD src0_sel:BYTE_1 src1_sel:DWORD
	v_mov_b32_e32 v2, 0
	s_waitcnt lgkmcnt(0)
	s_barrier
	s_and_saveexec_b64 s[4:5], s[2:3]
	s_cbranch_execz .LBB677_64
; %bb.63:
	v_add_u32_e32 v2, -1, v0
	ds_read_u8 v2, v2
	s_waitcnt lgkmcnt(0)
	v_sub_u16_e32 v13, v12, v2
	v_mov_b32_e32 v2, v0
.LBB677_64:
	s_or_b64 exec, exec, s[4:5]
	v_perm_b32 v17, v6, v7, s7
	v_lshrrev_b32_e32 v14, 24, v7
	v_perm_b32 v15, v4, v5, s7
	v_lshrrev_b32_e32 v9, 24, v5
	v_perm_b32 v8, v10, v1, s6
	v_or_b32_sdwa v19, v3, v16 dst_sel:DWORD dst_unused:UNUSED_PAD src0_sel:WORD_0 src1_sel:DWORD
	v_or_b32_sdwa v18, v18, v20 dst_sel:DWORD dst_unused:UNUSED_PAD src0_sel:WORD_0 src1_sel:DWORD
	s_cbranch_execz .LBB677_66
	s_branch .LBB677_69
.LBB677_65:
                                        ; implicit-def: $vgpr15
                                        ; implicit-def: $vgpr18
                                        ; implicit-def: $vgpr17
                                        ; implicit-def: $vgpr19
                                        ; implicit-def: $vgpr8
                                        ; implicit-def: $vgpr13
                                        ; implicit-def: $vgpr14
                                        ; implicit-def: $vgpr9
                                        ; implicit-def: $vgpr2
.LBB677_66:
	v_lshrrev_b32_e32 v2, 24, v1
	ds_write_b8 v0, v2
	v_mad_u32_u24 v2, v0, 23, 20
	v_mad_u32_u24 v9, v0, 23, 19
	v_cmp_gt_u32_e32 vcc, s8, v2
	v_mad_u32_u24 v24, v0, 23, 21
	v_lshrrev_b16_e32 v8, 8, v1
	v_cndmask_b32_e32 v2, 0, v1, vcc
	v_cmp_gt_u32_e32 vcc, s8, v9
	v_mad_u32_u24 v25, v0, 23, 22
	v_lshrrev_b32_e32 v3, 16, v1
	v_cndmask_b32_e32 v9, 0, v10, vcc
	v_cmp_gt_u32_e32 vcc, s8, v24
	v_lshrrev_b16_e32 v22, 8, v5
	v_mad_u32_u24 v24, v0, 23, 17
	v_cndmask_b32_e32 v8, 0, v8, vcc
	v_cmp_gt_u32_e32 vcc, s8, v25
	v_lshrrev_b32_e32 v21, 16, v5
	v_mad_u32_u24 v25, v0, 23, 14
	v_cndmask_b32_e32 v3, 0, v3, vcc
	v_lshlrev_b16_e32 v3, 8, v3
	v_or_b32_sdwa v3, v8, v3 dst_sel:WORD_1 dst_unused:UNUSED_PAD src0_sel:DWORD src1_sel:DWORD
	v_mad_u32_u24 v8, v0, 23, 18
	v_cmp_gt_u32_e32 vcc, s8, v8
	v_mad_u32_u24 v8, v0, 23, 16
	v_cmp_gt_u32_e64 s[2:3], s8, v8
	v_lshrrev_b32_e32 v20, 24, v4
	v_mad_u32_u24 v26, v0, 23, 15
	v_cndmask_b32_e64 v8, 0, v22, s[2:3]
	v_cmp_gt_u32_e64 s[2:3], s8, v24
	v_mad_u32_u24 v27, v0, 23, 12
	v_lshrrev_b16_e32 v19, 8, v4
	v_cndmask_b32_e64 v21, 0, v21, s[2:3]
	v_cmp_gt_u32_e64 s[2:3], s8, v25
	v_mad_u32_u24 v28, v0, 23, 13
	v_lshrrev_b32_e32 v13, 16, v4
	v_cndmask_b32_e64 v25, 0, v20, s[2:3]
	v_cmp_gt_u32_e64 s[2:3], s8, v26
	v_mad_u32_u24 v29, v0, 23, 11
	v_lshrrev_b16_e32 v18, 8, v7
	v_cndmask_b32_e64 v20, 0, v5, s[2:3]
	v_cmp_gt_u32_e64 s[2:3], s8, v27
	v_lshrrev_b32_e32 v17, 16, v7
	v_mad_u32_u24 v30, v0, 23, 10
	v_cndmask_b32_e64 v19, 0, v19, s[2:3]
	v_cmp_gt_u32_e64 s[2:3], s8, v28
	v_mad_u32_u24 v28, v0, 23, 7
	v_cmp_gt_u32_e64 s[4:5], s8, v28
	v_cndmask_b32_e64 v13, 0, v13, s[2:3]
	v_cmp_gt_u32_e64 s[2:3], s8, v29
	v_mad_u32_u24 v29, v0, 23, 8
	v_lshlrev_b16_e32 v21, 8, v21
	v_mov_b32_e32 v22, 8
	v_cndmask_b32_e64 v18, 0, v18, s[4:5]
	v_cmp_gt_u32_e64 s[4:5], s8, v29
	v_lshrrev_b32_sdwa v24, v22, v21 dst_sel:BYTE_1 dst_unused:UNUSED_PAD src0_sel:DWORD src1_sel:DWORD
	v_lshlrev_b16_e32 v21, 8, v13
	v_cndmask_b32_e64 v13, 0, v4, s[2:3]
	v_cmp_gt_u32_e64 s[2:3], s8, v30
	v_mad_u32_u24 v30, v0, 23, 5
	v_cndmask_b32_e64 v17, 0, v17, s[4:5]
	s_waitcnt vmcnt(0)
	v_lshrrev_b32_e32 v16, 24, v6
	v_mad_u32_u24 v31, v0, 23, 6
	v_lshlrev_b16_e32 v17, 8, v17
	v_cmp_gt_u32_e64 s[4:5], s8, v30
	v_lshrrev_b32_sdwa v28, v22, v17 dst_sel:BYTE_1 dst_unused:UNUSED_PAD src0_sel:DWORD src1_sel:DWORD
	v_mad_u32_u24 v32, v0, 23, 3
	v_cndmask_b32_e64 v17, 0, v16, s[4:5]
	v_cmp_gt_u32_e64 s[4:5], s8, v31
	v_lshrrev_b16_e32 v15, 8, v6
	v_mad_u32_u24 v33, v0, 23, 4
	v_cndmask_b32_e64 v16, 0, v7, s[4:5]
	v_lshlrev_b16_e32 v16, 8, v16
	v_cmp_gt_u32_e64 s[4:5], s8, v32
	v_lshrrev_b32_e32 v14, 16, v6
	v_lshrrev_b32_sdwa v29, v22, v16 dst_sel:BYTE_1 dst_unused:UNUSED_PAD src0_sel:DWORD src1_sel:DWORD
	v_cndmask_b32_e64 v16, 0, v15, s[4:5]
	v_cmp_gt_u32_e64 s[4:5], s8, v33
	v_mad_u32_u24 v34, v0, 23, 2
	v_lshlrev_b16_e32 v20, 8, v20
	v_cndmask_b32_e64 v14, 0, v14, s[4:5]
	v_lshlrev_b16_e32 v14, 8, v14
	v_cmp_gt_u32_e64 s[4:5], s8, v34
	v_lshrrev_b32_sdwa v26, v22, v20 dst_sel:BYTE_1 dst_unused:UNUSED_PAD src0_sel:DWORD src1_sel:DWORD
	v_lshlrev_b16_e32 v20, 8, v13
	v_mad_u32_u24 v35, v0, 23, 1
	v_cndmask_b32_e64 v15, 0, v6, s[4:5]
	v_lshrrev_b32_sdwa v14, v22, v14 dst_sel:BYTE_1 dst_unused:UNUSED_PAD src0_sel:DWORD src1_sel:DWORD
	v_mul_u32_u24_e32 v23, 23, v0
	v_cndmask_b32_e64 v27, 0, v11, s[2:3]
	v_lshlrev_b16_e32 v15, 8, v15
	v_cmp_gt_u32_e64 s[4:5], s8, v35
	v_or_b32_sdwa v16, v16, v14 dst_sel:WORD_1 dst_unused:UNUSED_PAD src0_sel:DWORD src1_sel:DWORD
	v_lshrrev_b32_sdwa v14, v22, v20 dst_sel:BYTE_1 dst_unused:UNUSED_PAD src0_sel:DWORD src1_sel:DWORD
	v_lshlrev_b16_e32 v2, 8, v2
	v_mad_u32_u24 v13, v0, 23, 9
	v_cndmask_b32_e64 v30, 0, v12, s[4:5]
	v_cmp_ne_u32_e64 s[4:5], 0, v0
	v_cmp_gt_u32_e64 s[6:7], s8, v23
	v_lshrrev_b32_sdwa v15, v22, v15 dst_sel:BYTE_1 dst_unused:UNUSED_PAD src0_sel:DWORD src1_sel:DWORD
	v_or_b32_sdwa v20, v27, v14 dst_sel:DWORD dst_unused:UNUSED_PAD src0_sel:BYTE_0 src1_sel:DWORD
	v_lshrrev_b32_sdwa v14, v22, v21 dst_sel:BYTE_1 dst_unused:UNUSED_PAD src0_sel:DWORD src1_sel:DWORD
	v_or_b32_sdwa v2, v9, v2 dst_sel:DWORD dst_unused:UNUSED_PAD src0_sel:BYTE_0 src1_sel:DWORD
	v_lshrrev_b32_e32 v9, 24, v5
	v_cmp_gt_u32_e64 s[2:3], s8, v13
	v_lshrrev_b32_e32 v13, 24, v7
	s_and_b64 s[6:7], s[4:5], s[6:7]
	v_or_b32_sdwa v15, v30, v15 dst_sel:DWORD dst_unused:UNUSED_PAD src0_sel:BYTE_0 src1_sel:DWORD
	v_or_b32_e32 v17, v17, v29
	v_or_b32_sdwa v18, v18, v28 dst_sel:WORD_1 dst_unused:UNUSED_PAD src0_sel:DWORD src1_sel:DWORD
	v_or_b32_sdwa v21, v19, v14 dst_sel:WORD_1 dst_unused:UNUSED_PAD src0_sel:DWORD src1_sel:DWORD
	v_or_b32_e32 v22, v25, v26
	v_or_b32_sdwa v23, v8, v24 dst_sel:WORD_1 dst_unused:UNUSED_PAD src0_sel:DWORD src1_sel:DWORD
	s_waitcnt lgkmcnt(0)
	s_barrier
	s_and_saveexec_b64 s[4:5], s[6:7]
	s_cbranch_execz .LBB677_68
; %bb.67:
	v_add_u32_e32 v8, -1, v0
	ds_read_u8 v8, v8
	s_waitcnt lgkmcnt(0)
	v_sub_u16_e32 v12, v12, v8
.LBB677_68:
	s_or_b64 exec, exec, s[4:5]
	v_or_b32_sdwa v8, v2, v3 dst_sel:DWORD dst_unused:UNUSED_PAD src0_sel:WORD_0 src1_sel:DWORD
	v_cndmask_b32_e32 v9, 0, v9, vcc
	v_cndmask_b32_e64 v14, 0, v13, s[2:3]
	v_or_b32_sdwa v19, v15, v16 dst_sel:DWORD dst_unused:UNUSED_PAD src0_sel:WORD_0 src1_sel:DWORD
	v_or_b32_sdwa v17, v17, v18 dst_sel:DWORD dst_unused:UNUSED_PAD src0_sel:WORD_0 src1_sel:DWORD
	;; [unrolled: 1-line block ×4, first 2 shown]
	v_mov_b32_e32 v13, v12
	v_mov_b32_e32 v2, v0
.LBB677_69:
	v_mov_b32_e32 v0, v2
.LBB677_70:
	v_sub_u16_sdwa v2, v7, v17 dst_sel:BYTE_1 dst_unused:UNUSED_PAD src0_sel:BYTE_3 src1_sel:BYTE_3
	v_sub_u16_sdwa v3, v7, v17 dst_sel:DWORD dst_unused:UNUSED_PAD src0_sel:WORD_1 src1_sel:WORD_1
	v_or_b32_sdwa v2, v3, v2 dst_sel:WORD_1 dst_unused:UNUSED_PAD src0_sel:BYTE_0 src1_sel:DWORD
	v_sub_u16_sdwa v3, v7, v17 dst_sel:BYTE_1 dst_unused:UNUSED_PAD src0_sel:BYTE_1 src1_sel:BYTE_1
	v_sub_u16_e32 v7, v7, v17
	v_or_b32_sdwa v3, v7, v3 dst_sel:DWORD dst_unused:UNUSED_PAD src0_sel:BYTE_0 src1_sel:DWORD
	v_or_b32_sdwa v3, v3, v2 dst_sel:DWORD dst_unused:UNUSED_PAD src0_sel:WORD_0 src1_sel:DWORD
	v_sub_u16_sdwa v2, v6, v19 dst_sel:BYTE_1 dst_unused:UNUSED_PAD src0_sel:BYTE_3 src1_sel:BYTE_3
	v_sub_u16_sdwa v7, v6, v19 dst_sel:DWORD dst_unused:UNUSED_PAD src0_sel:WORD_1 src1_sel:WORD_1
	v_or_b32_sdwa v2, v7, v2 dst_sel:WORD_1 dst_unused:UNUSED_PAD src0_sel:BYTE_0 src1_sel:DWORD
	v_sub_u16_sdwa v7, v6, v19 dst_sel:BYTE_1 dst_unused:UNUSED_PAD src0_sel:BYTE_1 src1_sel:BYTE_1
	v_sub_u16_e32 v6, v6, v19
	v_or_b32_sdwa v6, v6, v7 dst_sel:DWORD dst_unused:UNUSED_PAD src0_sel:BYTE_0 src1_sel:DWORD
	v_or_b32_sdwa v2, v6, v2 dst_sel:DWORD dst_unused:UNUSED_PAD src0_sel:WORD_0 src1_sel:DWORD
	v_sub_u16_e32 v6, v11, v14
	v_sub_u16_sdwa v7, v5, v15 dst_sel:BYTE_1 dst_unused:UNUSED_PAD src0_sel:BYTE_3 src1_sel:BYTE_3
	v_sub_u16_sdwa v11, v5, v15 dst_sel:DWORD dst_unused:UNUSED_PAD src0_sel:WORD_1 src1_sel:WORD_1
	v_or_b32_sdwa v7, v11, v7 dst_sel:WORD_1 dst_unused:UNUSED_PAD src0_sel:BYTE_0 src1_sel:DWORD
	v_sub_u16_sdwa v11, v5, v15 dst_sel:BYTE_1 dst_unused:UNUSED_PAD src0_sel:BYTE_1 src1_sel:BYTE_1
	v_sub_u16_e32 v5, v5, v15
	v_or_b32_sdwa v5, v5, v11 dst_sel:DWORD dst_unused:UNUSED_PAD src0_sel:BYTE_0 src1_sel:DWORD
	v_or_b32_sdwa v5, v5, v7 dst_sel:DWORD dst_unused:UNUSED_PAD src0_sel:WORD_0 src1_sel:DWORD
	v_sub_u16_sdwa v7, v4, v18 dst_sel:BYTE_1 dst_unused:UNUSED_PAD src0_sel:BYTE_3 src1_sel:BYTE_3
	v_sub_u16_sdwa v11, v4, v18 dst_sel:DWORD dst_unused:UNUSED_PAD src0_sel:WORD_1 src1_sel:WORD_1
	v_or_b32_sdwa v7, v11, v7 dst_sel:WORD_1 dst_unused:UNUSED_PAD src0_sel:BYTE_0 src1_sel:DWORD
	v_sub_u16_sdwa v11, v4, v18 dst_sel:BYTE_1 dst_unused:UNUSED_PAD src0_sel:BYTE_1 src1_sel:BYTE_1
	v_sub_u16_e32 v4, v4, v18
	v_or_b32_sdwa v4, v4, v11 dst_sel:DWORD dst_unused:UNUSED_PAD src0_sel:BYTE_0 src1_sel:DWORD
	v_or_b32_sdwa v4, v4, v7 dst_sel:DWORD dst_unused:UNUSED_PAD src0_sel:WORD_0 src1_sel:DWORD
	v_sub_u16_e32 v7, v10, v9
	v_sub_u16_sdwa v9, v1, v8 dst_sel:BYTE_1 dst_unused:UNUSED_PAD src0_sel:BYTE_3 src1_sel:BYTE_3
	v_sub_u16_sdwa v10, v1, v8 dst_sel:DWORD dst_unused:UNUSED_PAD src0_sel:WORD_1 src1_sel:WORD_1
	v_or_b32_sdwa v9, v10, v9 dst_sel:WORD_1 dst_unused:UNUSED_PAD src0_sel:BYTE_0 src1_sel:DWORD
	v_sub_u16_sdwa v10, v1, v8 dst_sel:BYTE_1 dst_unused:UNUSED_PAD src0_sel:BYTE_1 src1_sel:BYTE_1
	v_sub_u16_e32 v1, v1, v8
	v_or_b32_sdwa v1, v1, v10 dst_sel:DWORD dst_unused:UNUSED_PAD src0_sel:BYTE_0 src1_sel:DWORD
	v_mul_u32_u24_e32 v0, 23, v0
	s_mov_b64 s[2:3], -1
	s_and_b64 vcc, exec, s[0:1]
	v_or_b32_sdwa v1, v1, v9 dst_sel:DWORD dst_unused:UNUSED_PAD src0_sel:WORD_0 src1_sel:DWORD
	s_barrier
	ds_write_b8 v0, v13
	ds_write_b64 v0, v[2:3] offset:1
	ds_write_b8 v0, v6 offset:9
	ds_write_b64 v0, v[4:5] offset:10
	ds_write_b8 v0, v7 offset:18
	ds_write_b32 v0, v1 offset:19
	s_waitcnt lgkmcnt(0)
	s_cbranch_vccnz .LBB677_73
; %bb.71:
	s_andn2_b64 vcc, exec, s[2:3]
	s_cbranch_vccz .LBB677_74
.LBB677_72:
	s_endpgm
.LBB677_73:
	s_barrier
	s_cbranch_execnz .LBB677_72
.LBB677_74:
	s_barrier
	s_endpgm
	.section	.rodata,"a",@progbits
	.p2align	6, 0x0
	.amdhsa_kernel _ZN7rocprim17ROCPRIM_400000_NS6detail17trampoline_kernelINS0_14default_configENS1_35adjacent_difference_config_selectorILb1EaEEZNS1_24adjacent_difference_implIS3_Lb1ELb0EPaN6thrust23THRUST_200600_302600_NS16discard_iteratorINS9_11use_defaultEEENS9_5minusIaEEEE10hipError_tPvRmT2_T3_mT4_P12ihipStream_tbEUlT_E_NS1_11comp_targetILNS1_3genE5ELNS1_11target_archE942ELNS1_3gpuE9ELNS1_3repE0EEENS1_30default_config_static_selectorELNS0_4arch9wavefront6targetE1EEEvT1_
		.amdhsa_group_segment_fixed_size 2944
		.amdhsa_private_segment_fixed_size 0
		.amdhsa_kernarg_size 64
		.amdhsa_user_sgpr_count 2
		.amdhsa_user_sgpr_dispatch_ptr 0
		.amdhsa_user_sgpr_queue_ptr 0
		.amdhsa_user_sgpr_kernarg_segment_ptr 1
		.amdhsa_user_sgpr_dispatch_id 0
		.amdhsa_user_sgpr_kernarg_preload_length 0
		.amdhsa_user_sgpr_kernarg_preload_offset 0
		.amdhsa_user_sgpr_private_segment_size 0
		.amdhsa_uses_dynamic_stack 0
		.amdhsa_enable_private_segment 0
		.amdhsa_system_sgpr_workgroup_id_x 1
		.amdhsa_system_sgpr_workgroup_id_y 0
		.amdhsa_system_sgpr_workgroup_id_z 0
		.amdhsa_system_sgpr_workgroup_info 0
		.amdhsa_system_vgpr_workitem_id 0
		.amdhsa_next_free_vgpr 38
		.amdhsa_next_free_sgpr 21
		.amdhsa_accum_offset 40
		.amdhsa_reserve_vcc 1
		.amdhsa_float_round_mode_32 0
		.amdhsa_float_round_mode_16_64 0
		.amdhsa_float_denorm_mode_32 3
		.amdhsa_float_denorm_mode_16_64 3
		.amdhsa_dx10_clamp 1
		.amdhsa_ieee_mode 1
		.amdhsa_fp16_overflow 0
		.amdhsa_tg_split 0
		.amdhsa_exception_fp_ieee_invalid_op 0
		.amdhsa_exception_fp_denorm_src 0
		.amdhsa_exception_fp_ieee_div_zero 0
		.amdhsa_exception_fp_ieee_overflow 0
		.amdhsa_exception_fp_ieee_underflow 0
		.amdhsa_exception_fp_ieee_inexact 0
		.amdhsa_exception_int_div_zero 0
	.end_amdhsa_kernel
	.section	.text._ZN7rocprim17ROCPRIM_400000_NS6detail17trampoline_kernelINS0_14default_configENS1_35adjacent_difference_config_selectorILb1EaEEZNS1_24adjacent_difference_implIS3_Lb1ELb0EPaN6thrust23THRUST_200600_302600_NS16discard_iteratorINS9_11use_defaultEEENS9_5minusIaEEEE10hipError_tPvRmT2_T3_mT4_P12ihipStream_tbEUlT_E_NS1_11comp_targetILNS1_3genE5ELNS1_11target_archE942ELNS1_3gpuE9ELNS1_3repE0EEENS1_30default_config_static_selectorELNS0_4arch9wavefront6targetE1EEEvT1_,"axG",@progbits,_ZN7rocprim17ROCPRIM_400000_NS6detail17trampoline_kernelINS0_14default_configENS1_35adjacent_difference_config_selectorILb1EaEEZNS1_24adjacent_difference_implIS3_Lb1ELb0EPaN6thrust23THRUST_200600_302600_NS16discard_iteratorINS9_11use_defaultEEENS9_5minusIaEEEE10hipError_tPvRmT2_T3_mT4_P12ihipStream_tbEUlT_E_NS1_11comp_targetILNS1_3genE5ELNS1_11target_archE942ELNS1_3gpuE9ELNS1_3repE0EEENS1_30default_config_static_selectorELNS0_4arch9wavefront6targetE1EEEvT1_,comdat
.Lfunc_end677:
	.size	_ZN7rocprim17ROCPRIM_400000_NS6detail17trampoline_kernelINS0_14default_configENS1_35adjacent_difference_config_selectorILb1EaEEZNS1_24adjacent_difference_implIS3_Lb1ELb0EPaN6thrust23THRUST_200600_302600_NS16discard_iteratorINS9_11use_defaultEEENS9_5minusIaEEEE10hipError_tPvRmT2_T3_mT4_P12ihipStream_tbEUlT_E_NS1_11comp_targetILNS1_3genE5ELNS1_11target_archE942ELNS1_3gpuE9ELNS1_3repE0EEENS1_30default_config_static_selectorELNS0_4arch9wavefront6targetE1EEEvT1_, .Lfunc_end677-_ZN7rocprim17ROCPRIM_400000_NS6detail17trampoline_kernelINS0_14default_configENS1_35adjacent_difference_config_selectorILb1EaEEZNS1_24adjacent_difference_implIS3_Lb1ELb0EPaN6thrust23THRUST_200600_302600_NS16discard_iteratorINS9_11use_defaultEEENS9_5minusIaEEEE10hipError_tPvRmT2_T3_mT4_P12ihipStream_tbEUlT_E_NS1_11comp_targetILNS1_3genE5ELNS1_11target_archE942ELNS1_3gpuE9ELNS1_3repE0EEENS1_30default_config_static_selectorELNS0_4arch9wavefront6targetE1EEEvT1_
                                        ; -- End function
	.section	.AMDGPU.csdata,"",@progbits
; Kernel info:
; codeLenInByte = 4356
; NumSgprs: 27
; NumVgprs: 38
; NumAgprs: 0
; TotalNumVgprs: 38
; ScratchSize: 0
; MemoryBound: 0
; FloatMode: 240
; IeeeMode: 1
; LDSByteSize: 2944 bytes/workgroup (compile time only)
; SGPRBlocks: 3
; VGPRBlocks: 4
; NumSGPRsForWavesPerEU: 27
; NumVGPRsForWavesPerEU: 38
; AccumOffset: 40
; Occupancy: 8
; WaveLimiterHint : 1
; COMPUTE_PGM_RSRC2:SCRATCH_EN: 0
; COMPUTE_PGM_RSRC2:USER_SGPR: 2
; COMPUTE_PGM_RSRC2:TRAP_HANDLER: 0
; COMPUTE_PGM_RSRC2:TGID_X_EN: 1
; COMPUTE_PGM_RSRC2:TGID_Y_EN: 0
; COMPUTE_PGM_RSRC2:TGID_Z_EN: 0
; COMPUTE_PGM_RSRC2:TIDIG_COMP_CNT: 0
; COMPUTE_PGM_RSRC3_GFX90A:ACCUM_OFFSET: 9
; COMPUTE_PGM_RSRC3_GFX90A:TG_SPLIT: 0
	.section	.text._ZN7rocprim17ROCPRIM_400000_NS6detail17trampoline_kernelINS0_14default_configENS1_35adjacent_difference_config_selectorILb1EaEEZNS1_24adjacent_difference_implIS3_Lb1ELb0EPaN6thrust23THRUST_200600_302600_NS16discard_iteratorINS9_11use_defaultEEENS9_5minusIaEEEE10hipError_tPvRmT2_T3_mT4_P12ihipStream_tbEUlT_E_NS1_11comp_targetILNS1_3genE4ELNS1_11target_archE910ELNS1_3gpuE8ELNS1_3repE0EEENS1_30default_config_static_selectorELNS0_4arch9wavefront6targetE1EEEvT1_,"axG",@progbits,_ZN7rocprim17ROCPRIM_400000_NS6detail17trampoline_kernelINS0_14default_configENS1_35adjacent_difference_config_selectorILb1EaEEZNS1_24adjacent_difference_implIS3_Lb1ELb0EPaN6thrust23THRUST_200600_302600_NS16discard_iteratorINS9_11use_defaultEEENS9_5minusIaEEEE10hipError_tPvRmT2_T3_mT4_P12ihipStream_tbEUlT_E_NS1_11comp_targetILNS1_3genE4ELNS1_11target_archE910ELNS1_3gpuE8ELNS1_3repE0EEENS1_30default_config_static_selectorELNS0_4arch9wavefront6targetE1EEEvT1_,comdat
	.protected	_ZN7rocprim17ROCPRIM_400000_NS6detail17trampoline_kernelINS0_14default_configENS1_35adjacent_difference_config_selectorILb1EaEEZNS1_24adjacent_difference_implIS3_Lb1ELb0EPaN6thrust23THRUST_200600_302600_NS16discard_iteratorINS9_11use_defaultEEENS9_5minusIaEEEE10hipError_tPvRmT2_T3_mT4_P12ihipStream_tbEUlT_E_NS1_11comp_targetILNS1_3genE4ELNS1_11target_archE910ELNS1_3gpuE8ELNS1_3repE0EEENS1_30default_config_static_selectorELNS0_4arch9wavefront6targetE1EEEvT1_ ; -- Begin function _ZN7rocprim17ROCPRIM_400000_NS6detail17trampoline_kernelINS0_14default_configENS1_35adjacent_difference_config_selectorILb1EaEEZNS1_24adjacent_difference_implIS3_Lb1ELb0EPaN6thrust23THRUST_200600_302600_NS16discard_iteratorINS9_11use_defaultEEENS9_5minusIaEEEE10hipError_tPvRmT2_T3_mT4_P12ihipStream_tbEUlT_E_NS1_11comp_targetILNS1_3genE4ELNS1_11target_archE910ELNS1_3gpuE8ELNS1_3repE0EEENS1_30default_config_static_selectorELNS0_4arch9wavefront6targetE1EEEvT1_
	.globl	_ZN7rocprim17ROCPRIM_400000_NS6detail17trampoline_kernelINS0_14default_configENS1_35adjacent_difference_config_selectorILb1EaEEZNS1_24adjacent_difference_implIS3_Lb1ELb0EPaN6thrust23THRUST_200600_302600_NS16discard_iteratorINS9_11use_defaultEEENS9_5minusIaEEEE10hipError_tPvRmT2_T3_mT4_P12ihipStream_tbEUlT_E_NS1_11comp_targetILNS1_3genE4ELNS1_11target_archE910ELNS1_3gpuE8ELNS1_3repE0EEENS1_30default_config_static_selectorELNS0_4arch9wavefront6targetE1EEEvT1_
	.p2align	8
	.type	_ZN7rocprim17ROCPRIM_400000_NS6detail17trampoline_kernelINS0_14default_configENS1_35adjacent_difference_config_selectorILb1EaEEZNS1_24adjacent_difference_implIS3_Lb1ELb0EPaN6thrust23THRUST_200600_302600_NS16discard_iteratorINS9_11use_defaultEEENS9_5minusIaEEEE10hipError_tPvRmT2_T3_mT4_P12ihipStream_tbEUlT_E_NS1_11comp_targetILNS1_3genE4ELNS1_11target_archE910ELNS1_3gpuE8ELNS1_3repE0EEENS1_30default_config_static_selectorELNS0_4arch9wavefront6targetE1EEEvT1_,@function
_ZN7rocprim17ROCPRIM_400000_NS6detail17trampoline_kernelINS0_14default_configENS1_35adjacent_difference_config_selectorILb1EaEEZNS1_24adjacent_difference_implIS3_Lb1ELb0EPaN6thrust23THRUST_200600_302600_NS16discard_iteratorINS9_11use_defaultEEENS9_5minusIaEEEE10hipError_tPvRmT2_T3_mT4_P12ihipStream_tbEUlT_E_NS1_11comp_targetILNS1_3genE4ELNS1_11target_archE910ELNS1_3gpuE8ELNS1_3repE0EEENS1_30default_config_static_selectorELNS0_4arch9wavefront6targetE1EEEvT1_: ; @_ZN7rocprim17ROCPRIM_400000_NS6detail17trampoline_kernelINS0_14default_configENS1_35adjacent_difference_config_selectorILb1EaEEZNS1_24adjacent_difference_implIS3_Lb1ELb0EPaN6thrust23THRUST_200600_302600_NS16discard_iteratorINS9_11use_defaultEEENS9_5minusIaEEEE10hipError_tPvRmT2_T3_mT4_P12ihipStream_tbEUlT_E_NS1_11comp_targetILNS1_3genE4ELNS1_11target_archE910ELNS1_3gpuE8ELNS1_3repE0EEENS1_30default_config_static_selectorELNS0_4arch9wavefront6targetE1EEEvT1_
; %bb.0:
	.section	.rodata,"a",@progbits
	.p2align	6, 0x0
	.amdhsa_kernel _ZN7rocprim17ROCPRIM_400000_NS6detail17trampoline_kernelINS0_14default_configENS1_35adjacent_difference_config_selectorILb1EaEEZNS1_24adjacent_difference_implIS3_Lb1ELb0EPaN6thrust23THRUST_200600_302600_NS16discard_iteratorINS9_11use_defaultEEENS9_5minusIaEEEE10hipError_tPvRmT2_T3_mT4_P12ihipStream_tbEUlT_E_NS1_11comp_targetILNS1_3genE4ELNS1_11target_archE910ELNS1_3gpuE8ELNS1_3repE0EEENS1_30default_config_static_selectorELNS0_4arch9wavefront6targetE1EEEvT1_
		.amdhsa_group_segment_fixed_size 0
		.amdhsa_private_segment_fixed_size 0
		.amdhsa_kernarg_size 64
		.amdhsa_user_sgpr_count 2
		.amdhsa_user_sgpr_dispatch_ptr 0
		.amdhsa_user_sgpr_queue_ptr 0
		.amdhsa_user_sgpr_kernarg_segment_ptr 1
		.amdhsa_user_sgpr_dispatch_id 0
		.amdhsa_user_sgpr_kernarg_preload_length 0
		.amdhsa_user_sgpr_kernarg_preload_offset 0
		.amdhsa_user_sgpr_private_segment_size 0
		.amdhsa_uses_dynamic_stack 0
		.amdhsa_enable_private_segment 0
		.amdhsa_system_sgpr_workgroup_id_x 1
		.amdhsa_system_sgpr_workgroup_id_y 0
		.amdhsa_system_sgpr_workgroup_id_z 0
		.amdhsa_system_sgpr_workgroup_info 0
		.amdhsa_system_vgpr_workitem_id 0
		.amdhsa_next_free_vgpr 1
		.amdhsa_next_free_sgpr 0
		.amdhsa_accum_offset 4
		.amdhsa_reserve_vcc 0
		.amdhsa_float_round_mode_32 0
		.amdhsa_float_round_mode_16_64 0
		.amdhsa_float_denorm_mode_32 3
		.amdhsa_float_denorm_mode_16_64 3
		.amdhsa_dx10_clamp 1
		.amdhsa_ieee_mode 1
		.amdhsa_fp16_overflow 0
		.amdhsa_tg_split 0
		.amdhsa_exception_fp_ieee_invalid_op 0
		.amdhsa_exception_fp_denorm_src 0
		.amdhsa_exception_fp_ieee_div_zero 0
		.amdhsa_exception_fp_ieee_overflow 0
		.amdhsa_exception_fp_ieee_underflow 0
		.amdhsa_exception_fp_ieee_inexact 0
		.amdhsa_exception_int_div_zero 0
	.end_amdhsa_kernel
	.section	.text._ZN7rocprim17ROCPRIM_400000_NS6detail17trampoline_kernelINS0_14default_configENS1_35adjacent_difference_config_selectorILb1EaEEZNS1_24adjacent_difference_implIS3_Lb1ELb0EPaN6thrust23THRUST_200600_302600_NS16discard_iteratorINS9_11use_defaultEEENS9_5minusIaEEEE10hipError_tPvRmT2_T3_mT4_P12ihipStream_tbEUlT_E_NS1_11comp_targetILNS1_3genE4ELNS1_11target_archE910ELNS1_3gpuE8ELNS1_3repE0EEENS1_30default_config_static_selectorELNS0_4arch9wavefront6targetE1EEEvT1_,"axG",@progbits,_ZN7rocprim17ROCPRIM_400000_NS6detail17trampoline_kernelINS0_14default_configENS1_35adjacent_difference_config_selectorILb1EaEEZNS1_24adjacent_difference_implIS3_Lb1ELb0EPaN6thrust23THRUST_200600_302600_NS16discard_iteratorINS9_11use_defaultEEENS9_5minusIaEEEE10hipError_tPvRmT2_T3_mT4_P12ihipStream_tbEUlT_E_NS1_11comp_targetILNS1_3genE4ELNS1_11target_archE910ELNS1_3gpuE8ELNS1_3repE0EEENS1_30default_config_static_selectorELNS0_4arch9wavefront6targetE1EEEvT1_,comdat
.Lfunc_end678:
	.size	_ZN7rocprim17ROCPRIM_400000_NS6detail17trampoline_kernelINS0_14default_configENS1_35adjacent_difference_config_selectorILb1EaEEZNS1_24adjacent_difference_implIS3_Lb1ELb0EPaN6thrust23THRUST_200600_302600_NS16discard_iteratorINS9_11use_defaultEEENS9_5minusIaEEEE10hipError_tPvRmT2_T3_mT4_P12ihipStream_tbEUlT_E_NS1_11comp_targetILNS1_3genE4ELNS1_11target_archE910ELNS1_3gpuE8ELNS1_3repE0EEENS1_30default_config_static_selectorELNS0_4arch9wavefront6targetE1EEEvT1_, .Lfunc_end678-_ZN7rocprim17ROCPRIM_400000_NS6detail17trampoline_kernelINS0_14default_configENS1_35adjacent_difference_config_selectorILb1EaEEZNS1_24adjacent_difference_implIS3_Lb1ELb0EPaN6thrust23THRUST_200600_302600_NS16discard_iteratorINS9_11use_defaultEEENS9_5minusIaEEEE10hipError_tPvRmT2_T3_mT4_P12ihipStream_tbEUlT_E_NS1_11comp_targetILNS1_3genE4ELNS1_11target_archE910ELNS1_3gpuE8ELNS1_3repE0EEENS1_30default_config_static_selectorELNS0_4arch9wavefront6targetE1EEEvT1_
                                        ; -- End function
	.section	.AMDGPU.csdata,"",@progbits
; Kernel info:
; codeLenInByte = 0
; NumSgprs: 6
; NumVgprs: 0
; NumAgprs: 0
; TotalNumVgprs: 0
; ScratchSize: 0
; MemoryBound: 0
; FloatMode: 240
; IeeeMode: 1
; LDSByteSize: 0 bytes/workgroup (compile time only)
; SGPRBlocks: 0
; VGPRBlocks: 0
; NumSGPRsForWavesPerEU: 6
; NumVGPRsForWavesPerEU: 1
; AccumOffset: 4
; Occupancy: 8
; WaveLimiterHint : 0
; COMPUTE_PGM_RSRC2:SCRATCH_EN: 0
; COMPUTE_PGM_RSRC2:USER_SGPR: 2
; COMPUTE_PGM_RSRC2:TRAP_HANDLER: 0
; COMPUTE_PGM_RSRC2:TGID_X_EN: 1
; COMPUTE_PGM_RSRC2:TGID_Y_EN: 0
; COMPUTE_PGM_RSRC2:TGID_Z_EN: 0
; COMPUTE_PGM_RSRC2:TIDIG_COMP_CNT: 0
; COMPUTE_PGM_RSRC3_GFX90A:ACCUM_OFFSET: 0
; COMPUTE_PGM_RSRC3_GFX90A:TG_SPLIT: 0
	.section	.text._ZN7rocprim17ROCPRIM_400000_NS6detail17trampoline_kernelINS0_14default_configENS1_35adjacent_difference_config_selectorILb1EaEEZNS1_24adjacent_difference_implIS3_Lb1ELb0EPaN6thrust23THRUST_200600_302600_NS16discard_iteratorINS9_11use_defaultEEENS9_5minusIaEEEE10hipError_tPvRmT2_T3_mT4_P12ihipStream_tbEUlT_E_NS1_11comp_targetILNS1_3genE3ELNS1_11target_archE908ELNS1_3gpuE7ELNS1_3repE0EEENS1_30default_config_static_selectorELNS0_4arch9wavefront6targetE1EEEvT1_,"axG",@progbits,_ZN7rocprim17ROCPRIM_400000_NS6detail17trampoline_kernelINS0_14default_configENS1_35adjacent_difference_config_selectorILb1EaEEZNS1_24adjacent_difference_implIS3_Lb1ELb0EPaN6thrust23THRUST_200600_302600_NS16discard_iteratorINS9_11use_defaultEEENS9_5minusIaEEEE10hipError_tPvRmT2_T3_mT4_P12ihipStream_tbEUlT_E_NS1_11comp_targetILNS1_3genE3ELNS1_11target_archE908ELNS1_3gpuE7ELNS1_3repE0EEENS1_30default_config_static_selectorELNS0_4arch9wavefront6targetE1EEEvT1_,comdat
	.protected	_ZN7rocprim17ROCPRIM_400000_NS6detail17trampoline_kernelINS0_14default_configENS1_35adjacent_difference_config_selectorILb1EaEEZNS1_24adjacent_difference_implIS3_Lb1ELb0EPaN6thrust23THRUST_200600_302600_NS16discard_iteratorINS9_11use_defaultEEENS9_5minusIaEEEE10hipError_tPvRmT2_T3_mT4_P12ihipStream_tbEUlT_E_NS1_11comp_targetILNS1_3genE3ELNS1_11target_archE908ELNS1_3gpuE7ELNS1_3repE0EEENS1_30default_config_static_selectorELNS0_4arch9wavefront6targetE1EEEvT1_ ; -- Begin function _ZN7rocprim17ROCPRIM_400000_NS6detail17trampoline_kernelINS0_14default_configENS1_35adjacent_difference_config_selectorILb1EaEEZNS1_24adjacent_difference_implIS3_Lb1ELb0EPaN6thrust23THRUST_200600_302600_NS16discard_iteratorINS9_11use_defaultEEENS9_5minusIaEEEE10hipError_tPvRmT2_T3_mT4_P12ihipStream_tbEUlT_E_NS1_11comp_targetILNS1_3genE3ELNS1_11target_archE908ELNS1_3gpuE7ELNS1_3repE0EEENS1_30default_config_static_selectorELNS0_4arch9wavefront6targetE1EEEvT1_
	.globl	_ZN7rocprim17ROCPRIM_400000_NS6detail17trampoline_kernelINS0_14default_configENS1_35adjacent_difference_config_selectorILb1EaEEZNS1_24adjacent_difference_implIS3_Lb1ELb0EPaN6thrust23THRUST_200600_302600_NS16discard_iteratorINS9_11use_defaultEEENS9_5minusIaEEEE10hipError_tPvRmT2_T3_mT4_P12ihipStream_tbEUlT_E_NS1_11comp_targetILNS1_3genE3ELNS1_11target_archE908ELNS1_3gpuE7ELNS1_3repE0EEENS1_30default_config_static_selectorELNS0_4arch9wavefront6targetE1EEEvT1_
	.p2align	8
	.type	_ZN7rocprim17ROCPRIM_400000_NS6detail17trampoline_kernelINS0_14default_configENS1_35adjacent_difference_config_selectorILb1EaEEZNS1_24adjacent_difference_implIS3_Lb1ELb0EPaN6thrust23THRUST_200600_302600_NS16discard_iteratorINS9_11use_defaultEEENS9_5minusIaEEEE10hipError_tPvRmT2_T3_mT4_P12ihipStream_tbEUlT_E_NS1_11comp_targetILNS1_3genE3ELNS1_11target_archE908ELNS1_3gpuE7ELNS1_3repE0EEENS1_30default_config_static_selectorELNS0_4arch9wavefront6targetE1EEEvT1_,@function
_ZN7rocprim17ROCPRIM_400000_NS6detail17trampoline_kernelINS0_14default_configENS1_35adjacent_difference_config_selectorILb1EaEEZNS1_24adjacent_difference_implIS3_Lb1ELb0EPaN6thrust23THRUST_200600_302600_NS16discard_iteratorINS9_11use_defaultEEENS9_5minusIaEEEE10hipError_tPvRmT2_T3_mT4_P12ihipStream_tbEUlT_E_NS1_11comp_targetILNS1_3genE3ELNS1_11target_archE908ELNS1_3gpuE7ELNS1_3repE0EEENS1_30default_config_static_selectorELNS0_4arch9wavefront6targetE1EEEvT1_: ; @_ZN7rocprim17ROCPRIM_400000_NS6detail17trampoline_kernelINS0_14default_configENS1_35adjacent_difference_config_selectorILb1EaEEZNS1_24adjacent_difference_implIS3_Lb1ELb0EPaN6thrust23THRUST_200600_302600_NS16discard_iteratorINS9_11use_defaultEEENS9_5minusIaEEEE10hipError_tPvRmT2_T3_mT4_P12ihipStream_tbEUlT_E_NS1_11comp_targetILNS1_3genE3ELNS1_11target_archE908ELNS1_3gpuE7ELNS1_3repE0EEENS1_30default_config_static_selectorELNS0_4arch9wavefront6targetE1EEEvT1_
; %bb.0:
	.section	.rodata,"a",@progbits
	.p2align	6, 0x0
	.amdhsa_kernel _ZN7rocprim17ROCPRIM_400000_NS6detail17trampoline_kernelINS0_14default_configENS1_35adjacent_difference_config_selectorILb1EaEEZNS1_24adjacent_difference_implIS3_Lb1ELb0EPaN6thrust23THRUST_200600_302600_NS16discard_iteratorINS9_11use_defaultEEENS9_5minusIaEEEE10hipError_tPvRmT2_T3_mT4_P12ihipStream_tbEUlT_E_NS1_11comp_targetILNS1_3genE3ELNS1_11target_archE908ELNS1_3gpuE7ELNS1_3repE0EEENS1_30default_config_static_selectorELNS0_4arch9wavefront6targetE1EEEvT1_
		.amdhsa_group_segment_fixed_size 0
		.amdhsa_private_segment_fixed_size 0
		.amdhsa_kernarg_size 64
		.amdhsa_user_sgpr_count 2
		.amdhsa_user_sgpr_dispatch_ptr 0
		.amdhsa_user_sgpr_queue_ptr 0
		.amdhsa_user_sgpr_kernarg_segment_ptr 1
		.amdhsa_user_sgpr_dispatch_id 0
		.amdhsa_user_sgpr_kernarg_preload_length 0
		.amdhsa_user_sgpr_kernarg_preload_offset 0
		.amdhsa_user_sgpr_private_segment_size 0
		.amdhsa_uses_dynamic_stack 0
		.amdhsa_enable_private_segment 0
		.amdhsa_system_sgpr_workgroup_id_x 1
		.amdhsa_system_sgpr_workgroup_id_y 0
		.amdhsa_system_sgpr_workgroup_id_z 0
		.amdhsa_system_sgpr_workgroup_info 0
		.amdhsa_system_vgpr_workitem_id 0
		.amdhsa_next_free_vgpr 1
		.amdhsa_next_free_sgpr 0
		.amdhsa_accum_offset 4
		.amdhsa_reserve_vcc 0
		.amdhsa_float_round_mode_32 0
		.amdhsa_float_round_mode_16_64 0
		.amdhsa_float_denorm_mode_32 3
		.amdhsa_float_denorm_mode_16_64 3
		.amdhsa_dx10_clamp 1
		.amdhsa_ieee_mode 1
		.amdhsa_fp16_overflow 0
		.amdhsa_tg_split 0
		.amdhsa_exception_fp_ieee_invalid_op 0
		.amdhsa_exception_fp_denorm_src 0
		.amdhsa_exception_fp_ieee_div_zero 0
		.amdhsa_exception_fp_ieee_overflow 0
		.amdhsa_exception_fp_ieee_underflow 0
		.amdhsa_exception_fp_ieee_inexact 0
		.amdhsa_exception_int_div_zero 0
	.end_amdhsa_kernel
	.section	.text._ZN7rocprim17ROCPRIM_400000_NS6detail17trampoline_kernelINS0_14default_configENS1_35adjacent_difference_config_selectorILb1EaEEZNS1_24adjacent_difference_implIS3_Lb1ELb0EPaN6thrust23THRUST_200600_302600_NS16discard_iteratorINS9_11use_defaultEEENS9_5minusIaEEEE10hipError_tPvRmT2_T3_mT4_P12ihipStream_tbEUlT_E_NS1_11comp_targetILNS1_3genE3ELNS1_11target_archE908ELNS1_3gpuE7ELNS1_3repE0EEENS1_30default_config_static_selectorELNS0_4arch9wavefront6targetE1EEEvT1_,"axG",@progbits,_ZN7rocprim17ROCPRIM_400000_NS6detail17trampoline_kernelINS0_14default_configENS1_35adjacent_difference_config_selectorILb1EaEEZNS1_24adjacent_difference_implIS3_Lb1ELb0EPaN6thrust23THRUST_200600_302600_NS16discard_iteratorINS9_11use_defaultEEENS9_5minusIaEEEE10hipError_tPvRmT2_T3_mT4_P12ihipStream_tbEUlT_E_NS1_11comp_targetILNS1_3genE3ELNS1_11target_archE908ELNS1_3gpuE7ELNS1_3repE0EEENS1_30default_config_static_selectorELNS0_4arch9wavefront6targetE1EEEvT1_,comdat
.Lfunc_end679:
	.size	_ZN7rocprim17ROCPRIM_400000_NS6detail17trampoline_kernelINS0_14default_configENS1_35adjacent_difference_config_selectorILb1EaEEZNS1_24adjacent_difference_implIS3_Lb1ELb0EPaN6thrust23THRUST_200600_302600_NS16discard_iteratorINS9_11use_defaultEEENS9_5minusIaEEEE10hipError_tPvRmT2_T3_mT4_P12ihipStream_tbEUlT_E_NS1_11comp_targetILNS1_3genE3ELNS1_11target_archE908ELNS1_3gpuE7ELNS1_3repE0EEENS1_30default_config_static_selectorELNS0_4arch9wavefront6targetE1EEEvT1_, .Lfunc_end679-_ZN7rocprim17ROCPRIM_400000_NS6detail17trampoline_kernelINS0_14default_configENS1_35adjacent_difference_config_selectorILb1EaEEZNS1_24adjacent_difference_implIS3_Lb1ELb0EPaN6thrust23THRUST_200600_302600_NS16discard_iteratorINS9_11use_defaultEEENS9_5minusIaEEEE10hipError_tPvRmT2_T3_mT4_P12ihipStream_tbEUlT_E_NS1_11comp_targetILNS1_3genE3ELNS1_11target_archE908ELNS1_3gpuE7ELNS1_3repE0EEENS1_30default_config_static_selectorELNS0_4arch9wavefront6targetE1EEEvT1_
                                        ; -- End function
	.section	.AMDGPU.csdata,"",@progbits
; Kernel info:
; codeLenInByte = 0
; NumSgprs: 6
; NumVgprs: 0
; NumAgprs: 0
; TotalNumVgprs: 0
; ScratchSize: 0
; MemoryBound: 0
; FloatMode: 240
; IeeeMode: 1
; LDSByteSize: 0 bytes/workgroup (compile time only)
; SGPRBlocks: 0
; VGPRBlocks: 0
; NumSGPRsForWavesPerEU: 6
; NumVGPRsForWavesPerEU: 1
; AccumOffset: 4
; Occupancy: 8
; WaveLimiterHint : 0
; COMPUTE_PGM_RSRC2:SCRATCH_EN: 0
; COMPUTE_PGM_RSRC2:USER_SGPR: 2
; COMPUTE_PGM_RSRC2:TRAP_HANDLER: 0
; COMPUTE_PGM_RSRC2:TGID_X_EN: 1
; COMPUTE_PGM_RSRC2:TGID_Y_EN: 0
; COMPUTE_PGM_RSRC2:TGID_Z_EN: 0
; COMPUTE_PGM_RSRC2:TIDIG_COMP_CNT: 0
; COMPUTE_PGM_RSRC3_GFX90A:ACCUM_OFFSET: 0
; COMPUTE_PGM_RSRC3_GFX90A:TG_SPLIT: 0
	.section	.text._ZN7rocprim17ROCPRIM_400000_NS6detail17trampoline_kernelINS0_14default_configENS1_35adjacent_difference_config_selectorILb1EaEEZNS1_24adjacent_difference_implIS3_Lb1ELb0EPaN6thrust23THRUST_200600_302600_NS16discard_iteratorINS9_11use_defaultEEENS9_5minusIaEEEE10hipError_tPvRmT2_T3_mT4_P12ihipStream_tbEUlT_E_NS1_11comp_targetILNS1_3genE2ELNS1_11target_archE906ELNS1_3gpuE6ELNS1_3repE0EEENS1_30default_config_static_selectorELNS0_4arch9wavefront6targetE1EEEvT1_,"axG",@progbits,_ZN7rocprim17ROCPRIM_400000_NS6detail17trampoline_kernelINS0_14default_configENS1_35adjacent_difference_config_selectorILb1EaEEZNS1_24adjacent_difference_implIS3_Lb1ELb0EPaN6thrust23THRUST_200600_302600_NS16discard_iteratorINS9_11use_defaultEEENS9_5minusIaEEEE10hipError_tPvRmT2_T3_mT4_P12ihipStream_tbEUlT_E_NS1_11comp_targetILNS1_3genE2ELNS1_11target_archE906ELNS1_3gpuE6ELNS1_3repE0EEENS1_30default_config_static_selectorELNS0_4arch9wavefront6targetE1EEEvT1_,comdat
	.protected	_ZN7rocprim17ROCPRIM_400000_NS6detail17trampoline_kernelINS0_14default_configENS1_35adjacent_difference_config_selectorILb1EaEEZNS1_24adjacent_difference_implIS3_Lb1ELb0EPaN6thrust23THRUST_200600_302600_NS16discard_iteratorINS9_11use_defaultEEENS9_5minusIaEEEE10hipError_tPvRmT2_T3_mT4_P12ihipStream_tbEUlT_E_NS1_11comp_targetILNS1_3genE2ELNS1_11target_archE906ELNS1_3gpuE6ELNS1_3repE0EEENS1_30default_config_static_selectorELNS0_4arch9wavefront6targetE1EEEvT1_ ; -- Begin function _ZN7rocprim17ROCPRIM_400000_NS6detail17trampoline_kernelINS0_14default_configENS1_35adjacent_difference_config_selectorILb1EaEEZNS1_24adjacent_difference_implIS3_Lb1ELb0EPaN6thrust23THRUST_200600_302600_NS16discard_iteratorINS9_11use_defaultEEENS9_5minusIaEEEE10hipError_tPvRmT2_T3_mT4_P12ihipStream_tbEUlT_E_NS1_11comp_targetILNS1_3genE2ELNS1_11target_archE906ELNS1_3gpuE6ELNS1_3repE0EEENS1_30default_config_static_selectorELNS0_4arch9wavefront6targetE1EEEvT1_
	.globl	_ZN7rocprim17ROCPRIM_400000_NS6detail17trampoline_kernelINS0_14default_configENS1_35adjacent_difference_config_selectorILb1EaEEZNS1_24adjacent_difference_implIS3_Lb1ELb0EPaN6thrust23THRUST_200600_302600_NS16discard_iteratorINS9_11use_defaultEEENS9_5minusIaEEEE10hipError_tPvRmT2_T3_mT4_P12ihipStream_tbEUlT_E_NS1_11comp_targetILNS1_3genE2ELNS1_11target_archE906ELNS1_3gpuE6ELNS1_3repE0EEENS1_30default_config_static_selectorELNS0_4arch9wavefront6targetE1EEEvT1_
	.p2align	8
	.type	_ZN7rocprim17ROCPRIM_400000_NS6detail17trampoline_kernelINS0_14default_configENS1_35adjacent_difference_config_selectorILb1EaEEZNS1_24adjacent_difference_implIS3_Lb1ELb0EPaN6thrust23THRUST_200600_302600_NS16discard_iteratorINS9_11use_defaultEEENS9_5minusIaEEEE10hipError_tPvRmT2_T3_mT4_P12ihipStream_tbEUlT_E_NS1_11comp_targetILNS1_3genE2ELNS1_11target_archE906ELNS1_3gpuE6ELNS1_3repE0EEENS1_30default_config_static_selectorELNS0_4arch9wavefront6targetE1EEEvT1_,@function
_ZN7rocprim17ROCPRIM_400000_NS6detail17trampoline_kernelINS0_14default_configENS1_35adjacent_difference_config_selectorILb1EaEEZNS1_24adjacent_difference_implIS3_Lb1ELb0EPaN6thrust23THRUST_200600_302600_NS16discard_iteratorINS9_11use_defaultEEENS9_5minusIaEEEE10hipError_tPvRmT2_T3_mT4_P12ihipStream_tbEUlT_E_NS1_11comp_targetILNS1_3genE2ELNS1_11target_archE906ELNS1_3gpuE6ELNS1_3repE0EEENS1_30default_config_static_selectorELNS0_4arch9wavefront6targetE1EEEvT1_: ; @_ZN7rocprim17ROCPRIM_400000_NS6detail17trampoline_kernelINS0_14default_configENS1_35adjacent_difference_config_selectorILb1EaEEZNS1_24adjacent_difference_implIS3_Lb1ELb0EPaN6thrust23THRUST_200600_302600_NS16discard_iteratorINS9_11use_defaultEEENS9_5minusIaEEEE10hipError_tPvRmT2_T3_mT4_P12ihipStream_tbEUlT_E_NS1_11comp_targetILNS1_3genE2ELNS1_11target_archE906ELNS1_3gpuE6ELNS1_3repE0EEENS1_30default_config_static_selectorELNS0_4arch9wavefront6targetE1EEEvT1_
; %bb.0:
	.section	.rodata,"a",@progbits
	.p2align	6, 0x0
	.amdhsa_kernel _ZN7rocprim17ROCPRIM_400000_NS6detail17trampoline_kernelINS0_14default_configENS1_35adjacent_difference_config_selectorILb1EaEEZNS1_24adjacent_difference_implIS3_Lb1ELb0EPaN6thrust23THRUST_200600_302600_NS16discard_iteratorINS9_11use_defaultEEENS9_5minusIaEEEE10hipError_tPvRmT2_T3_mT4_P12ihipStream_tbEUlT_E_NS1_11comp_targetILNS1_3genE2ELNS1_11target_archE906ELNS1_3gpuE6ELNS1_3repE0EEENS1_30default_config_static_selectorELNS0_4arch9wavefront6targetE1EEEvT1_
		.amdhsa_group_segment_fixed_size 0
		.amdhsa_private_segment_fixed_size 0
		.amdhsa_kernarg_size 64
		.amdhsa_user_sgpr_count 2
		.amdhsa_user_sgpr_dispatch_ptr 0
		.amdhsa_user_sgpr_queue_ptr 0
		.amdhsa_user_sgpr_kernarg_segment_ptr 1
		.amdhsa_user_sgpr_dispatch_id 0
		.amdhsa_user_sgpr_kernarg_preload_length 0
		.amdhsa_user_sgpr_kernarg_preload_offset 0
		.amdhsa_user_sgpr_private_segment_size 0
		.amdhsa_uses_dynamic_stack 0
		.amdhsa_enable_private_segment 0
		.amdhsa_system_sgpr_workgroup_id_x 1
		.amdhsa_system_sgpr_workgroup_id_y 0
		.amdhsa_system_sgpr_workgroup_id_z 0
		.amdhsa_system_sgpr_workgroup_info 0
		.amdhsa_system_vgpr_workitem_id 0
		.amdhsa_next_free_vgpr 1
		.amdhsa_next_free_sgpr 0
		.amdhsa_accum_offset 4
		.amdhsa_reserve_vcc 0
		.amdhsa_float_round_mode_32 0
		.amdhsa_float_round_mode_16_64 0
		.amdhsa_float_denorm_mode_32 3
		.amdhsa_float_denorm_mode_16_64 3
		.amdhsa_dx10_clamp 1
		.amdhsa_ieee_mode 1
		.amdhsa_fp16_overflow 0
		.amdhsa_tg_split 0
		.amdhsa_exception_fp_ieee_invalid_op 0
		.amdhsa_exception_fp_denorm_src 0
		.amdhsa_exception_fp_ieee_div_zero 0
		.amdhsa_exception_fp_ieee_overflow 0
		.amdhsa_exception_fp_ieee_underflow 0
		.amdhsa_exception_fp_ieee_inexact 0
		.amdhsa_exception_int_div_zero 0
	.end_amdhsa_kernel
	.section	.text._ZN7rocprim17ROCPRIM_400000_NS6detail17trampoline_kernelINS0_14default_configENS1_35adjacent_difference_config_selectorILb1EaEEZNS1_24adjacent_difference_implIS3_Lb1ELb0EPaN6thrust23THRUST_200600_302600_NS16discard_iteratorINS9_11use_defaultEEENS9_5minusIaEEEE10hipError_tPvRmT2_T3_mT4_P12ihipStream_tbEUlT_E_NS1_11comp_targetILNS1_3genE2ELNS1_11target_archE906ELNS1_3gpuE6ELNS1_3repE0EEENS1_30default_config_static_selectorELNS0_4arch9wavefront6targetE1EEEvT1_,"axG",@progbits,_ZN7rocprim17ROCPRIM_400000_NS6detail17trampoline_kernelINS0_14default_configENS1_35adjacent_difference_config_selectorILb1EaEEZNS1_24adjacent_difference_implIS3_Lb1ELb0EPaN6thrust23THRUST_200600_302600_NS16discard_iteratorINS9_11use_defaultEEENS9_5minusIaEEEE10hipError_tPvRmT2_T3_mT4_P12ihipStream_tbEUlT_E_NS1_11comp_targetILNS1_3genE2ELNS1_11target_archE906ELNS1_3gpuE6ELNS1_3repE0EEENS1_30default_config_static_selectorELNS0_4arch9wavefront6targetE1EEEvT1_,comdat
.Lfunc_end680:
	.size	_ZN7rocprim17ROCPRIM_400000_NS6detail17trampoline_kernelINS0_14default_configENS1_35adjacent_difference_config_selectorILb1EaEEZNS1_24adjacent_difference_implIS3_Lb1ELb0EPaN6thrust23THRUST_200600_302600_NS16discard_iteratorINS9_11use_defaultEEENS9_5minusIaEEEE10hipError_tPvRmT2_T3_mT4_P12ihipStream_tbEUlT_E_NS1_11comp_targetILNS1_3genE2ELNS1_11target_archE906ELNS1_3gpuE6ELNS1_3repE0EEENS1_30default_config_static_selectorELNS0_4arch9wavefront6targetE1EEEvT1_, .Lfunc_end680-_ZN7rocprim17ROCPRIM_400000_NS6detail17trampoline_kernelINS0_14default_configENS1_35adjacent_difference_config_selectorILb1EaEEZNS1_24adjacent_difference_implIS3_Lb1ELb0EPaN6thrust23THRUST_200600_302600_NS16discard_iteratorINS9_11use_defaultEEENS9_5minusIaEEEE10hipError_tPvRmT2_T3_mT4_P12ihipStream_tbEUlT_E_NS1_11comp_targetILNS1_3genE2ELNS1_11target_archE906ELNS1_3gpuE6ELNS1_3repE0EEENS1_30default_config_static_selectorELNS0_4arch9wavefront6targetE1EEEvT1_
                                        ; -- End function
	.section	.AMDGPU.csdata,"",@progbits
; Kernel info:
; codeLenInByte = 0
; NumSgprs: 6
; NumVgprs: 0
; NumAgprs: 0
; TotalNumVgprs: 0
; ScratchSize: 0
; MemoryBound: 0
; FloatMode: 240
; IeeeMode: 1
; LDSByteSize: 0 bytes/workgroup (compile time only)
; SGPRBlocks: 0
; VGPRBlocks: 0
; NumSGPRsForWavesPerEU: 6
; NumVGPRsForWavesPerEU: 1
; AccumOffset: 4
; Occupancy: 8
; WaveLimiterHint : 0
; COMPUTE_PGM_RSRC2:SCRATCH_EN: 0
; COMPUTE_PGM_RSRC2:USER_SGPR: 2
; COMPUTE_PGM_RSRC2:TRAP_HANDLER: 0
; COMPUTE_PGM_RSRC2:TGID_X_EN: 1
; COMPUTE_PGM_RSRC2:TGID_Y_EN: 0
; COMPUTE_PGM_RSRC2:TGID_Z_EN: 0
; COMPUTE_PGM_RSRC2:TIDIG_COMP_CNT: 0
; COMPUTE_PGM_RSRC3_GFX90A:ACCUM_OFFSET: 0
; COMPUTE_PGM_RSRC3_GFX90A:TG_SPLIT: 0
	.section	.text._ZN7rocprim17ROCPRIM_400000_NS6detail17trampoline_kernelINS0_14default_configENS1_35adjacent_difference_config_selectorILb1EaEEZNS1_24adjacent_difference_implIS3_Lb1ELb0EPaN6thrust23THRUST_200600_302600_NS16discard_iteratorINS9_11use_defaultEEENS9_5minusIaEEEE10hipError_tPvRmT2_T3_mT4_P12ihipStream_tbEUlT_E_NS1_11comp_targetILNS1_3genE9ELNS1_11target_archE1100ELNS1_3gpuE3ELNS1_3repE0EEENS1_30default_config_static_selectorELNS0_4arch9wavefront6targetE1EEEvT1_,"axG",@progbits,_ZN7rocprim17ROCPRIM_400000_NS6detail17trampoline_kernelINS0_14default_configENS1_35adjacent_difference_config_selectorILb1EaEEZNS1_24adjacent_difference_implIS3_Lb1ELb0EPaN6thrust23THRUST_200600_302600_NS16discard_iteratorINS9_11use_defaultEEENS9_5minusIaEEEE10hipError_tPvRmT2_T3_mT4_P12ihipStream_tbEUlT_E_NS1_11comp_targetILNS1_3genE9ELNS1_11target_archE1100ELNS1_3gpuE3ELNS1_3repE0EEENS1_30default_config_static_selectorELNS0_4arch9wavefront6targetE1EEEvT1_,comdat
	.protected	_ZN7rocprim17ROCPRIM_400000_NS6detail17trampoline_kernelINS0_14default_configENS1_35adjacent_difference_config_selectorILb1EaEEZNS1_24adjacent_difference_implIS3_Lb1ELb0EPaN6thrust23THRUST_200600_302600_NS16discard_iteratorINS9_11use_defaultEEENS9_5minusIaEEEE10hipError_tPvRmT2_T3_mT4_P12ihipStream_tbEUlT_E_NS1_11comp_targetILNS1_3genE9ELNS1_11target_archE1100ELNS1_3gpuE3ELNS1_3repE0EEENS1_30default_config_static_selectorELNS0_4arch9wavefront6targetE1EEEvT1_ ; -- Begin function _ZN7rocprim17ROCPRIM_400000_NS6detail17trampoline_kernelINS0_14default_configENS1_35adjacent_difference_config_selectorILb1EaEEZNS1_24adjacent_difference_implIS3_Lb1ELb0EPaN6thrust23THRUST_200600_302600_NS16discard_iteratorINS9_11use_defaultEEENS9_5minusIaEEEE10hipError_tPvRmT2_T3_mT4_P12ihipStream_tbEUlT_E_NS1_11comp_targetILNS1_3genE9ELNS1_11target_archE1100ELNS1_3gpuE3ELNS1_3repE0EEENS1_30default_config_static_selectorELNS0_4arch9wavefront6targetE1EEEvT1_
	.globl	_ZN7rocprim17ROCPRIM_400000_NS6detail17trampoline_kernelINS0_14default_configENS1_35adjacent_difference_config_selectorILb1EaEEZNS1_24adjacent_difference_implIS3_Lb1ELb0EPaN6thrust23THRUST_200600_302600_NS16discard_iteratorINS9_11use_defaultEEENS9_5minusIaEEEE10hipError_tPvRmT2_T3_mT4_P12ihipStream_tbEUlT_E_NS1_11comp_targetILNS1_3genE9ELNS1_11target_archE1100ELNS1_3gpuE3ELNS1_3repE0EEENS1_30default_config_static_selectorELNS0_4arch9wavefront6targetE1EEEvT1_
	.p2align	8
	.type	_ZN7rocprim17ROCPRIM_400000_NS6detail17trampoline_kernelINS0_14default_configENS1_35adjacent_difference_config_selectorILb1EaEEZNS1_24adjacent_difference_implIS3_Lb1ELb0EPaN6thrust23THRUST_200600_302600_NS16discard_iteratorINS9_11use_defaultEEENS9_5minusIaEEEE10hipError_tPvRmT2_T3_mT4_P12ihipStream_tbEUlT_E_NS1_11comp_targetILNS1_3genE9ELNS1_11target_archE1100ELNS1_3gpuE3ELNS1_3repE0EEENS1_30default_config_static_selectorELNS0_4arch9wavefront6targetE1EEEvT1_,@function
_ZN7rocprim17ROCPRIM_400000_NS6detail17trampoline_kernelINS0_14default_configENS1_35adjacent_difference_config_selectorILb1EaEEZNS1_24adjacent_difference_implIS3_Lb1ELb0EPaN6thrust23THRUST_200600_302600_NS16discard_iteratorINS9_11use_defaultEEENS9_5minusIaEEEE10hipError_tPvRmT2_T3_mT4_P12ihipStream_tbEUlT_E_NS1_11comp_targetILNS1_3genE9ELNS1_11target_archE1100ELNS1_3gpuE3ELNS1_3repE0EEENS1_30default_config_static_selectorELNS0_4arch9wavefront6targetE1EEEvT1_: ; @_ZN7rocprim17ROCPRIM_400000_NS6detail17trampoline_kernelINS0_14default_configENS1_35adjacent_difference_config_selectorILb1EaEEZNS1_24adjacent_difference_implIS3_Lb1ELb0EPaN6thrust23THRUST_200600_302600_NS16discard_iteratorINS9_11use_defaultEEENS9_5minusIaEEEE10hipError_tPvRmT2_T3_mT4_P12ihipStream_tbEUlT_E_NS1_11comp_targetILNS1_3genE9ELNS1_11target_archE1100ELNS1_3gpuE3ELNS1_3repE0EEENS1_30default_config_static_selectorELNS0_4arch9wavefront6targetE1EEEvT1_
; %bb.0:
	.section	.rodata,"a",@progbits
	.p2align	6, 0x0
	.amdhsa_kernel _ZN7rocprim17ROCPRIM_400000_NS6detail17trampoline_kernelINS0_14default_configENS1_35adjacent_difference_config_selectorILb1EaEEZNS1_24adjacent_difference_implIS3_Lb1ELb0EPaN6thrust23THRUST_200600_302600_NS16discard_iteratorINS9_11use_defaultEEENS9_5minusIaEEEE10hipError_tPvRmT2_T3_mT4_P12ihipStream_tbEUlT_E_NS1_11comp_targetILNS1_3genE9ELNS1_11target_archE1100ELNS1_3gpuE3ELNS1_3repE0EEENS1_30default_config_static_selectorELNS0_4arch9wavefront6targetE1EEEvT1_
		.amdhsa_group_segment_fixed_size 0
		.amdhsa_private_segment_fixed_size 0
		.amdhsa_kernarg_size 64
		.amdhsa_user_sgpr_count 2
		.amdhsa_user_sgpr_dispatch_ptr 0
		.amdhsa_user_sgpr_queue_ptr 0
		.amdhsa_user_sgpr_kernarg_segment_ptr 1
		.amdhsa_user_sgpr_dispatch_id 0
		.amdhsa_user_sgpr_kernarg_preload_length 0
		.amdhsa_user_sgpr_kernarg_preload_offset 0
		.amdhsa_user_sgpr_private_segment_size 0
		.amdhsa_uses_dynamic_stack 0
		.amdhsa_enable_private_segment 0
		.amdhsa_system_sgpr_workgroup_id_x 1
		.amdhsa_system_sgpr_workgroup_id_y 0
		.amdhsa_system_sgpr_workgroup_id_z 0
		.amdhsa_system_sgpr_workgroup_info 0
		.amdhsa_system_vgpr_workitem_id 0
		.amdhsa_next_free_vgpr 1
		.amdhsa_next_free_sgpr 0
		.amdhsa_accum_offset 4
		.amdhsa_reserve_vcc 0
		.amdhsa_float_round_mode_32 0
		.amdhsa_float_round_mode_16_64 0
		.amdhsa_float_denorm_mode_32 3
		.amdhsa_float_denorm_mode_16_64 3
		.amdhsa_dx10_clamp 1
		.amdhsa_ieee_mode 1
		.amdhsa_fp16_overflow 0
		.amdhsa_tg_split 0
		.amdhsa_exception_fp_ieee_invalid_op 0
		.amdhsa_exception_fp_denorm_src 0
		.amdhsa_exception_fp_ieee_div_zero 0
		.amdhsa_exception_fp_ieee_overflow 0
		.amdhsa_exception_fp_ieee_underflow 0
		.amdhsa_exception_fp_ieee_inexact 0
		.amdhsa_exception_int_div_zero 0
	.end_amdhsa_kernel
	.section	.text._ZN7rocprim17ROCPRIM_400000_NS6detail17trampoline_kernelINS0_14default_configENS1_35adjacent_difference_config_selectorILb1EaEEZNS1_24adjacent_difference_implIS3_Lb1ELb0EPaN6thrust23THRUST_200600_302600_NS16discard_iteratorINS9_11use_defaultEEENS9_5minusIaEEEE10hipError_tPvRmT2_T3_mT4_P12ihipStream_tbEUlT_E_NS1_11comp_targetILNS1_3genE9ELNS1_11target_archE1100ELNS1_3gpuE3ELNS1_3repE0EEENS1_30default_config_static_selectorELNS0_4arch9wavefront6targetE1EEEvT1_,"axG",@progbits,_ZN7rocprim17ROCPRIM_400000_NS6detail17trampoline_kernelINS0_14default_configENS1_35adjacent_difference_config_selectorILb1EaEEZNS1_24adjacent_difference_implIS3_Lb1ELb0EPaN6thrust23THRUST_200600_302600_NS16discard_iteratorINS9_11use_defaultEEENS9_5minusIaEEEE10hipError_tPvRmT2_T3_mT4_P12ihipStream_tbEUlT_E_NS1_11comp_targetILNS1_3genE9ELNS1_11target_archE1100ELNS1_3gpuE3ELNS1_3repE0EEENS1_30default_config_static_selectorELNS0_4arch9wavefront6targetE1EEEvT1_,comdat
.Lfunc_end681:
	.size	_ZN7rocprim17ROCPRIM_400000_NS6detail17trampoline_kernelINS0_14default_configENS1_35adjacent_difference_config_selectorILb1EaEEZNS1_24adjacent_difference_implIS3_Lb1ELb0EPaN6thrust23THRUST_200600_302600_NS16discard_iteratorINS9_11use_defaultEEENS9_5minusIaEEEE10hipError_tPvRmT2_T3_mT4_P12ihipStream_tbEUlT_E_NS1_11comp_targetILNS1_3genE9ELNS1_11target_archE1100ELNS1_3gpuE3ELNS1_3repE0EEENS1_30default_config_static_selectorELNS0_4arch9wavefront6targetE1EEEvT1_, .Lfunc_end681-_ZN7rocprim17ROCPRIM_400000_NS6detail17trampoline_kernelINS0_14default_configENS1_35adjacent_difference_config_selectorILb1EaEEZNS1_24adjacent_difference_implIS3_Lb1ELb0EPaN6thrust23THRUST_200600_302600_NS16discard_iteratorINS9_11use_defaultEEENS9_5minusIaEEEE10hipError_tPvRmT2_T3_mT4_P12ihipStream_tbEUlT_E_NS1_11comp_targetILNS1_3genE9ELNS1_11target_archE1100ELNS1_3gpuE3ELNS1_3repE0EEENS1_30default_config_static_selectorELNS0_4arch9wavefront6targetE1EEEvT1_
                                        ; -- End function
	.section	.AMDGPU.csdata,"",@progbits
; Kernel info:
; codeLenInByte = 0
; NumSgprs: 6
; NumVgprs: 0
; NumAgprs: 0
; TotalNumVgprs: 0
; ScratchSize: 0
; MemoryBound: 0
; FloatMode: 240
; IeeeMode: 1
; LDSByteSize: 0 bytes/workgroup (compile time only)
; SGPRBlocks: 0
; VGPRBlocks: 0
; NumSGPRsForWavesPerEU: 6
; NumVGPRsForWavesPerEU: 1
; AccumOffset: 4
; Occupancy: 8
; WaveLimiterHint : 0
; COMPUTE_PGM_RSRC2:SCRATCH_EN: 0
; COMPUTE_PGM_RSRC2:USER_SGPR: 2
; COMPUTE_PGM_RSRC2:TRAP_HANDLER: 0
; COMPUTE_PGM_RSRC2:TGID_X_EN: 1
; COMPUTE_PGM_RSRC2:TGID_Y_EN: 0
; COMPUTE_PGM_RSRC2:TGID_Z_EN: 0
; COMPUTE_PGM_RSRC2:TIDIG_COMP_CNT: 0
; COMPUTE_PGM_RSRC3_GFX90A:ACCUM_OFFSET: 0
; COMPUTE_PGM_RSRC3_GFX90A:TG_SPLIT: 0
	.section	.text._ZN7rocprim17ROCPRIM_400000_NS6detail17trampoline_kernelINS0_14default_configENS1_35adjacent_difference_config_selectorILb1EaEEZNS1_24adjacent_difference_implIS3_Lb1ELb0EPaN6thrust23THRUST_200600_302600_NS16discard_iteratorINS9_11use_defaultEEENS9_5minusIaEEEE10hipError_tPvRmT2_T3_mT4_P12ihipStream_tbEUlT_E_NS1_11comp_targetILNS1_3genE8ELNS1_11target_archE1030ELNS1_3gpuE2ELNS1_3repE0EEENS1_30default_config_static_selectorELNS0_4arch9wavefront6targetE1EEEvT1_,"axG",@progbits,_ZN7rocprim17ROCPRIM_400000_NS6detail17trampoline_kernelINS0_14default_configENS1_35adjacent_difference_config_selectorILb1EaEEZNS1_24adjacent_difference_implIS3_Lb1ELb0EPaN6thrust23THRUST_200600_302600_NS16discard_iteratorINS9_11use_defaultEEENS9_5minusIaEEEE10hipError_tPvRmT2_T3_mT4_P12ihipStream_tbEUlT_E_NS1_11comp_targetILNS1_3genE8ELNS1_11target_archE1030ELNS1_3gpuE2ELNS1_3repE0EEENS1_30default_config_static_selectorELNS0_4arch9wavefront6targetE1EEEvT1_,comdat
	.protected	_ZN7rocprim17ROCPRIM_400000_NS6detail17trampoline_kernelINS0_14default_configENS1_35adjacent_difference_config_selectorILb1EaEEZNS1_24adjacent_difference_implIS3_Lb1ELb0EPaN6thrust23THRUST_200600_302600_NS16discard_iteratorINS9_11use_defaultEEENS9_5minusIaEEEE10hipError_tPvRmT2_T3_mT4_P12ihipStream_tbEUlT_E_NS1_11comp_targetILNS1_3genE8ELNS1_11target_archE1030ELNS1_3gpuE2ELNS1_3repE0EEENS1_30default_config_static_selectorELNS0_4arch9wavefront6targetE1EEEvT1_ ; -- Begin function _ZN7rocprim17ROCPRIM_400000_NS6detail17trampoline_kernelINS0_14default_configENS1_35adjacent_difference_config_selectorILb1EaEEZNS1_24adjacent_difference_implIS3_Lb1ELb0EPaN6thrust23THRUST_200600_302600_NS16discard_iteratorINS9_11use_defaultEEENS9_5minusIaEEEE10hipError_tPvRmT2_T3_mT4_P12ihipStream_tbEUlT_E_NS1_11comp_targetILNS1_3genE8ELNS1_11target_archE1030ELNS1_3gpuE2ELNS1_3repE0EEENS1_30default_config_static_selectorELNS0_4arch9wavefront6targetE1EEEvT1_
	.globl	_ZN7rocprim17ROCPRIM_400000_NS6detail17trampoline_kernelINS0_14default_configENS1_35adjacent_difference_config_selectorILb1EaEEZNS1_24adjacent_difference_implIS3_Lb1ELb0EPaN6thrust23THRUST_200600_302600_NS16discard_iteratorINS9_11use_defaultEEENS9_5minusIaEEEE10hipError_tPvRmT2_T3_mT4_P12ihipStream_tbEUlT_E_NS1_11comp_targetILNS1_3genE8ELNS1_11target_archE1030ELNS1_3gpuE2ELNS1_3repE0EEENS1_30default_config_static_selectorELNS0_4arch9wavefront6targetE1EEEvT1_
	.p2align	8
	.type	_ZN7rocprim17ROCPRIM_400000_NS6detail17trampoline_kernelINS0_14default_configENS1_35adjacent_difference_config_selectorILb1EaEEZNS1_24adjacent_difference_implIS3_Lb1ELb0EPaN6thrust23THRUST_200600_302600_NS16discard_iteratorINS9_11use_defaultEEENS9_5minusIaEEEE10hipError_tPvRmT2_T3_mT4_P12ihipStream_tbEUlT_E_NS1_11comp_targetILNS1_3genE8ELNS1_11target_archE1030ELNS1_3gpuE2ELNS1_3repE0EEENS1_30default_config_static_selectorELNS0_4arch9wavefront6targetE1EEEvT1_,@function
_ZN7rocprim17ROCPRIM_400000_NS6detail17trampoline_kernelINS0_14default_configENS1_35adjacent_difference_config_selectorILb1EaEEZNS1_24adjacent_difference_implIS3_Lb1ELb0EPaN6thrust23THRUST_200600_302600_NS16discard_iteratorINS9_11use_defaultEEENS9_5minusIaEEEE10hipError_tPvRmT2_T3_mT4_P12ihipStream_tbEUlT_E_NS1_11comp_targetILNS1_3genE8ELNS1_11target_archE1030ELNS1_3gpuE2ELNS1_3repE0EEENS1_30default_config_static_selectorELNS0_4arch9wavefront6targetE1EEEvT1_: ; @_ZN7rocprim17ROCPRIM_400000_NS6detail17trampoline_kernelINS0_14default_configENS1_35adjacent_difference_config_selectorILb1EaEEZNS1_24adjacent_difference_implIS3_Lb1ELb0EPaN6thrust23THRUST_200600_302600_NS16discard_iteratorINS9_11use_defaultEEENS9_5minusIaEEEE10hipError_tPvRmT2_T3_mT4_P12ihipStream_tbEUlT_E_NS1_11comp_targetILNS1_3genE8ELNS1_11target_archE1030ELNS1_3gpuE2ELNS1_3repE0EEENS1_30default_config_static_selectorELNS0_4arch9wavefront6targetE1EEEvT1_
; %bb.0:
	.section	.rodata,"a",@progbits
	.p2align	6, 0x0
	.amdhsa_kernel _ZN7rocprim17ROCPRIM_400000_NS6detail17trampoline_kernelINS0_14default_configENS1_35adjacent_difference_config_selectorILb1EaEEZNS1_24adjacent_difference_implIS3_Lb1ELb0EPaN6thrust23THRUST_200600_302600_NS16discard_iteratorINS9_11use_defaultEEENS9_5minusIaEEEE10hipError_tPvRmT2_T3_mT4_P12ihipStream_tbEUlT_E_NS1_11comp_targetILNS1_3genE8ELNS1_11target_archE1030ELNS1_3gpuE2ELNS1_3repE0EEENS1_30default_config_static_selectorELNS0_4arch9wavefront6targetE1EEEvT1_
		.amdhsa_group_segment_fixed_size 0
		.amdhsa_private_segment_fixed_size 0
		.amdhsa_kernarg_size 64
		.amdhsa_user_sgpr_count 2
		.amdhsa_user_sgpr_dispatch_ptr 0
		.amdhsa_user_sgpr_queue_ptr 0
		.amdhsa_user_sgpr_kernarg_segment_ptr 1
		.amdhsa_user_sgpr_dispatch_id 0
		.amdhsa_user_sgpr_kernarg_preload_length 0
		.amdhsa_user_sgpr_kernarg_preload_offset 0
		.amdhsa_user_sgpr_private_segment_size 0
		.amdhsa_uses_dynamic_stack 0
		.amdhsa_enable_private_segment 0
		.amdhsa_system_sgpr_workgroup_id_x 1
		.amdhsa_system_sgpr_workgroup_id_y 0
		.amdhsa_system_sgpr_workgroup_id_z 0
		.amdhsa_system_sgpr_workgroup_info 0
		.amdhsa_system_vgpr_workitem_id 0
		.amdhsa_next_free_vgpr 1
		.amdhsa_next_free_sgpr 0
		.amdhsa_accum_offset 4
		.amdhsa_reserve_vcc 0
		.amdhsa_float_round_mode_32 0
		.amdhsa_float_round_mode_16_64 0
		.amdhsa_float_denorm_mode_32 3
		.amdhsa_float_denorm_mode_16_64 3
		.amdhsa_dx10_clamp 1
		.amdhsa_ieee_mode 1
		.amdhsa_fp16_overflow 0
		.amdhsa_tg_split 0
		.amdhsa_exception_fp_ieee_invalid_op 0
		.amdhsa_exception_fp_denorm_src 0
		.amdhsa_exception_fp_ieee_div_zero 0
		.amdhsa_exception_fp_ieee_overflow 0
		.amdhsa_exception_fp_ieee_underflow 0
		.amdhsa_exception_fp_ieee_inexact 0
		.amdhsa_exception_int_div_zero 0
	.end_amdhsa_kernel
	.section	.text._ZN7rocprim17ROCPRIM_400000_NS6detail17trampoline_kernelINS0_14default_configENS1_35adjacent_difference_config_selectorILb1EaEEZNS1_24adjacent_difference_implIS3_Lb1ELb0EPaN6thrust23THRUST_200600_302600_NS16discard_iteratorINS9_11use_defaultEEENS9_5minusIaEEEE10hipError_tPvRmT2_T3_mT4_P12ihipStream_tbEUlT_E_NS1_11comp_targetILNS1_3genE8ELNS1_11target_archE1030ELNS1_3gpuE2ELNS1_3repE0EEENS1_30default_config_static_selectorELNS0_4arch9wavefront6targetE1EEEvT1_,"axG",@progbits,_ZN7rocprim17ROCPRIM_400000_NS6detail17trampoline_kernelINS0_14default_configENS1_35adjacent_difference_config_selectorILb1EaEEZNS1_24adjacent_difference_implIS3_Lb1ELb0EPaN6thrust23THRUST_200600_302600_NS16discard_iteratorINS9_11use_defaultEEENS9_5minusIaEEEE10hipError_tPvRmT2_T3_mT4_P12ihipStream_tbEUlT_E_NS1_11comp_targetILNS1_3genE8ELNS1_11target_archE1030ELNS1_3gpuE2ELNS1_3repE0EEENS1_30default_config_static_selectorELNS0_4arch9wavefront6targetE1EEEvT1_,comdat
.Lfunc_end682:
	.size	_ZN7rocprim17ROCPRIM_400000_NS6detail17trampoline_kernelINS0_14default_configENS1_35adjacent_difference_config_selectorILb1EaEEZNS1_24adjacent_difference_implIS3_Lb1ELb0EPaN6thrust23THRUST_200600_302600_NS16discard_iteratorINS9_11use_defaultEEENS9_5minusIaEEEE10hipError_tPvRmT2_T3_mT4_P12ihipStream_tbEUlT_E_NS1_11comp_targetILNS1_3genE8ELNS1_11target_archE1030ELNS1_3gpuE2ELNS1_3repE0EEENS1_30default_config_static_selectorELNS0_4arch9wavefront6targetE1EEEvT1_, .Lfunc_end682-_ZN7rocprim17ROCPRIM_400000_NS6detail17trampoline_kernelINS0_14default_configENS1_35adjacent_difference_config_selectorILb1EaEEZNS1_24adjacent_difference_implIS3_Lb1ELb0EPaN6thrust23THRUST_200600_302600_NS16discard_iteratorINS9_11use_defaultEEENS9_5minusIaEEEE10hipError_tPvRmT2_T3_mT4_P12ihipStream_tbEUlT_E_NS1_11comp_targetILNS1_3genE8ELNS1_11target_archE1030ELNS1_3gpuE2ELNS1_3repE0EEENS1_30default_config_static_selectorELNS0_4arch9wavefront6targetE1EEEvT1_
                                        ; -- End function
	.section	.AMDGPU.csdata,"",@progbits
; Kernel info:
; codeLenInByte = 0
; NumSgprs: 6
; NumVgprs: 0
; NumAgprs: 0
; TotalNumVgprs: 0
; ScratchSize: 0
; MemoryBound: 0
; FloatMode: 240
; IeeeMode: 1
; LDSByteSize: 0 bytes/workgroup (compile time only)
; SGPRBlocks: 0
; VGPRBlocks: 0
; NumSGPRsForWavesPerEU: 6
; NumVGPRsForWavesPerEU: 1
; AccumOffset: 4
; Occupancy: 8
; WaveLimiterHint : 0
; COMPUTE_PGM_RSRC2:SCRATCH_EN: 0
; COMPUTE_PGM_RSRC2:USER_SGPR: 2
; COMPUTE_PGM_RSRC2:TRAP_HANDLER: 0
; COMPUTE_PGM_RSRC2:TGID_X_EN: 1
; COMPUTE_PGM_RSRC2:TGID_Y_EN: 0
; COMPUTE_PGM_RSRC2:TGID_Z_EN: 0
; COMPUTE_PGM_RSRC2:TIDIG_COMP_CNT: 0
; COMPUTE_PGM_RSRC3_GFX90A:ACCUM_OFFSET: 0
; COMPUTE_PGM_RSRC3_GFX90A:TG_SPLIT: 0
	.section	.text._ZN7rocprim17ROCPRIM_400000_NS6detail17trampoline_kernelINS0_14default_configENS1_25transform_config_selectorIhLb0EEEZNS1_14transform_implILb0ES3_S5_NS0_18transform_iteratorINS0_17counting_iteratorImlEEZNS1_24adjacent_difference_implIS3_Lb1ELb0EPhN6thrust23THRUST_200600_302600_NS16discard_iteratorINSD_11use_defaultEEENSD_5minusIhEEEE10hipError_tPvRmT2_T3_mT4_P12ihipStream_tbEUlmE_hEESB_NS0_8identityIvEEEESJ_SM_SN_mSO_SQ_bEUlT_E_NS1_11comp_targetILNS1_3genE0ELNS1_11target_archE4294967295ELNS1_3gpuE0ELNS1_3repE0EEENS1_30default_config_static_selectorELNS0_4arch9wavefront6targetE1EEEvT1_,"axG",@progbits,_ZN7rocprim17ROCPRIM_400000_NS6detail17trampoline_kernelINS0_14default_configENS1_25transform_config_selectorIhLb0EEEZNS1_14transform_implILb0ES3_S5_NS0_18transform_iteratorINS0_17counting_iteratorImlEEZNS1_24adjacent_difference_implIS3_Lb1ELb0EPhN6thrust23THRUST_200600_302600_NS16discard_iteratorINSD_11use_defaultEEENSD_5minusIhEEEE10hipError_tPvRmT2_T3_mT4_P12ihipStream_tbEUlmE_hEESB_NS0_8identityIvEEEESJ_SM_SN_mSO_SQ_bEUlT_E_NS1_11comp_targetILNS1_3genE0ELNS1_11target_archE4294967295ELNS1_3gpuE0ELNS1_3repE0EEENS1_30default_config_static_selectorELNS0_4arch9wavefront6targetE1EEEvT1_,comdat
	.protected	_ZN7rocprim17ROCPRIM_400000_NS6detail17trampoline_kernelINS0_14default_configENS1_25transform_config_selectorIhLb0EEEZNS1_14transform_implILb0ES3_S5_NS0_18transform_iteratorINS0_17counting_iteratorImlEEZNS1_24adjacent_difference_implIS3_Lb1ELb0EPhN6thrust23THRUST_200600_302600_NS16discard_iteratorINSD_11use_defaultEEENSD_5minusIhEEEE10hipError_tPvRmT2_T3_mT4_P12ihipStream_tbEUlmE_hEESB_NS0_8identityIvEEEESJ_SM_SN_mSO_SQ_bEUlT_E_NS1_11comp_targetILNS1_3genE0ELNS1_11target_archE4294967295ELNS1_3gpuE0ELNS1_3repE0EEENS1_30default_config_static_selectorELNS0_4arch9wavefront6targetE1EEEvT1_ ; -- Begin function _ZN7rocprim17ROCPRIM_400000_NS6detail17trampoline_kernelINS0_14default_configENS1_25transform_config_selectorIhLb0EEEZNS1_14transform_implILb0ES3_S5_NS0_18transform_iteratorINS0_17counting_iteratorImlEEZNS1_24adjacent_difference_implIS3_Lb1ELb0EPhN6thrust23THRUST_200600_302600_NS16discard_iteratorINSD_11use_defaultEEENSD_5minusIhEEEE10hipError_tPvRmT2_T3_mT4_P12ihipStream_tbEUlmE_hEESB_NS0_8identityIvEEEESJ_SM_SN_mSO_SQ_bEUlT_E_NS1_11comp_targetILNS1_3genE0ELNS1_11target_archE4294967295ELNS1_3gpuE0ELNS1_3repE0EEENS1_30default_config_static_selectorELNS0_4arch9wavefront6targetE1EEEvT1_
	.globl	_ZN7rocprim17ROCPRIM_400000_NS6detail17trampoline_kernelINS0_14default_configENS1_25transform_config_selectorIhLb0EEEZNS1_14transform_implILb0ES3_S5_NS0_18transform_iteratorINS0_17counting_iteratorImlEEZNS1_24adjacent_difference_implIS3_Lb1ELb0EPhN6thrust23THRUST_200600_302600_NS16discard_iteratorINSD_11use_defaultEEENSD_5minusIhEEEE10hipError_tPvRmT2_T3_mT4_P12ihipStream_tbEUlmE_hEESB_NS0_8identityIvEEEESJ_SM_SN_mSO_SQ_bEUlT_E_NS1_11comp_targetILNS1_3genE0ELNS1_11target_archE4294967295ELNS1_3gpuE0ELNS1_3repE0EEENS1_30default_config_static_selectorELNS0_4arch9wavefront6targetE1EEEvT1_
	.p2align	8
	.type	_ZN7rocprim17ROCPRIM_400000_NS6detail17trampoline_kernelINS0_14default_configENS1_25transform_config_selectorIhLb0EEEZNS1_14transform_implILb0ES3_S5_NS0_18transform_iteratorINS0_17counting_iteratorImlEEZNS1_24adjacent_difference_implIS3_Lb1ELb0EPhN6thrust23THRUST_200600_302600_NS16discard_iteratorINSD_11use_defaultEEENSD_5minusIhEEEE10hipError_tPvRmT2_T3_mT4_P12ihipStream_tbEUlmE_hEESB_NS0_8identityIvEEEESJ_SM_SN_mSO_SQ_bEUlT_E_NS1_11comp_targetILNS1_3genE0ELNS1_11target_archE4294967295ELNS1_3gpuE0ELNS1_3repE0EEENS1_30default_config_static_selectorELNS0_4arch9wavefront6targetE1EEEvT1_,@function
_ZN7rocprim17ROCPRIM_400000_NS6detail17trampoline_kernelINS0_14default_configENS1_25transform_config_selectorIhLb0EEEZNS1_14transform_implILb0ES3_S5_NS0_18transform_iteratorINS0_17counting_iteratorImlEEZNS1_24adjacent_difference_implIS3_Lb1ELb0EPhN6thrust23THRUST_200600_302600_NS16discard_iteratorINSD_11use_defaultEEENSD_5minusIhEEEE10hipError_tPvRmT2_T3_mT4_P12ihipStream_tbEUlmE_hEESB_NS0_8identityIvEEEESJ_SM_SN_mSO_SQ_bEUlT_E_NS1_11comp_targetILNS1_3genE0ELNS1_11target_archE4294967295ELNS1_3gpuE0ELNS1_3repE0EEENS1_30default_config_static_selectorELNS0_4arch9wavefront6targetE1EEEvT1_: ; @_ZN7rocprim17ROCPRIM_400000_NS6detail17trampoline_kernelINS0_14default_configENS1_25transform_config_selectorIhLb0EEEZNS1_14transform_implILb0ES3_S5_NS0_18transform_iteratorINS0_17counting_iteratorImlEEZNS1_24adjacent_difference_implIS3_Lb1ELb0EPhN6thrust23THRUST_200600_302600_NS16discard_iteratorINSD_11use_defaultEEENSD_5minusIhEEEE10hipError_tPvRmT2_T3_mT4_P12ihipStream_tbEUlmE_hEESB_NS0_8identityIvEEEESJ_SM_SN_mSO_SQ_bEUlT_E_NS1_11comp_targetILNS1_3genE0ELNS1_11target_archE4294967295ELNS1_3gpuE0ELNS1_3repE0EEENS1_30default_config_static_selectorELNS0_4arch9wavefront6targetE1EEEvT1_
; %bb.0:
	.section	.rodata,"a",@progbits
	.p2align	6, 0x0
	.amdhsa_kernel _ZN7rocprim17ROCPRIM_400000_NS6detail17trampoline_kernelINS0_14default_configENS1_25transform_config_selectorIhLb0EEEZNS1_14transform_implILb0ES3_S5_NS0_18transform_iteratorINS0_17counting_iteratorImlEEZNS1_24adjacent_difference_implIS3_Lb1ELb0EPhN6thrust23THRUST_200600_302600_NS16discard_iteratorINSD_11use_defaultEEENSD_5minusIhEEEE10hipError_tPvRmT2_T3_mT4_P12ihipStream_tbEUlmE_hEESB_NS0_8identityIvEEEESJ_SM_SN_mSO_SQ_bEUlT_E_NS1_11comp_targetILNS1_3genE0ELNS1_11target_archE4294967295ELNS1_3gpuE0ELNS1_3repE0EEENS1_30default_config_static_selectorELNS0_4arch9wavefront6targetE1EEEvT1_
		.amdhsa_group_segment_fixed_size 0
		.amdhsa_private_segment_fixed_size 0
		.amdhsa_kernarg_size 56
		.amdhsa_user_sgpr_count 2
		.amdhsa_user_sgpr_dispatch_ptr 0
		.amdhsa_user_sgpr_queue_ptr 0
		.amdhsa_user_sgpr_kernarg_segment_ptr 1
		.amdhsa_user_sgpr_dispatch_id 0
		.amdhsa_user_sgpr_kernarg_preload_length 0
		.amdhsa_user_sgpr_kernarg_preload_offset 0
		.amdhsa_user_sgpr_private_segment_size 0
		.amdhsa_uses_dynamic_stack 0
		.amdhsa_enable_private_segment 0
		.amdhsa_system_sgpr_workgroup_id_x 1
		.amdhsa_system_sgpr_workgroup_id_y 0
		.amdhsa_system_sgpr_workgroup_id_z 0
		.amdhsa_system_sgpr_workgroup_info 0
		.amdhsa_system_vgpr_workitem_id 0
		.amdhsa_next_free_vgpr 1
		.amdhsa_next_free_sgpr 0
		.amdhsa_accum_offset 4
		.amdhsa_reserve_vcc 0
		.amdhsa_float_round_mode_32 0
		.amdhsa_float_round_mode_16_64 0
		.amdhsa_float_denorm_mode_32 3
		.amdhsa_float_denorm_mode_16_64 3
		.amdhsa_dx10_clamp 1
		.amdhsa_ieee_mode 1
		.amdhsa_fp16_overflow 0
		.amdhsa_tg_split 0
		.amdhsa_exception_fp_ieee_invalid_op 0
		.amdhsa_exception_fp_denorm_src 0
		.amdhsa_exception_fp_ieee_div_zero 0
		.amdhsa_exception_fp_ieee_overflow 0
		.amdhsa_exception_fp_ieee_underflow 0
		.amdhsa_exception_fp_ieee_inexact 0
		.amdhsa_exception_int_div_zero 0
	.end_amdhsa_kernel
	.section	.text._ZN7rocprim17ROCPRIM_400000_NS6detail17trampoline_kernelINS0_14default_configENS1_25transform_config_selectorIhLb0EEEZNS1_14transform_implILb0ES3_S5_NS0_18transform_iteratorINS0_17counting_iteratorImlEEZNS1_24adjacent_difference_implIS3_Lb1ELb0EPhN6thrust23THRUST_200600_302600_NS16discard_iteratorINSD_11use_defaultEEENSD_5minusIhEEEE10hipError_tPvRmT2_T3_mT4_P12ihipStream_tbEUlmE_hEESB_NS0_8identityIvEEEESJ_SM_SN_mSO_SQ_bEUlT_E_NS1_11comp_targetILNS1_3genE0ELNS1_11target_archE4294967295ELNS1_3gpuE0ELNS1_3repE0EEENS1_30default_config_static_selectorELNS0_4arch9wavefront6targetE1EEEvT1_,"axG",@progbits,_ZN7rocprim17ROCPRIM_400000_NS6detail17trampoline_kernelINS0_14default_configENS1_25transform_config_selectorIhLb0EEEZNS1_14transform_implILb0ES3_S5_NS0_18transform_iteratorINS0_17counting_iteratorImlEEZNS1_24adjacent_difference_implIS3_Lb1ELb0EPhN6thrust23THRUST_200600_302600_NS16discard_iteratorINSD_11use_defaultEEENSD_5minusIhEEEE10hipError_tPvRmT2_T3_mT4_P12ihipStream_tbEUlmE_hEESB_NS0_8identityIvEEEESJ_SM_SN_mSO_SQ_bEUlT_E_NS1_11comp_targetILNS1_3genE0ELNS1_11target_archE4294967295ELNS1_3gpuE0ELNS1_3repE0EEENS1_30default_config_static_selectorELNS0_4arch9wavefront6targetE1EEEvT1_,comdat
.Lfunc_end683:
	.size	_ZN7rocprim17ROCPRIM_400000_NS6detail17trampoline_kernelINS0_14default_configENS1_25transform_config_selectorIhLb0EEEZNS1_14transform_implILb0ES3_S5_NS0_18transform_iteratorINS0_17counting_iteratorImlEEZNS1_24adjacent_difference_implIS3_Lb1ELb0EPhN6thrust23THRUST_200600_302600_NS16discard_iteratorINSD_11use_defaultEEENSD_5minusIhEEEE10hipError_tPvRmT2_T3_mT4_P12ihipStream_tbEUlmE_hEESB_NS0_8identityIvEEEESJ_SM_SN_mSO_SQ_bEUlT_E_NS1_11comp_targetILNS1_3genE0ELNS1_11target_archE4294967295ELNS1_3gpuE0ELNS1_3repE0EEENS1_30default_config_static_selectorELNS0_4arch9wavefront6targetE1EEEvT1_, .Lfunc_end683-_ZN7rocprim17ROCPRIM_400000_NS6detail17trampoline_kernelINS0_14default_configENS1_25transform_config_selectorIhLb0EEEZNS1_14transform_implILb0ES3_S5_NS0_18transform_iteratorINS0_17counting_iteratorImlEEZNS1_24adjacent_difference_implIS3_Lb1ELb0EPhN6thrust23THRUST_200600_302600_NS16discard_iteratorINSD_11use_defaultEEENSD_5minusIhEEEE10hipError_tPvRmT2_T3_mT4_P12ihipStream_tbEUlmE_hEESB_NS0_8identityIvEEEESJ_SM_SN_mSO_SQ_bEUlT_E_NS1_11comp_targetILNS1_3genE0ELNS1_11target_archE4294967295ELNS1_3gpuE0ELNS1_3repE0EEENS1_30default_config_static_selectorELNS0_4arch9wavefront6targetE1EEEvT1_
                                        ; -- End function
	.section	.AMDGPU.csdata,"",@progbits
; Kernel info:
; codeLenInByte = 0
; NumSgprs: 6
; NumVgprs: 0
; NumAgprs: 0
; TotalNumVgprs: 0
; ScratchSize: 0
; MemoryBound: 0
; FloatMode: 240
; IeeeMode: 1
; LDSByteSize: 0 bytes/workgroup (compile time only)
; SGPRBlocks: 0
; VGPRBlocks: 0
; NumSGPRsForWavesPerEU: 6
; NumVGPRsForWavesPerEU: 1
; AccumOffset: 4
; Occupancy: 8
; WaveLimiterHint : 0
; COMPUTE_PGM_RSRC2:SCRATCH_EN: 0
; COMPUTE_PGM_RSRC2:USER_SGPR: 2
; COMPUTE_PGM_RSRC2:TRAP_HANDLER: 0
; COMPUTE_PGM_RSRC2:TGID_X_EN: 1
; COMPUTE_PGM_RSRC2:TGID_Y_EN: 0
; COMPUTE_PGM_RSRC2:TGID_Z_EN: 0
; COMPUTE_PGM_RSRC2:TIDIG_COMP_CNT: 0
; COMPUTE_PGM_RSRC3_GFX90A:ACCUM_OFFSET: 0
; COMPUTE_PGM_RSRC3_GFX90A:TG_SPLIT: 0
	.section	.text._ZN7rocprim17ROCPRIM_400000_NS6detail17trampoline_kernelINS0_14default_configENS1_25transform_config_selectorIhLb0EEEZNS1_14transform_implILb0ES3_S5_NS0_18transform_iteratorINS0_17counting_iteratorImlEEZNS1_24adjacent_difference_implIS3_Lb1ELb0EPhN6thrust23THRUST_200600_302600_NS16discard_iteratorINSD_11use_defaultEEENSD_5minusIhEEEE10hipError_tPvRmT2_T3_mT4_P12ihipStream_tbEUlmE_hEESB_NS0_8identityIvEEEESJ_SM_SN_mSO_SQ_bEUlT_E_NS1_11comp_targetILNS1_3genE5ELNS1_11target_archE942ELNS1_3gpuE9ELNS1_3repE0EEENS1_30default_config_static_selectorELNS0_4arch9wavefront6targetE1EEEvT1_,"axG",@progbits,_ZN7rocprim17ROCPRIM_400000_NS6detail17trampoline_kernelINS0_14default_configENS1_25transform_config_selectorIhLb0EEEZNS1_14transform_implILb0ES3_S5_NS0_18transform_iteratorINS0_17counting_iteratorImlEEZNS1_24adjacent_difference_implIS3_Lb1ELb0EPhN6thrust23THRUST_200600_302600_NS16discard_iteratorINSD_11use_defaultEEENSD_5minusIhEEEE10hipError_tPvRmT2_T3_mT4_P12ihipStream_tbEUlmE_hEESB_NS0_8identityIvEEEESJ_SM_SN_mSO_SQ_bEUlT_E_NS1_11comp_targetILNS1_3genE5ELNS1_11target_archE942ELNS1_3gpuE9ELNS1_3repE0EEENS1_30default_config_static_selectorELNS0_4arch9wavefront6targetE1EEEvT1_,comdat
	.protected	_ZN7rocprim17ROCPRIM_400000_NS6detail17trampoline_kernelINS0_14default_configENS1_25transform_config_selectorIhLb0EEEZNS1_14transform_implILb0ES3_S5_NS0_18transform_iteratorINS0_17counting_iteratorImlEEZNS1_24adjacent_difference_implIS3_Lb1ELb0EPhN6thrust23THRUST_200600_302600_NS16discard_iteratorINSD_11use_defaultEEENSD_5minusIhEEEE10hipError_tPvRmT2_T3_mT4_P12ihipStream_tbEUlmE_hEESB_NS0_8identityIvEEEESJ_SM_SN_mSO_SQ_bEUlT_E_NS1_11comp_targetILNS1_3genE5ELNS1_11target_archE942ELNS1_3gpuE9ELNS1_3repE0EEENS1_30default_config_static_selectorELNS0_4arch9wavefront6targetE1EEEvT1_ ; -- Begin function _ZN7rocprim17ROCPRIM_400000_NS6detail17trampoline_kernelINS0_14default_configENS1_25transform_config_selectorIhLb0EEEZNS1_14transform_implILb0ES3_S5_NS0_18transform_iteratorINS0_17counting_iteratorImlEEZNS1_24adjacent_difference_implIS3_Lb1ELb0EPhN6thrust23THRUST_200600_302600_NS16discard_iteratorINSD_11use_defaultEEENSD_5minusIhEEEE10hipError_tPvRmT2_T3_mT4_P12ihipStream_tbEUlmE_hEESB_NS0_8identityIvEEEESJ_SM_SN_mSO_SQ_bEUlT_E_NS1_11comp_targetILNS1_3genE5ELNS1_11target_archE942ELNS1_3gpuE9ELNS1_3repE0EEENS1_30default_config_static_selectorELNS0_4arch9wavefront6targetE1EEEvT1_
	.globl	_ZN7rocprim17ROCPRIM_400000_NS6detail17trampoline_kernelINS0_14default_configENS1_25transform_config_selectorIhLb0EEEZNS1_14transform_implILb0ES3_S5_NS0_18transform_iteratorINS0_17counting_iteratorImlEEZNS1_24adjacent_difference_implIS3_Lb1ELb0EPhN6thrust23THRUST_200600_302600_NS16discard_iteratorINSD_11use_defaultEEENSD_5minusIhEEEE10hipError_tPvRmT2_T3_mT4_P12ihipStream_tbEUlmE_hEESB_NS0_8identityIvEEEESJ_SM_SN_mSO_SQ_bEUlT_E_NS1_11comp_targetILNS1_3genE5ELNS1_11target_archE942ELNS1_3gpuE9ELNS1_3repE0EEENS1_30default_config_static_selectorELNS0_4arch9wavefront6targetE1EEEvT1_
	.p2align	8
	.type	_ZN7rocprim17ROCPRIM_400000_NS6detail17trampoline_kernelINS0_14default_configENS1_25transform_config_selectorIhLb0EEEZNS1_14transform_implILb0ES3_S5_NS0_18transform_iteratorINS0_17counting_iteratorImlEEZNS1_24adjacent_difference_implIS3_Lb1ELb0EPhN6thrust23THRUST_200600_302600_NS16discard_iteratorINSD_11use_defaultEEENSD_5minusIhEEEE10hipError_tPvRmT2_T3_mT4_P12ihipStream_tbEUlmE_hEESB_NS0_8identityIvEEEESJ_SM_SN_mSO_SQ_bEUlT_E_NS1_11comp_targetILNS1_3genE5ELNS1_11target_archE942ELNS1_3gpuE9ELNS1_3repE0EEENS1_30default_config_static_selectorELNS0_4arch9wavefront6targetE1EEEvT1_,@function
_ZN7rocprim17ROCPRIM_400000_NS6detail17trampoline_kernelINS0_14default_configENS1_25transform_config_selectorIhLb0EEEZNS1_14transform_implILb0ES3_S5_NS0_18transform_iteratorINS0_17counting_iteratorImlEEZNS1_24adjacent_difference_implIS3_Lb1ELb0EPhN6thrust23THRUST_200600_302600_NS16discard_iteratorINSD_11use_defaultEEENSD_5minusIhEEEE10hipError_tPvRmT2_T3_mT4_P12ihipStream_tbEUlmE_hEESB_NS0_8identityIvEEEESJ_SM_SN_mSO_SQ_bEUlT_E_NS1_11comp_targetILNS1_3genE5ELNS1_11target_archE942ELNS1_3gpuE9ELNS1_3repE0EEENS1_30default_config_static_selectorELNS0_4arch9wavefront6targetE1EEEvT1_: ; @_ZN7rocprim17ROCPRIM_400000_NS6detail17trampoline_kernelINS0_14default_configENS1_25transform_config_selectorIhLb0EEEZNS1_14transform_implILb0ES3_S5_NS0_18transform_iteratorINS0_17counting_iteratorImlEEZNS1_24adjacent_difference_implIS3_Lb1ELb0EPhN6thrust23THRUST_200600_302600_NS16discard_iteratorINSD_11use_defaultEEENSD_5minusIhEEEE10hipError_tPvRmT2_T3_mT4_P12ihipStream_tbEUlmE_hEESB_NS0_8identityIvEEEESJ_SM_SN_mSO_SQ_bEUlT_E_NS1_11comp_targetILNS1_3genE5ELNS1_11target_archE942ELNS1_3gpuE9ELNS1_3repE0EEENS1_30default_config_static_selectorELNS0_4arch9wavefront6targetE1EEEvT1_
; %bb.0:
	s_load_dwordx4 s[4:7], s[0:1], 0x18
	s_load_dwordx2 s[8:9], s[0:1], 0x28
	s_load_dword s3, s[0:1], 0x38
	s_load_dwordx4 s[12:15], s[0:1], 0x0
	s_load_dword s18, s[0:1], 0x10
	s_mov_b32 s19, 0
	s_waitcnt lgkmcnt(0)
	s_add_u32 s24, s8, s4
	s_addc_u32 s25, s9, s5
	s_lshl_b32 s26, s2, 13
	s_add_i32 s3, s3, -1
	s_add_u32 s0, s12, s26
	s_addc_u32 s1, s13, 0
	s_add_u32 s20, s0, s4
	s_addc_u32 s21, s1, s5
	s_cmp_lg_u32 s2, s3
	s_cbranch_scc0 .LBB684_2
; %bb.1:
	v_mov_b32_e32 v1, 0
	v_lshl_add_u64 v[2:3], s[20:21], 0, v[0:1]
	v_mov_b64_e32 v[4:5], s[14:15]
	v_mad_u64_u32 v[4:5], s[0:1], v2, s18, v[4:5]
	v_mov_b32_e32 v2, v5
	v_mad_u64_u32 v[2:3], s[0:1], v3, s18, v[2:3]
	v_mov_b32_e32 v5, v2
	s_lshl_b64 s[0:1], s[18:19], 10
	v_lshl_add_u64 v[2:3], v[4:5], 0, s[0:1]
	global_load_ubyte v10, v[4:5], off
	v_lshl_add_u64 v[4:5], v[2:3], 0, s[0:1]
	v_lshl_add_u64 v[6:7], v[4:5], 0, s[0:1]
	v_lshl_add_u64 v[8:9], v[6:7], 0, s[0:1]
	global_load_ubyte v11, v[2:3], off
	global_load_ubyte v12, v[4:5], off
	;; [unrolled: 1-line block ×4, first 2 shown]
	v_lshl_add_u64 v[2:3], v[8:9], 0, s[0:1]
	global_load_ubyte v4, v[2:3], off
	v_lshl_add_u64 v[2:3], v[2:3], 0, s[0:1]
	global_load_ubyte v8, v[2:3], off
	;; [unrolled: 2-line block ×3, first 2 shown]
	s_add_u32 s2, s24, s26
	s_addc_u32 s3, s25, 0
	v_lshl_add_u64 v[2:3], s[2:3], 0, v[0:1]
	v_add_co_u32_e32 v6, vcc, 0x1000, v2
	s_nop 1
	v_addc_co_u32_e32 v7, vcc, 0, v3, vcc
	s_mov_b64 s[16:17], -1
	s_waitcnt vmcnt(7)
	global_store_byte v0, v10, s[2:3]
	s_waitcnt vmcnt(7)
	global_store_byte v0, v11, s[2:3] offset:1024
	s_waitcnt vmcnt(7)
	global_store_byte v0, v12, s[2:3] offset:2048
	;; [unrolled: 2-line block ×3, first 2 shown]
	s_waitcnt vmcnt(7)
	global_store_byte v[6:7], v14, off
	s_waitcnt vmcnt(7)
	global_store_byte v[6:7], v4, off offset:1024
	s_waitcnt vmcnt(7)
	global_store_byte v[6:7], v8, off offset:2048
	s_cbranch_execz .LBB684_3
	s_branch .LBB684_36
.LBB684_2:
	s_mov_b64 s[16:17], 0
                                        ; implicit-def: $vgpr5
                                        ; implicit-def: $vgpr2_vgpr3
.LBB684_3:
	s_sub_i32 s19, s6, s26
	v_cmp_gt_u32_e32 vcc, s19, v0
                                        ; implicit-def: $vgpr1
	s_and_saveexec_b64 s[0:1], vcc
	s_cbranch_execz .LBB684_5
; %bb.4:
	v_mov_b32_e32 v1, 0
	v_lshl_add_u64 v[2:3], s[20:21], 0, v[0:1]
	s_waitcnt vmcnt(7)
	v_mov_b64_e32 v[4:5], s[14:15]
	v_mad_u64_u32 v[4:5], s[2:3], v2, s18, v[4:5]
	v_mov_b32_e32 v2, v5
	v_mad_u64_u32 v[2:3], s[2:3], v3, s18, v[2:3]
	v_mov_b32_e32 v5, v2
	global_load_ubyte v1, v[4:5], off
.LBB684_5:
	s_or_b64 exec, exec, s[0:1]
	v_or_b32_e32 v2, 0x400, v0
	v_cmp_gt_u32_e64 s[0:1], s19, v2
                                        ; implicit-def: $vgpr4
	s_and_saveexec_b64 s[2:3], s[0:1]
	s_cbranch_execz .LBB684_7
; %bb.6:
	v_mov_b32_e32 v3, 0
	v_lshl_add_u64 v[2:3], s[20:21], 0, v[2:3]
	s_waitcnt vmcnt(7)
	v_mov_b64_e32 v[4:5], s[14:15]
	v_mad_u64_u32 v[4:5], s[4:5], v2, s18, v[4:5]
	v_mov_b32_e32 v2, v5
	v_mad_u64_u32 v[2:3], s[4:5], v3, s18, v[2:3]
	v_mov_b32_e32 v5, v2
	global_load_ubyte v4, v[4:5], off
.LBB684_7:
	s_or_b64 exec, exec, s[2:3]
	v_or_b32_e32 v2, 0x800, v0
	v_cmp_gt_u32_e64 s[2:3], s19, v2
                                        ; implicit-def: $vgpr5
	s_and_saveexec_b64 s[4:5], s[2:3]
	s_cbranch_execz .LBB684_9
; %bb.8:
	v_mov_b32_e32 v3, 0
	v_lshl_add_u64 v[2:3], s[20:21], 0, v[2:3]
	v_mov_b64_e32 v[6:7], s[14:15]
	v_mad_u64_u32 v[6:7], s[6:7], v2, s18, v[6:7]
	v_mov_b32_e32 v2, v7
	v_mad_u64_u32 v[2:3], s[6:7], v3, s18, v[2:3]
	v_mov_b32_e32 v7, v2
	global_load_ubyte v5, v[6:7], off
.LBB684_9:
	s_or_b64 exec, exec, s[4:5]
	v_or_b32_e32 v2, 0xc00, v0
	v_cmp_gt_u32_e64 s[4:5], s19, v2
                                        ; implicit-def: $vgpr6
	s_and_saveexec_b64 s[6:7], s[4:5]
	s_cbranch_execz .LBB684_11
; %bb.10:
	v_mov_b32_e32 v3, 0
	v_lshl_add_u64 v[2:3], s[20:21], 0, v[2:3]
	v_mov_b64_e32 v[6:7], s[14:15]
	v_mad_u64_u32 v[6:7], s[8:9], v2, s18, v[6:7]
	v_mov_b32_e32 v2, v7
	v_mad_u64_u32 v[2:3], s[8:9], v3, s18, v[2:3]
	v_mov_b32_e32 v7, v2
	global_load_ubyte v6, v[6:7], off
.LBB684_11:
	s_or_b64 exec, exec, s[6:7]
	v_or_b32_e32 v2, 0x1000, v0
	v_cmp_gt_u32_e64 s[6:7], s19, v2
                                        ; implicit-def: $vgpr7
	s_and_saveexec_b64 s[8:9], s[6:7]
	s_cbranch_execz .LBB684_13
; %bb.12:
	v_mov_b32_e32 v3, 0
	v_lshl_add_u64 v[2:3], s[20:21], 0, v[2:3]
	v_mov_b64_e32 v[8:9], s[14:15]
	v_mad_u64_u32 v[8:9], s[10:11], v2, s18, v[8:9]
	v_mov_b32_e32 v2, v9
	v_mad_u64_u32 v[2:3], s[10:11], v3, s18, v[2:3]
	v_mov_b32_e32 v9, v2
	global_load_ubyte v7, v[8:9], off
.LBB684_13:
	s_or_b64 exec, exec, s[8:9]
	v_or_b32_e32 v2, 0x1400, v0
	v_cmp_gt_u32_e64 s[8:9], s19, v2
                                        ; implicit-def: $vgpr8
	s_and_saveexec_b64 s[10:11], s[8:9]
	s_cbranch_execz .LBB684_15
; %bb.14:
	v_mov_b32_e32 v3, 0
	v_lshl_add_u64 v[2:3], s[20:21], 0, v[2:3]
	v_mov_b64_e32 v[8:9], s[14:15]
	v_mad_u64_u32 v[8:9], s[12:13], v2, s18, v[8:9]
	v_mov_b32_e32 v2, v9
	v_mad_u64_u32 v[2:3], s[12:13], v3, s18, v[2:3]
	v_mov_b32_e32 v9, v2
	global_load_ubyte v8, v[8:9], off
.LBB684_15:
	s_or_b64 exec, exec, s[10:11]
	v_or_b32_e32 v2, 0x1800, v0
	v_cmp_gt_u32_e64 s[10:11], s19, v2
                                        ; implicit-def: $vgpr9
	s_and_saveexec_b64 s[12:13], s[10:11]
	s_cbranch_execz .LBB684_17
; %bb.16:
	v_mov_b32_e32 v3, 0
	v_lshl_add_u64 v[2:3], s[20:21], 0, v[2:3]
	v_mov_b64_e32 v[10:11], s[14:15]
	v_mad_u64_u32 v[10:11], s[22:23], v2, s18, v[10:11]
	v_mov_b32_e32 v2, v11
	v_mad_u64_u32 v[2:3], s[22:23], v3, s18, v[2:3]
	v_mov_b32_e32 v11, v2
	global_load_ubyte v9, v[10:11], off
.LBB684_17:
	s_or_b64 exec, exec, s[12:13]
	v_or_b32_e32 v2, 0x1c00, v0
	v_cmp_gt_u32_e64 s[12:13], s19, v2
                                        ; implicit-def: $vgpr3
	s_and_saveexec_b64 s[22:23], s[12:13]
	s_cbranch_execz .LBB684_19
; %bb.18:
	v_mov_b32_e32 v3, 0
	v_lshl_add_u64 v[2:3], s[20:21], 0, v[2:3]
	v_mov_b64_e32 v[10:11], s[14:15]
	v_mad_u64_u32 v[10:11], s[14:15], v2, s18, v[10:11]
	v_mov_b32_e32 v2, v11
	v_mad_u64_u32 v[2:3], s[14:15], v3, s18, v[2:3]
	v_mov_b32_e32 v11, v2
	global_load_ubyte v3, v[10:11], off
.LBB684_19:
	s_or_b64 exec, exec, s[22:23]
	s_waitcnt vmcnt(0)
	v_lshlrev_b16_e32 v2, 8, v4
	v_or_b32_sdwa v1, v1, v2 dst_sel:DWORD dst_unused:UNUSED_PAD src0_sel:BYTE_0 src1_sel:DWORD
	v_lshlrev_b16_e32 v2, 8, v6
	v_or_b32_sdwa v2, v5, v2 dst_sel:WORD_1 dst_unused:UNUSED_PAD src0_sel:BYTE_0 src1_sel:DWORD
	s_add_u32 s14, s24, s26
	v_or_b32_sdwa v5, v1, v2 dst_sel:DWORD dst_unused:UNUSED_PAD src0_sel:WORD_0 src1_sel:DWORD
	v_lshlrev_b16_e32 v1, 8, v8
	v_lshlrev_b16_e32 v2, 8, v3
	v_or_b32_sdwa v1, v7, v1 dst_sel:DWORD dst_unused:UNUSED_PAD src0_sel:BYTE_0 src1_sel:DWORD
	v_or_b32_sdwa v2, v9, v2 dst_sel:WORD_1 dst_unused:UNUSED_PAD src0_sel:BYTE_0 src1_sel:DWORD
	s_addc_u32 s15, s25, 0
	v_or_b32_sdwa v4, v1, v2 dst_sel:DWORD dst_unused:UNUSED_PAD src0_sel:WORD_0 src1_sel:DWORD
	v_mov_b32_e32 v1, 0
	v_lshl_add_u64 v[2:3], s[14:15], 0, v[0:1]
	s_and_saveexec_b64 s[14:15], vcc
	s_cbranch_execz .LBB684_21
; %bb.20:
	global_store_byte v[2:3], v5, off
.LBB684_21:
	s_or_b64 exec, exec, s[14:15]
	s_and_saveexec_b64 s[14:15], s[0:1]
	s_cbranch_execz .LBB684_23
; %bb.22:
	v_lshrrev_b32_e32 v0, 8, v5
	global_store_byte v[2:3], v0, off offset:1024
.LBB684_23:
	s_or_b64 exec, exec, s[14:15]
	s_mov_b32 s0, 0x7060104
	v_perm_b32 v0, v5, v5, s0
	s_movk_i32 s15, 0xff
	s_mov_b32 s14, 0xffff
	v_cndmask_b32_e64 v1, v0, v5, s[2:3]
	s_and_saveexec_b64 s[0:1], s[2:3]
	s_cbranch_execz .LBB684_25
; %bb.24:
	global_store_byte_d16_hi v[2:3], v1, off offset:2048
.LBB684_25:
	s_or_b64 exec, exec, s[0:1]
	s_movk_i32 s0, 0xff00
	v_and_b32_sdwa v6, v0, s0 dst_sel:DWORD dst_unused:UNUSED_PAD src0_sel:WORD_1 src1_sel:DWORD
	v_and_b32_sdwa v1, v1, s15 dst_sel:DWORD dst_unused:UNUSED_PAD src0_sel:WORD_1 src1_sel:DWORD
	v_or_b32_sdwa v1, v1, v6 dst_sel:WORD_1 dst_unused:UNUSED_PAD src0_sel:DWORD src1_sel:DWORD
	s_nop 0
	v_and_or_b32 v0, v0, s14, v1
	v_cndmask_b32_e64 v0, v0, v5, s[4:5]
	s_and_saveexec_b64 s[0:1], s[4:5]
	s_cbranch_execz .LBB684_27
; %bb.26:
	v_lshrrev_b32_e32 v0, 24, v0
	global_store_byte v[2:3], v0, off offset:3072
.LBB684_27:
	s_or_b64 exec, exec, s[0:1]
	s_and_saveexec_b64 s[0:1], s[6:7]
	s_cbranch_execz .LBB684_29
; %bb.28:
	v_add_co_u32_e32 v0, vcc, 0x1000, v2
	s_nop 1
	v_addc_co_u32_e32 v1, vcc, 0, v3, vcc
	global_store_byte v[0:1], v4, off
.LBB684_29:
	s_or_b64 exec, exec, s[0:1]
	s_mov_b32 s0, 0x3020104
	v_perm_b32 v1, v4, v4, s0
	v_cndmask_b32_e64 v0, v1, v4, s[8:9]
	s_and_saveexec_b64 s[0:1], s[8:9]
	s_cbranch_execz .LBB684_31
; %bb.30:
	v_add_co_u32_e32 v6, vcc, 0x1000, v2
	v_lshrrev_b32_e32 v5, 8, v0
	s_nop 0
	v_addc_co_u32_e32 v7, vcc, 0, v3, vcc
	global_store_byte v[6:7], v5, off offset:1024
.LBB684_31:
	s_or_b64 exec, exec, s[0:1]
	s_mov_b32 s0, 0x7060104
	v_perm_b32 v0, v1, v0, s0
	s_and_saveexec_b64 s[0:1], s[10:11]
	s_cbranch_execz .LBB684_33
; %bb.32:
	v_add_co_u32_e32 v6, vcc, 0x1000, v2
	v_cndmask_b32_e64 v1, v0, v4, s[10:11]
	s_nop 0
	v_addc_co_u32_e32 v7, vcc, 0, v3, vcc
	global_store_byte_d16_hi v[6:7], v1, off offset:2048
.LBB684_33:
	s_or_b64 exec, exec, s[0:1]
                                        ; implicit-def: $vgpr5
	s_and_saveexec_b64 s[0:1], s[12:13]
; %bb.34:
	v_cndmask_b32_e64 v0, v0, v4, s[12:13]
	v_lshrrev_b32_e32 v5, 24, v0
	s_or_b64 s[16:17], s[16:17], exec
; %bb.35:
	s_or_b64 exec, exec, s[0:1]
.LBB684_36:
	s_and_saveexec_b64 s[0:1], s[16:17]
	s_cbranch_execnz .LBB684_38
; %bb.37:
	s_endpgm
.LBB684_38:
	v_add_co_u32_e32 v0, vcc, 0x1000, v2
	s_nop 1
	v_addc_co_u32_e32 v1, vcc, 0, v3, vcc
	s_waitcnt vmcnt(7)
	global_store_byte v[0:1], v5, off offset:3072
	s_endpgm
	.section	.rodata,"a",@progbits
	.p2align	6, 0x0
	.amdhsa_kernel _ZN7rocprim17ROCPRIM_400000_NS6detail17trampoline_kernelINS0_14default_configENS1_25transform_config_selectorIhLb0EEEZNS1_14transform_implILb0ES3_S5_NS0_18transform_iteratorINS0_17counting_iteratorImlEEZNS1_24adjacent_difference_implIS3_Lb1ELb0EPhN6thrust23THRUST_200600_302600_NS16discard_iteratorINSD_11use_defaultEEENSD_5minusIhEEEE10hipError_tPvRmT2_T3_mT4_P12ihipStream_tbEUlmE_hEESB_NS0_8identityIvEEEESJ_SM_SN_mSO_SQ_bEUlT_E_NS1_11comp_targetILNS1_3genE5ELNS1_11target_archE942ELNS1_3gpuE9ELNS1_3repE0EEENS1_30default_config_static_selectorELNS0_4arch9wavefront6targetE1EEEvT1_
		.amdhsa_group_segment_fixed_size 0
		.amdhsa_private_segment_fixed_size 0
		.amdhsa_kernarg_size 312
		.amdhsa_user_sgpr_count 2
		.amdhsa_user_sgpr_dispatch_ptr 0
		.amdhsa_user_sgpr_queue_ptr 0
		.amdhsa_user_sgpr_kernarg_segment_ptr 1
		.amdhsa_user_sgpr_dispatch_id 0
		.amdhsa_user_sgpr_kernarg_preload_length 0
		.amdhsa_user_sgpr_kernarg_preload_offset 0
		.amdhsa_user_sgpr_private_segment_size 0
		.amdhsa_uses_dynamic_stack 0
		.amdhsa_enable_private_segment 0
		.amdhsa_system_sgpr_workgroup_id_x 1
		.amdhsa_system_sgpr_workgroup_id_y 0
		.amdhsa_system_sgpr_workgroup_id_z 0
		.amdhsa_system_sgpr_workgroup_info 0
		.amdhsa_system_vgpr_workitem_id 0
		.amdhsa_next_free_vgpr 15
		.amdhsa_next_free_sgpr 27
		.amdhsa_accum_offset 16
		.amdhsa_reserve_vcc 1
		.amdhsa_float_round_mode_32 0
		.amdhsa_float_round_mode_16_64 0
		.amdhsa_float_denorm_mode_32 3
		.amdhsa_float_denorm_mode_16_64 3
		.amdhsa_dx10_clamp 1
		.amdhsa_ieee_mode 1
		.amdhsa_fp16_overflow 0
		.amdhsa_tg_split 0
		.amdhsa_exception_fp_ieee_invalid_op 0
		.amdhsa_exception_fp_denorm_src 0
		.amdhsa_exception_fp_ieee_div_zero 0
		.amdhsa_exception_fp_ieee_overflow 0
		.amdhsa_exception_fp_ieee_underflow 0
		.amdhsa_exception_fp_ieee_inexact 0
		.amdhsa_exception_int_div_zero 0
	.end_amdhsa_kernel
	.section	.text._ZN7rocprim17ROCPRIM_400000_NS6detail17trampoline_kernelINS0_14default_configENS1_25transform_config_selectorIhLb0EEEZNS1_14transform_implILb0ES3_S5_NS0_18transform_iteratorINS0_17counting_iteratorImlEEZNS1_24adjacent_difference_implIS3_Lb1ELb0EPhN6thrust23THRUST_200600_302600_NS16discard_iteratorINSD_11use_defaultEEENSD_5minusIhEEEE10hipError_tPvRmT2_T3_mT4_P12ihipStream_tbEUlmE_hEESB_NS0_8identityIvEEEESJ_SM_SN_mSO_SQ_bEUlT_E_NS1_11comp_targetILNS1_3genE5ELNS1_11target_archE942ELNS1_3gpuE9ELNS1_3repE0EEENS1_30default_config_static_selectorELNS0_4arch9wavefront6targetE1EEEvT1_,"axG",@progbits,_ZN7rocprim17ROCPRIM_400000_NS6detail17trampoline_kernelINS0_14default_configENS1_25transform_config_selectorIhLb0EEEZNS1_14transform_implILb0ES3_S5_NS0_18transform_iteratorINS0_17counting_iteratorImlEEZNS1_24adjacent_difference_implIS3_Lb1ELb0EPhN6thrust23THRUST_200600_302600_NS16discard_iteratorINSD_11use_defaultEEENSD_5minusIhEEEE10hipError_tPvRmT2_T3_mT4_P12ihipStream_tbEUlmE_hEESB_NS0_8identityIvEEEESJ_SM_SN_mSO_SQ_bEUlT_E_NS1_11comp_targetILNS1_3genE5ELNS1_11target_archE942ELNS1_3gpuE9ELNS1_3repE0EEENS1_30default_config_static_selectorELNS0_4arch9wavefront6targetE1EEEvT1_,comdat
.Lfunc_end684:
	.size	_ZN7rocprim17ROCPRIM_400000_NS6detail17trampoline_kernelINS0_14default_configENS1_25transform_config_selectorIhLb0EEEZNS1_14transform_implILb0ES3_S5_NS0_18transform_iteratorINS0_17counting_iteratorImlEEZNS1_24adjacent_difference_implIS3_Lb1ELb0EPhN6thrust23THRUST_200600_302600_NS16discard_iteratorINSD_11use_defaultEEENSD_5minusIhEEEE10hipError_tPvRmT2_T3_mT4_P12ihipStream_tbEUlmE_hEESB_NS0_8identityIvEEEESJ_SM_SN_mSO_SQ_bEUlT_E_NS1_11comp_targetILNS1_3genE5ELNS1_11target_archE942ELNS1_3gpuE9ELNS1_3repE0EEENS1_30default_config_static_selectorELNS0_4arch9wavefront6targetE1EEEvT1_, .Lfunc_end684-_ZN7rocprim17ROCPRIM_400000_NS6detail17trampoline_kernelINS0_14default_configENS1_25transform_config_selectorIhLb0EEEZNS1_14transform_implILb0ES3_S5_NS0_18transform_iteratorINS0_17counting_iteratorImlEEZNS1_24adjacent_difference_implIS3_Lb1ELb0EPhN6thrust23THRUST_200600_302600_NS16discard_iteratorINSD_11use_defaultEEENSD_5minusIhEEEE10hipError_tPvRmT2_T3_mT4_P12ihipStream_tbEUlmE_hEESB_NS0_8identityIvEEEESJ_SM_SN_mSO_SQ_bEUlT_E_NS1_11comp_targetILNS1_3genE5ELNS1_11target_archE942ELNS1_3gpuE9ELNS1_3repE0EEENS1_30default_config_static_selectorELNS0_4arch9wavefront6targetE1EEEvT1_
                                        ; -- End function
	.section	.AMDGPU.csdata,"",@progbits
; Kernel info:
; codeLenInByte = 1480
; NumSgprs: 33
; NumVgprs: 15
; NumAgprs: 0
; TotalNumVgprs: 15
; ScratchSize: 0
; MemoryBound: 0
; FloatMode: 240
; IeeeMode: 1
; LDSByteSize: 0 bytes/workgroup (compile time only)
; SGPRBlocks: 4
; VGPRBlocks: 1
; NumSGPRsForWavesPerEU: 33
; NumVGPRsForWavesPerEU: 15
; AccumOffset: 16
; Occupancy: 8
; WaveLimiterHint : 1
; COMPUTE_PGM_RSRC2:SCRATCH_EN: 0
; COMPUTE_PGM_RSRC2:USER_SGPR: 2
; COMPUTE_PGM_RSRC2:TRAP_HANDLER: 0
; COMPUTE_PGM_RSRC2:TGID_X_EN: 1
; COMPUTE_PGM_RSRC2:TGID_Y_EN: 0
; COMPUTE_PGM_RSRC2:TGID_Z_EN: 0
; COMPUTE_PGM_RSRC2:TIDIG_COMP_CNT: 0
; COMPUTE_PGM_RSRC3_GFX90A:ACCUM_OFFSET: 3
; COMPUTE_PGM_RSRC3_GFX90A:TG_SPLIT: 0
	.section	.text._ZN7rocprim17ROCPRIM_400000_NS6detail17trampoline_kernelINS0_14default_configENS1_25transform_config_selectorIhLb0EEEZNS1_14transform_implILb0ES3_S5_NS0_18transform_iteratorINS0_17counting_iteratorImlEEZNS1_24adjacent_difference_implIS3_Lb1ELb0EPhN6thrust23THRUST_200600_302600_NS16discard_iteratorINSD_11use_defaultEEENSD_5minusIhEEEE10hipError_tPvRmT2_T3_mT4_P12ihipStream_tbEUlmE_hEESB_NS0_8identityIvEEEESJ_SM_SN_mSO_SQ_bEUlT_E_NS1_11comp_targetILNS1_3genE4ELNS1_11target_archE910ELNS1_3gpuE8ELNS1_3repE0EEENS1_30default_config_static_selectorELNS0_4arch9wavefront6targetE1EEEvT1_,"axG",@progbits,_ZN7rocprim17ROCPRIM_400000_NS6detail17trampoline_kernelINS0_14default_configENS1_25transform_config_selectorIhLb0EEEZNS1_14transform_implILb0ES3_S5_NS0_18transform_iteratorINS0_17counting_iteratorImlEEZNS1_24adjacent_difference_implIS3_Lb1ELb0EPhN6thrust23THRUST_200600_302600_NS16discard_iteratorINSD_11use_defaultEEENSD_5minusIhEEEE10hipError_tPvRmT2_T3_mT4_P12ihipStream_tbEUlmE_hEESB_NS0_8identityIvEEEESJ_SM_SN_mSO_SQ_bEUlT_E_NS1_11comp_targetILNS1_3genE4ELNS1_11target_archE910ELNS1_3gpuE8ELNS1_3repE0EEENS1_30default_config_static_selectorELNS0_4arch9wavefront6targetE1EEEvT1_,comdat
	.protected	_ZN7rocprim17ROCPRIM_400000_NS6detail17trampoline_kernelINS0_14default_configENS1_25transform_config_selectorIhLb0EEEZNS1_14transform_implILb0ES3_S5_NS0_18transform_iteratorINS0_17counting_iteratorImlEEZNS1_24adjacent_difference_implIS3_Lb1ELb0EPhN6thrust23THRUST_200600_302600_NS16discard_iteratorINSD_11use_defaultEEENSD_5minusIhEEEE10hipError_tPvRmT2_T3_mT4_P12ihipStream_tbEUlmE_hEESB_NS0_8identityIvEEEESJ_SM_SN_mSO_SQ_bEUlT_E_NS1_11comp_targetILNS1_3genE4ELNS1_11target_archE910ELNS1_3gpuE8ELNS1_3repE0EEENS1_30default_config_static_selectorELNS0_4arch9wavefront6targetE1EEEvT1_ ; -- Begin function _ZN7rocprim17ROCPRIM_400000_NS6detail17trampoline_kernelINS0_14default_configENS1_25transform_config_selectorIhLb0EEEZNS1_14transform_implILb0ES3_S5_NS0_18transform_iteratorINS0_17counting_iteratorImlEEZNS1_24adjacent_difference_implIS3_Lb1ELb0EPhN6thrust23THRUST_200600_302600_NS16discard_iteratorINSD_11use_defaultEEENSD_5minusIhEEEE10hipError_tPvRmT2_T3_mT4_P12ihipStream_tbEUlmE_hEESB_NS0_8identityIvEEEESJ_SM_SN_mSO_SQ_bEUlT_E_NS1_11comp_targetILNS1_3genE4ELNS1_11target_archE910ELNS1_3gpuE8ELNS1_3repE0EEENS1_30default_config_static_selectorELNS0_4arch9wavefront6targetE1EEEvT1_
	.globl	_ZN7rocprim17ROCPRIM_400000_NS6detail17trampoline_kernelINS0_14default_configENS1_25transform_config_selectorIhLb0EEEZNS1_14transform_implILb0ES3_S5_NS0_18transform_iteratorINS0_17counting_iteratorImlEEZNS1_24adjacent_difference_implIS3_Lb1ELb0EPhN6thrust23THRUST_200600_302600_NS16discard_iteratorINSD_11use_defaultEEENSD_5minusIhEEEE10hipError_tPvRmT2_T3_mT4_P12ihipStream_tbEUlmE_hEESB_NS0_8identityIvEEEESJ_SM_SN_mSO_SQ_bEUlT_E_NS1_11comp_targetILNS1_3genE4ELNS1_11target_archE910ELNS1_3gpuE8ELNS1_3repE0EEENS1_30default_config_static_selectorELNS0_4arch9wavefront6targetE1EEEvT1_
	.p2align	8
	.type	_ZN7rocprim17ROCPRIM_400000_NS6detail17trampoline_kernelINS0_14default_configENS1_25transform_config_selectorIhLb0EEEZNS1_14transform_implILb0ES3_S5_NS0_18transform_iteratorINS0_17counting_iteratorImlEEZNS1_24adjacent_difference_implIS3_Lb1ELb0EPhN6thrust23THRUST_200600_302600_NS16discard_iteratorINSD_11use_defaultEEENSD_5minusIhEEEE10hipError_tPvRmT2_T3_mT4_P12ihipStream_tbEUlmE_hEESB_NS0_8identityIvEEEESJ_SM_SN_mSO_SQ_bEUlT_E_NS1_11comp_targetILNS1_3genE4ELNS1_11target_archE910ELNS1_3gpuE8ELNS1_3repE0EEENS1_30default_config_static_selectorELNS0_4arch9wavefront6targetE1EEEvT1_,@function
_ZN7rocprim17ROCPRIM_400000_NS6detail17trampoline_kernelINS0_14default_configENS1_25transform_config_selectorIhLb0EEEZNS1_14transform_implILb0ES3_S5_NS0_18transform_iteratorINS0_17counting_iteratorImlEEZNS1_24adjacent_difference_implIS3_Lb1ELb0EPhN6thrust23THRUST_200600_302600_NS16discard_iteratorINSD_11use_defaultEEENSD_5minusIhEEEE10hipError_tPvRmT2_T3_mT4_P12ihipStream_tbEUlmE_hEESB_NS0_8identityIvEEEESJ_SM_SN_mSO_SQ_bEUlT_E_NS1_11comp_targetILNS1_3genE4ELNS1_11target_archE910ELNS1_3gpuE8ELNS1_3repE0EEENS1_30default_config_static_selectorELNS0_4arch9wavefront6targetE1EEEvT1_: ; @_ZN7rocprim17ROCPRIM_400000_NS6detail17trampoline_kernelINS0_14default_configENS1_25transform_config_selectorIhLb0EEEZNS1_14transform_implILb0ES3_S5_NS0_18transform_iteratorINS0_17counting_iteratorImlEEZNS1_24adjacent_difference_implIS3_Lb1ELb0EPhN6thrust23THRUST_200600_302600_NS16discard_iteratorINSD_11use_defaultEEENSD_5minusIhEEEE10hipError_tPvRmT2_T3_mT4_P12ihipStream_tbEUlmE_hEESB_NS0_8identityIvEEEESJ_SM_SN_mSO_SQ_bEUlT_E_NS1_11comp_targetILNS1_3genE4ELNS1_11target_archE910ELNS1_3gpuE8ELNS1_3repE0EEENS1_30default_config_static_selectorELNS0_4arch9wavefront6targetE1EEEvT1_
; %bb.0:
	.section	.rodata,"a",@progbits
	.p2align	6, 0x0
	.amdhsa_kernel _ZN7rocprim17ROCPRIM_400000_NS6detail17trampoline_kernelINS0_14default_configENS1_25transform_config_selectorIhLb0EEEZNS1_14transform_implILb0ES3_S5_NS0_18transform_iteratorINS0_17counting_iteratorImlEEZNS1_24adjacent_difference_implIS3_Lb1ELb0EPhN6thrust23THRUST_200600_302600_NS16discard_iteratorINSD_11use_defaultEEENSD_5minusIhEEEE10hipError_tPvRmT2_T3_mT4_P12ihipStream_tbEUlmE_hEESB_NS0_8identityIvEEEESJ_SM_SN_mSO_SQ_bEUlT_E_NS1_11comp_targetILNS1_3genE4ELNS1_11target_archE910ELNS1_3gpuE8ELNS1_3repE0EEENS1_30default_config_static_selectorELNS0_4arch9wavefront6targetE1EEEvT1_
		.amdhsa_group_segment_fixed_size 0
		.amdhsa_private_segment_fixed_size 0
		.amdhsa_kernarg_size 56
		.amdhsa_user_sgpr_count 2
		.amdhsa_user_sgpr_dispatch_ptr 0
		.amdhsa_user_sgpr_queue_ptr 0
		.amdhsa_user_sgpr_kernarg_segment_ptr 1
		.amdhsa_user_sgpr_dispatch_id 0
		.amdhsa_user_sgpr_kernarg_preload_length 0
		.amdhsa_user_sgpr_kernarg_preload_offset 0
		.amdhsa_user_sgpr_private_segment_size 0
		.amdhsa_uses_dynamic_stack 0
		.amdhsa_enable_private_segment 0
		.amdhsa_system_sgpr_workgroup_id_x 1
		.amdhsa_system_sgpr_workgroup_id_y 0
		.amdhsa_system_sgpr_workgroup_id_z 0
		.amdhsa_system_sgpr_workgroup_info 0
		.amdhsa_system_vgpr_workitem_id 0
		.amdhsa_next_free_vgpr 1
		.amdhsa_next_free_sgpr 0
		.amdhsa_accum_offset 4
		.amdhsa_reserve_vcc 0
		.amdhsa_float_round_mode_32 0
		.amdhsa_float_round_mode_16_64 0
		.amdhsa_float_denorm_mode_32 3
		.amdhsa_float_denorm_mode_16_64 3
		.amdhsa_dx10_clamp 1
		.amdhsa_ieee_mode 1
		.amdhsa_fp16_overflow 0
		.amdhsa_tg_split 0
		.amdhsa_exception_fp_ieee_invalid_op 0
		.amdhsa_exception_fp_denorm_src 0
		.amdhsa_exception_fp_ieee_div_zero 0
		.amdhsa_exception_fp_ieee_overflow 0
		.amdhsa_exception_fp_ieee_underflow 0
		.amdhsa_exception_fp_ieee_inexact 0
		.amdhsa_exception_int_div_zero 0
	.end_amdhsa_kernel
	.section	.text._ZN7rocprim17ROCPRIM_400000_NS6detail17trampoline_kernelINS0_14default_configENS1_25transform_config_selectorIhLb0EEEZNS1_14transform_implILb0ES3_S5_NS0_18transform_iteratorINS0_17counting_iteratorImlEEZNS1_24adjacent_difference_implIS3_Lb1ELb0EPhN6thrust23THRUST_200600_302600_NS16discard_iteratorINSD_11use_defaultEEENSD_5minusIhEEEE10hipError_tPvRmT2_T3_mT4_P12ihipStream_tbEUlmE_hEESB_NS0_8identityIvEEEESJ_SM_SN_mSO_SQ_bEUlT_E_NS1_11comp_targetILNS1_3genE4ELNS1_11target_archE910ELNS1_3gpuE8ELNS1_3repE0EEENS1_30default_config_static_selectorELNS0_4arch9wavefront6targetE1EEEvT1_,"axG",@progbits,_ZN7rocprim17ROCPRIM_400000_NS6detail17trampoline_kernelINS0_14default_configENS1_25transform_config_selectorIhLb0EEEZNS1_14transform_implILb0ES3_S5_NS0_18transform_iteratorINS0_17counting_iteratorImlEEZNS1_24adjacent_difference_implIS3_Lb1ELb0EPhN6thrust23THRUST_200600_302600_NS16discard_iteratorINSD_11use_defaultEEENSD_5minusIhEEEE10hipError_tPvRmT2_T3_mT4_P12ihipStream_tbEUlmE_hEESB_NS0_8identityIvEEEESJ_SM_SN_mSO_SQ_bEUlT_E_NS1_11comp_targetILNS1_3genE4ELNS1_11target_archE910ELNS1_3gpuE8ELNS1_3repE0EEENS1_30default_config_static_selectorELNS0_4arch9wavefront6targetE1EEEvT1_,comdat
.Lfunc_end685:
	.size	_ZN7rocprim17ROCPRIM_400000_NS6detail17trampoline_kernelINS0_14default_configENS1_25transform_config_selectorIhLb0EEEZNS1_14transform_implILb0ES3_S5_NS0_18transform_iteratorINS0_17counting_iteratorImlEEZNS1_24adjacent_difference_implIS3_Lb1ELb0EPhN6thrust23THRUST_200600_302600_NS16discard_iteratorINSD_11use_defaultEEENSD_5minusIhEEEE10hipError_tPvRmT2_T3_mT4_P12ihipStream_tbEUlmE_hEESB_NS0_8identityIvEEEESJ_SM_SN_mSO_SQ_bEUlT_E_NS1_11comp_targetILNS1_3genE4ELNS1_11target_archE910ELNS1_3gpuE8ELNS1_3repE0EEENS1_30default_config_static_selectorELNS0_4arch9wavefront6targetE1EEEvT1_, .Lfunc_end685-_ZN7rocprim17ROCPRIM_400000_NS6detail17trampoline_kernelINS0_14default_configENS1_25transform_config_selectorIhLb0EEEZNS1_14transform_implILb0ES3_S5_NS0_18transform_iteratorINS0_17counting_iteratorImlEEZNS1_24adjacent_difference_implIS3_Lb1ELb0EPhN6thrust23THRUST_200600_302600_NS16discard_iteratorINSD_11use_defaultEEENSD_5minusIhEEEE10hipError_tPvRmT2_T3_mT4_P12ihipStream_tbEUlmE_hEESB_NS0_8identityIvEEEESJ_SM_SN_mSO_SQ_bEUlT_E_NS1_11comp_targetILNS1_3genE4ELNS1_11target_archE910ELNS1_3gpuE8ELNS1_3repE0EEENS1_30default_config_static_selectorELNS0_4arch9wavefront6targetE1EEEvT1_
                                        ; -- End function
	.section	.AMDGPU.csdata,"",@progbits
; Kernel info:
; codeLenInByte = 0
; NumSgprs: 6
; NumVgprs: 0
; NumAgprs: 0
; TotalNumVgprs: 0
; ScratchSize: 0
; MemoryBound: 0
; FloatMode: 240
; IeeeMode: 1
; LDSByteSize: 0 bytes/workgroup (compile time only)
; SGPRBlocks: 0
; VGPRBlocks: 0
; NumSGPRsForWavesPerEU: 6
; NumVGPRsForWavesPerEU: 1
; AccumOffset: 4
; Occupancy: 8
; WaveLimiterHint : 0
; COMPUTE_PGM_RSRC2:SCRATCH_EN: 0
; COMPUTE_PGM_RSRC2:USER_SGPR: 2
; COMPUTE_PGM_RSRC2:TRAP_HANDLER: 0
; COMPUTE_PGM_RSRC2:TGID_X_EN: 1
; COMPUTE_PGM_RSRC2:TGID_Y_EN: 0
; COMPUTE_PGM_RSRC2:TGID_Z_EN: 0
; COMPUTE_PGM_RSRC2:TIDIG_COMP_CNT: 0
; COMPUTE_PGM_RSRC3_GFX90A:ACCUM_OFFSET: 0
; COMPUTE_PGM_RSRC3_GFX90A:TG_SPLIT: 0
	.section	.text._ZN7rocprim17ROCPRIM_400000_NS6detail17trampoline_kernelINS0_14default_configENS1_25transform_config_selectorIhLb0EEEZNS1_14transform_implILb0ES3_S5_NS0_18transform_iteratorINS0_17counting_iteratorImlEEZNS1_24adjacent_difference_implIS3_Lb1ELb0EPhN6thrust23THRUST_200600_302600_NS16discard_iteratorINSD_11use_defaultEEENSD_5minusIhEEEE10hipError_tPvRmT2_T3_mT4_P12ihipStream_tbEUlmE_hEESB_NS0_8identityIvEEEESJ_SM_SN_mSO_SQ_bEUlT_E_NS1_11comp_targetILNS1_3genE3ELNS1_11target_archE908ELNS1_3gpuE7ELNS1_3repE0EEENS1_30default_config_static_selectorELNS0_4arch9wavefront6targetE1EEEvT1_,"axG",@progbits,_ZN7rocprim17ROCPRIM_400000_NS6detail17trampoline_kernelINS0_14default_configENS1_25transform_config_selectorIhLb0EEEZNS1_14transform_implILb0ES3_S5_NS0_18transform_iteratorINS0_17counting_iteratorImlEEZNS1_24adjacent_difference_implIS3_Lb1ELb0EPhN6thrust23THRUST_200600_302600_NS16discard_iteratorINSD_11use_defaultEEENSD_5minusIhEEEE10hipError_tPvRmT2_T3_mT4_P12ihipStream_tbEUlmE_hEESB_NS0_8identityIvEEEESJ_SM_SN_mSO_SQ_bEUlT_E_NS1_11comp_targetILNS1_3genE3ELNS1_11target_archE908ELNS1_3gpuE7ELNS1_3repE0EEENS1_30default_config_static_selectorELNS0_4arch9wavefront6targetE1EEEvT1_,comdat
	.protected	_ZN7rocprim17ROCPRIM_400000_NS6detail17trampoline_kernelINS0_14default_configENS1_25transform_config_selectorIhLb0EEEZNS1_14transform_implILb0ES3_S5_NS0_18transform_iteratorINS0_17counting_iteratorImlEEZNS1_24adjacent_difference_implIS3_Lb1ELb0EPhN6thrust23THRUST_200600_302600_NS16discard_iteratorINSD_11use_defaultEEENSD_5minusIhEEEE10hipError_tPvRmT2_T3_mT4_P12ihipStream_tbEUlmE_hEESB_NS0_8identityIvEEEESJ_SM_SN_mSO_SQ_bEUlT_E_NS1_11comp_targetILNS1_3genE3ELNS1_11target_archE908ELNS1_3gpuE7ELNS1_3repE0EEENS1_30default_config_static_selectorELNS0_4arch9wavefront6targetE1EEEvT1_ ; -- Begin function _ZN7rocprim17ROCPRIM_400000_NS6detail17trampoline_kernelINS0_14default_configENS1_25transform_config_selectorIhLb0EEEZNS1_14transform_implILb0ES3_S5_NS0_18transform_iteratorINS0_17counting_iteratorImlEEZNS1_24adjacent_difference_implIS3_Lb1ELb0EPhN6thrust23THRUST_200600_302600_NS16discard_iteratorINSD_11use_defaultEEENSD_5minusIhEEEE10hipError_tPvRmT2_T3_mT4_P12ihipStream_tbEUlmE_hEESB_NS0_8identityIvEEEESJ_SM_SN_mSO_SQ_bEUlT_E_NS1_11comp_targetILNS1_3genE3ELNS1_11target_archE908ELNS1_3gpuE7ELNS1_3repE0EEENS1_30default_config_static_selectorELNS0_4arch9wavefront6targetE1EEEvT1_
	.globl	_ZN7rocprim17ROCPRIM_400000_NS6detail17trampoline_kernelINS0_14default_configENS1_25transform_config_selectorIhLb0EEEZNS1_14transform_implILb0ES3_S5_NS0_18transform_iteratorINS0_17counting_iteratorImlEEZNS1_24adjacent_difference_implIS3_Lb1ELb0EPhN6thrust23THRUST_200600_302600_NS16discard_iteratorINSD_11use_defaultEEENSD_5minusIhEEEE10hipError_tPvRmT2_T3_mT4_P12ihipStream_tbEUlmE_hEESB_NS0_8identityIvEEEESJ_SM_SN_mSO_SQ_bEUlT_E_NS1_11comp_targetILNS1_3genE3ELNS1_11target_archE908ELNS1_3gpuE7ELNS1_3repE0EEENS1_30default_config_static_selectorELNS0_4arch9wavefront6targetE1EEEvT1_
	.p2align	8
	.type	_ZN7rocprim17ROCPRIM_400000_NS6detail17trampoline_kernelINS0_14default_configENS1_25transform_config_selectorIhLb0EEEZNS1_14transform_implILb0ES3_S5_NS0_18transform_iteratorINS0_17counting_iteratorImlEEZNS1_24adjacent_difference_implIS3_Lb1ELb0EPhN6thrust23THRUST_200600_302600_NS16discard_iteratorINSD_11use_defaultEEENSD_5minusIhEEEE10hipError_tPvRmT2_T3_mT4_P12ihipStream_tbEUlmE_hEESB_NS0_8identityIvEEEESJ_SM_SN_mSO_SQ_bEUlT_E_NS1_11comp_targetILNS1_3genE3ELNS1_11target_archE908ELNS1_3gpuE7ELNS1_3repE0EEENS1_30default_config_static_selectorELNS0_4arch9wavefront6targetE1EEEvT1_,@function
_ZN7rocprim17ROCPRIM_400000_NS6detail17trampoline_kernelINS0_14default_configENS1_25transform_config_selectorIhLb0EEEZNS1_14transform_implILb0ES3_S5_NS0_18transform_iteratorINS0_17counting_iteratorImlEEZNS1_24adjacent_difference_implIS3_Lb1ELb0EPhN6thrust23THRUST_200600_302600_NS16discard_iteratorINSD_11use_defaultEEENSD_5minusIhEEEE10hipError_tPvRmT2_T3_mT4_P12ihipStream_tbEUlmE_hEESB_NS0_8identityIvEEEESJ_SM_SN_mSO_SQ_bEUlT_E_NS1_11comp_targetILNS1_3genE3ELNS1_11target_archE908ELNS1_3gpuE7ELNS1_3repE0EEENS1_30default_config_static_selectorELNS0_4arch9wavefront6targetE1EEEvT1_: ; @_ZN7rocprim17ROCPRIM_400000_NS6detail17trampoline_kernelINS0_14default_configENS1_25transform_config_selectorIhLb0EEEZNS1_14transform_implILb0ES3_S5_NS0_18transform_iteratorINS0_17counting_iteratorImlEEZNS1_24adjacent_difference_implIS3_Lb1ELb0EPhN6thrust23THRUST_200600_302600_NS16discard_iteratorINSD_11use_defaultEEENSD_5minusIhEEEE10hipError_tPvRmT2_T3_mT4_P12ihipStream_tbEUlmE_hEESB_NS0_8identityIvEEEESJ_SM_SN_mSO_SQ_bEUlT_E_NS1_11comp_targetILNS1_3genE3ELNS1_11target_archE908ELNS1_3gpuE7ELNS1_3repE0EEENS1_30default_config_static_selectorELNS0_4arch9wavefront6targetE1EEEvT1_
; %bb.0:
	.section	.rodata,"a",@progbits
	.p2align	6, 0x0
	.amdhsa_kernel _ZN7rocprim17ROCPRIM_400000_NS6detail17trampoline_kernelINS0_14default_configENS1_25transform_config_selectorIhLb0EEEZNS1_14transform_implILb0ES3_S5_NS0_18transform_iteratorINS0_17counting_iteratorImlEEZNS1_24adjacent_difference_implIS3_Lb1ELb0EPhN6thrust23THRUST_200600_302600_NS16discard_iteratorINSD_11use_defaultEEENSD_5minusIhEEEE10hipError_tPvRmT2_T3_mT4_P12ihipStream_tbEUlmE_hEESB_NS0_8identityIvEEEESJ_SM_SN_mSO_SQ_bEUlT_E_NS1_11comp_targetILNS1_3genE3ELNS1_11target_archE908ELNS1_3gpuE7ELNS1_3repE0EEENS1_30default_config_static_selectorELNS0_4arch9wavefront6targetE1EEEvT1_
		.amdhsa_group_segment_fixed_size 0
		.amdhsa_private_segment_fixed_size 0
		.amdhsa_kernarg_size 56
		.amdhsa_user_sgpr_count 2
		.amdhsa_user_sgpr_dispatch_ptr 0
		.amdhsa_user_sgpr_queue_ptr 0
		.amdhsa_user_sgpr_kernarg_segment_ptr 1
		.amdhsa_user_sgpr_dispatch_id 0
		.amdhsa_user_sgpr_kernarg_preload_length 0
		.amdhsa_user_sgpr_kernarg_preload_offset 0
		.amdhsa_user_sgpr_private_segment_size 0
		.amdhsa_uses_dynamic_stack 0
		.amdhsa_enable_private_segment 0
		.amdhsa_system_sgpr_workgroup_id_x 1
		.amdhsa_system_sgpr_workgroup_id_y 0
		.amdhsa_system_sgpr_workgroup_id_z 0
		.amdhsa_system_sgpr_workgroup_info 0
		.amdhsa_system_vgpr_workitem_id 0
		.amdhsa_next_free_vgpr 1
		.amdhsa_next_free_sgpr 0
		.amdhsa_accum_offset 4
		.amdhsa_reserve_vcc 0
		.amdhsa_float_round_mode_32 0
		.amdhsa_float_round_mode_16_64 0
		.amdhsa_float_denorm_mode_32 3
		.amdhsa_float_denorm_mode_16_64 3
		.amdhsa_dx10_clamp 1
		.amdhsa_ieee_mode 1
		.amdhsa_fp16_overflow 0
		.amdhsa_tg_split 0
		.amdhsa_exception_fp_ieee_invalid_op 0
		.amdhsa_exception_fp_denorm_src 0
		.amdhsa_exception_fp_ieee_div_zero 0
		.amdhsa_exception_fp_ieee_overflow 0
		.amdhsa_exception_fp_ieee_underflow 0
		.amdhsa_exception_fp_ieee_inexact 0
		.amdhsa_exception_int_div_zero 0
	.end_amdhsa_kernel
	.section	.text._ZN7rocprim17ROCPRIM_400000_NS6detail17trampoline_kernelINS0_14default_configENS1_25transform_config_selectorIhLb0EEEZNS1_14transform_implILb0ES3_S5_NS0_18transform_iteratorINS0_17counting_iteratorImlEEZNS1_24adjacent_difference_implIS3_Lb1ELb0EPhN6thrust23THRUST_200600_302600_NS16discard_iteratorINSD_11use_defaultEEENSD_5minusIhEEEE10hipError_tPvRmT2_T3_mT4_P12ihipStream_tbEUlmE_hEESB_NS0_8identityIvEEEESJ_SM_SN_mSO_SQ_bEUlT_E_NS1_11comp_targetILNS1_3genE3ELNS1_11target_archE908ELNS1_3gpuE7ELNS1_3repE0EEENS1_30default_config_static_selectorELNS0_4arch9wavefront6targetE1EEEvT1_,"axG",@progbits,_ZN7rocprim17ROCPRIM_400000_NS6detail17trampoline_kernelINS0_14default_configENS1_25transform_config_selectorIhLb0EEEZNS1_14transform_implILb0ES3_S5_NS0_18transform_iteratorINS0_17counting_iteratorImlEEZNS1_24adjacent_difference_implIS3_Lb1ELb0EPhN6thrust23THRUST_200600_302600_NS16discard_iteratorINSD_11use_defaultEEENSD_5minusIhEEEE10hipError_tPvRmT2_T3_mT4_P12ihipStream_tbEUlmE_hEESB_NS0_8identityIvEEEESJ_SM_SN_mSO_SQ_bEUlT_E_NS1_11comp_targetILNS1_3genE3ELNS1_11target_archE908ELNS1_3gpuE7ELNS1_3repE0EEENS1_30default_config_static_selectorELNS0_4arch9wavefront6targetE1EEEvT1_,comdat
.Lfunc_end686:
	.size	_ZN7rocprim17ROCPRIM_400000_NS6detail17trampoline_kernelINS0_14default_configENS1_25transform_config_selectorIhLb0EEEZNS1_14transform_implILb0ES3_S5_NS0_18transform_iteratorINS0_17counting_iteratorImlEEZNS1_24adjacent_difference_implIS3_Lb1ELb0EPhN6thrust23THRUST_200600_302600_NS16discard_iteratorINSD_11use_defaultEEENSD_5minusIhEEEE10hipError_tPvRmT2_T3_mT4_P12ihipStream_tbEUlmE_hEESB_NS0_8identityIvEEEESJ_SM_SN_mSO_SQ_bEUlT_E_NS1_11comp_targetILNS1_3genE3ELNS1_11target_archE908ELNS1_3gpuE7ELNS1_3repE0EEENS1_30default_config_static_selectorELNS0_4arch9wavefront6targetE1EEEvT1_, .Lfunc_end686-_ZN7rocprim17ROCPRIM_400000_NS6detail17trampoline_kernelINS0_14default_configENS1_25transform_config_selectorIhLb0EEEZNS1_14transform_implILb0ES3_S5_NS0_18transform_iteratorINS0_17counting_iteratorImlEEZNS1_24adjacent_difference_implIS3_Lb1ELb0EPhN6thrust23THRUST_200600_302600_NS16discard_iteratorINSD_11use_defaultEEENSD_5minusIhEEEE10hipError_tPvRmT2_T3_mT4_P12ihipStream_tbEUlmE_hEESB_NS0_8identityIvEEEESJ_SM_SN_mSO_SQ_bEUlT_E_NS1_11comp_targetILNS1_3genE3ELNS1_11target_archE908ELNS1_3gpuE7ELNS1_3repE0EEENS1_30default_config_static_selectorELNS0_4arch9wavefront6targetE1EEEvT1_
                                        ; -- End function
	.section	.AMDGPU.csdata,"",@progbits
; Kernel info:
; codeLenInByte = 0
; NumSgprs: 6
; NumVgprs: 0
; NumAgprs: 0
; TotalNumVgprs: 0
; ScratchSize: 0
; MemoryBound: 0
; FloatMode: 240
; IeeeMode: 1
; LDSByteSize: 0 bytes/workgroup (compile time only)
; SGPRBlocks: 0
; VGPRBlocks: 0
; NumSGPRsForWavesPerEU: 6
; NumVGPRsForWavesPerEU: 1
; AccumOffset: 4
; Occupancy: 8
; WaveLimiterHint : 0
; COMPUTE_PGM_RSRC2:SCRATCH_EN: 0
; COMPUTE_PGM_RSRC2:USER_SGPR: 2
; COMPUTE_PGM_RSRC2:TRAP_HANDLER: 0
; COMPUTE_PGM_RSRC2:TGID_X_EN: 1
; COMPUTE_PGM_RSRC2:TGID_Y_EN: 0
; COMPUTE_PGM_RSRC2:TGID_Z_EN: 0
; COMPUTE_PGM_RSRC2:TIDIG_COMP_CNT: 0
; COMPUTE_PGM_RSRC3_GFX90A:ACCUM_OFFSET: 0
; COMPUTE_PGM_RSRC3_GFX90A:TG_SPLIT: 0
	.section	.text._ZN7rocprim17ROCPRIM_400000_NS6detail17trampoline_kernelINS0_14default_configENS1_25transform_config_selectorIhLb0EEEZNS1_14transform_implILb0ES3_S5_NS0_18transform_iteratorINS0_17counting_iteratorImlEEZNS1_24adjacent_difference_implIS3_Lb1ELb0EPhN6thrust23THRUST_200600_302600_NS16discard_iteratorINSD_11use_defaultEEENSD_5minusIhEEEE10hipError_tPvRmT2_T3_mT4_P12ihipStream_tbEUlmE_hEESB_NS0_8identityIvEEEESJ_SM_SN_mSO_SQ_bEUlT_E_NS1_11comp_targetILNS1_3genE2ELNS1_11target_archE906ELNS1_3gpuE6ELNS1_3repE0EEENS1_30default_config_static_selectorELNS0_4arch9wavefront6targetE1EEEvT1_,"axG",@progbits,_ZN7rocprim17ROCPRIM_400000_NS6detail17trampoline_kernelINS0_14default_configENS1_25transform_config_selectorIhLb0EEEZNS1_14transform_implILb0ES3_S5_NS0_18transform_iteratorINS0_17counting_iteratorImlEEZNS1_24adjacent_difference_implIS3_Lb1ELb0EPhN6thrust23THRUST_200600_302600_NS16discard_iteratorINSD_11use_defaultEEENSD_5minusIhEEEE10hipError_tPvRmT2_T3_mT4_P12ihipStream_tbEUlmE_hEESB_NS0_8identityIvEEEESJ_SM_SN_mSO_SQ_bEUlT_E_NS1_11comp_targetILNS1_3genE2ELNS1_11target_archE906ELNS1_3gpuE6ELNS1_3repE0EEENS1_30default_config_static_selectorELNS0_4arch9wavefront6targetE1EEEvT1_,comdat
	.protected	_ZN7rocprim17ROCPRIM_400000_NS6detail17trampoline_kernelINS0_14default_configENS1_25transform_config_selectorIhLb0EEEZNS1_14transform_implILb0ES3_S5_NS0_18transform_iteratorINS0_17counting_iteratorImlEEZNS1_24adjacent_difference_implIS3_Lb1ELb0EPhN6thrust23THRUST_200600_302600_NS16discard_iteratorINSD_11use_defaultEEENSD_5minusIhEEEE10hipError_tPvRmT2_T3_mT4_P12ihipStream_tbEUlmE_hEESB_NS0_8identityIvEEEESJ_SM_SN_mSO_SQ_bEUlT_E_NS1_11comp_targetILNS1_3genE2ELNS1_11target_archE906ELNS1_3gpuE6ELNS1_3repE0EEENS1_30default_config_static_selectorELNS0_4arch9wavefront6targetE1EEEvT1_ ; -- Begin function _ZN7rocprim17ROCPRIM_400000_NS6detail17trampoline_kernelINS0_14default_configENS1_25transform_config_selectorIhLb0EEEZNS1_14transform_implILb0ES3_S5_NS0_18transform_iteratorINS0_17counting_iteratorImlEEZNS1_24adjacent_difference_implIS3_Lb1ELb0EPhN6thrust23THRUST_200600_302600_NS16discard_iteratorINSD_11use_defaultEEENSD_5minusIhEEEE10hipError_tPvRmT2_T3_mT4_P12ihipStream_tbEUlmE_hEESB_NS0_8identityIvEEEESJ_SM_SN_mSO_SQ_bEUlT_E_NS1_11comp_targetILNS1_3genE2ELNS1_11target_archE906ELNS1_3gpuE6ELNS1_3repE0EEENS1_30default_config_static_selectorELNS0_4arch9wavefront6targetE1EEEvT1_
	.globl	_ZN7rocprim17ROCPRIM_400000_NS6detail17trampoline_kernelINS0_14default_configENS1_25transform_config_selectorIhLb0EEEZNS1_14transform_implILb0ES3_S5_NS0_18transform_iteratorINS0_17counting_iteratorImlEEZNS1_24adjacent_difference_implIS3_Lb1ELb0EPhN6thrust23THRUST_200600_302600_NS16discard_iteratorINSD_11use_defaultEEENSD_5minusIhEEEE10hipError_tPvRmT2_T3_mT4_P12ihipStream_tbEUlmE_hEESB_NS0_8identityIvEEEESJ_SM_SN_mSO_SQ_bEUlT_E_NS1_11comp_targetILNS1_3genE2ELNS1_11target_archE906ELNS1_3gpuE6ELNS1_3repE0EEENS1_30default_config_static_selectorELNS0_4arch9wavefront6targetE1EEEvT1_
	.p2align	8
	.type	_ZN7rocprim17ROCPRIM_400000_NS6detail17trampoline_kernelINS0_14default_configENS1_25transform_config_selectorIhLb0EEEZNS1_14transform_implILb0ES3_S5_NS0_18transform_iteratorINS0_17counting_iteratorImlEEZNS1_24adjacent_difference_implIS3_Lb1ELb0EPhN6thrust23THRUST_200600_302600_NS16discard_iteratorINSD_11use_defaultEEENSD_5minusIhEEEE10hipError_tPvRmT2_T3_mT4_P12ihipStream_tbEUlmE_hEESB_NS0_8identityIvEEEESJ_SM_SN_mSO_SQ_bEUlT_E_NS1_11comp_targetILNS1_3genE2ELNS1_11target_archE906ELNS1_3gpuE6ELNS1_3repE0EEENS1_30default_config_static_selectorELNS0_4arch9wavefront6targetE1EEEvT1_,@function
_ZN7rocprim17ROCPRIM_400000_NS6detail17trampoline_kernelINS0_14default_configENS1_25transform_config_selectorIhLb0EEEZNS1_14transform_implILb0ES3_S5_NS0_18transform_iteratorINS0_17counting_iteratorImlEEZNS1_24adjacent_difference_implIS3_Lb1ELb0EPhN6thrust23THRUST_200600_302600_NS16discard_iteratorINSD_11use_defaultEEENSD_5minusIhEEEE10hipError_tPvRmT2_T3_mT4_P12ihipStream_tbEUlmE_hEESB_NS0_8identityIvEEEESJ_SM_SN_mSO_SQ_bEUlT_E_NS1_11comp_targetILNS1_3genE2ELNS1_11target_archE906ELNS1_3gpuE6ELNS1_3repE0EEENS1_30default_config_static_selectorELNS0_4arch9wavefront6targetE1EEEvT1_: ; @_ZN7rocprim17ROCPRIM_400000_NS6detail17trampoline_kernelINS0_14default_configENS1_25transform_config_selectorIhLb0EEEZNS1_14transform_implILb0ES3_S5_NS0_18transform_iteratorINS0_17counting_iteratorImlEEZNS1_24adjacent_difference_implIS3_Lb1ELb0EPhN6thrust23THRUST_200600_302600_NS16discard_iteratorINSD_11use_defaultEEENSD_5minusIhEEEE10hipError_tPvRmT2_T3_mT4_P12ihipStream_tbEUlmE_hEESB_NS0_8identityIvEEEESJ_SM_SN_mSO_SQ_bEUlT_E_NS1_11comp_targetILNS1_3genE2ELNS1_11target_archE906ELNS1_3gpuE6ELNS1_3repE0EEENS1_30default_config_static_selectorELNS0_4arch9wavefront6targetE1EEEvT1_
; %bb.0:
	.section	.rodata,"a",@progbits
	.p2align	6, 0x0
	.amdhsa_kernel _ZN7rocprim17ROCPRIM_400000_NS6detail17trampoline_kernelINS0_14default_configENS1_25transform_config_selectorIhLb0EEEZNS1_14transform_implILb0ES3_S5_NS0_18transform_iteratorINS0_17counting_iteratorImlEEZNS1_24adjacent_difference_implIS3_Lb1ELb0EPhN6thrust23THRUST_200600_302600_NS16discard_iteratorINSD_11use_defaultEEENSD_5minusIhEEEE10hipError_tPvRmT2_T3_mT4_P12ihipStream_tbEUlmE_hEESB_NS0_8identityIvEEEESJ_SM_SN_mSO_SQ_bEUlT_E_NS1_11comp_targetILNS1_3genE2ELNS1_11target_archE906ELNS1_3gpuE6ELNS1_3repE0EEENS1_30default_config_static_selectorELNS0_4arch9wavefront6targetE1EEEvT1_
		.amdhsa_group_segment_fixed_size 0
		.amdhsa_private_segment_fixed_size 0
		.amdhsa_kernarg_size 56
		.amdhsa_user_sgpr_count 2
		.amdhsa_user_sgpr_dispatch_ptr 0
		.amdhsa_user_sgpr_queue_ptr 0
		.amdhsa_user_sgpr_kernarg_segment_ptr 1
		.amdhsa_user_sgpr_dispatch_id 0
		.amdhsa_user_sgpr_kernarg_preload_length 0
		.amdhsa_user_sgpr_kernarg_preload_offset 0
		.amdhsa_user_sgpr_private_segment_size 0
		.amdhsa_uses_dynamic_stack 0
		.amdhsa_enable_private_segment 0
		.amdhsa_system_sgpr_workgroup_id_x 1
		.amdhsa_system_sgpr_workgroup_id_y 0
		.amdhsa_system_sgpr_workgroup_id_z 0
		.amdhsa_system_sgpr_workgroup_info 0
		.amdhsa_system_vgpr_workitem_id 0
		.amdhsa_next_free_vgpr 1
		.amdhsa_next_free_sgpr 0
		.amdhsa_accum_offset 4
		.amdhsa_reserve_vcc 0
		.amdhsa_float_round_mode_32 0
		.amdhsa_float_round_mode_16_64 0
		.amdhsa_float_denorm_mode_32 3
		.amdhsa_float_denorm_mode_16_64 3
		.amdhsa_dx10_clamp 1
		.amdhsa_ieee_mode 1
		.amdhsa_fp16_overflow 0
		.amdhsa_tg_split 0
		.amdhsa_exception_fp_ieee_invalid_op 0
		.amdhsa_exception_fp_denorm_src 0
		.amdhsa_exception_fp_ieee_div_zero 0
		.amdhsa_exception_fp_ieee_overflow 0
		.amdhsa_exception_fp_ieee_underflow 0
		.amdhsa_exception_fp_ieee_inexact 0
		.amdhsa_exception_int_div_zero 0
	.end_amdhsa_kernel
	.section	.text._ZN7rocprim17ROCPRIM_400000_NS6detail17trampoline_kernelINS0_14default_configENS1_25transform_config_selectorIhLb0EEEZNS1_14transform_implILb0ES3_S5_NS0_18transform_iteratorINS0_17counting_iteratorImlEEZNS1_24adjacent_difference_implIS3_Lb1ELb0EPhN6thrust23THRUST_200600_302600_NS16discard_iteratorINSD_11use_defaultEEENSD_5minusIhEEEE10hipError_tPvRmT2_T3_mT4_P12ihipStream_tbEUlmE_hEESB_NS0_8identityIvEEEESJ_SM_SN_mSO_SQ_bEUlT_E_NS1_11comp_targetILNS1_3genE2ELNS1_11target_archE906ELNS1_3gpuE6ELNS1_3repE0EEENS1_30default_config_static_selectorELNS0_4arch9wavefront6targetE1EEEvT1_,"axG",@progbits,_ZN7rocprim17ROCPRIM_400000_NS6detail17trampoline_kernelINS0_14default_configENS1_25transform_config_selectorIhLb0EEEZNS1_14transform_implILb0ES3_S5_NS0_18transform_iteratorINS0_17counting_iteratorImlEEZNS1_24adjacent_difference_implIS3_Lb1ELb0EPhN6thrust23THRUST_200600_302600_NS16discard_iteratorINSD_11use_defaultEEENSD_5minusIhEEEE10hipError_tPvRmT2_T3_mT4_P12ihipStream_tbEUlmE_hEESB_NS0_8identityIvEEEESJ_SM_SN_mSO_SQ_bEUlT_E_NS1_11comp_targetILNS1_3genE2ELNS1_11target_archE906ELNS1_3gpuE6ELNS1_3repE0EEENS1_30default_config_static_selectorELNS0_4arch9wavefront6targetE1EEEvT1_,comdat
.Lfunc_end687:
	.size	_ZN7rocprim17ROCPRIM_400000_NS6detail17trampoline_kernelINS0_14default_configENS1_25transform_config_selectorIhLb0EEEZNS1_14transform_implILb0ES3_S5_NS0_18transform_iteratorINS0_17counting_iteratorImlEEZNS1_24adjacent_difference_implIS3_Lb1ELb0EPhN6thrust23THRUST_200600_302600_NS16discard_iteratorINSD_11use_defaultEEENSD_5minusIhEEEE10hipError_tPvRmT2_T3_mT4_P12ihipStream_tbEUlmE_hEESB_NS0_8identityIvEEEESJ_SM_SN_mSO_SQ_bEUlT_E_NS1_11comp_targetILNS1_3genE2ELNS1_11target_archE906ELNS1_3gpuE6ELNS1_3repE0EEENS1_30default_config_static_selectorELNS0_4arch9wavefront6targetE1EEEvT1_, .Lfunc_end687-_ZN7rocprim17ROCPRIM_400000_NS6detail17trampoline_kernelINS0_14default_configENS1_25transform_config_selectorIhLb0EEEZNS1_14transform_implILb0ES3_S5_NS0_18transform_iteratorINS0_17counting_iteratorImlEEZNS1_24adjacent_difference_implIS3_Lb1ELb0EPhN6thrust23THRUST_200600_302600_NS16discard_iteratorINSD_11use_defaultEEENSD_5minusIhEEEE10hipError_tPvRmT2_T3_mT4_P12ihipStream_tbEUlmE_hEESB_NS0_8identityIvEEEESJ_SM_SN_mSO_SQ_bEUlT_E_NS1_11comp_targetILNS1_3genE2ELNS1_11target_archE906ELNS1_3gpuE6ELNS1_3repE0EEENS1_30default_config_static_selectorELNS0_4arch9wavefront6targetE1EEEvT1_
                                        ; -- End function
	.section	.AMDGPU.csdata,"",@progbits
; Kernel info:
; codeLenInByte = 0
; NumSgprs: 6
; NumVgprs: 0
; NumAgprs: 0
; TotalNumVgprs: 0
; ScratchSize: 0
; MemoryBound: 0
; FloatMode: 240
; IeeeMode: 1
; LDSByteSize: 0 bytes/workgroup (compile time only)
; SGPRBlocks: 0
; VGPRBlocks: 0
; NumSGPRsForWavesPerEU: 6
; NumVGPRsForWavesPerEU: 1
; AccumOffset: 4
; Occupancy: 8
; WaveLimiterHint : 0
; COMPUTE_PGM_RSRC2:SCRATCH_EN: 0
; COMPUTE_PGM_RSRC2:USER_SGPR: 2
; COMPUTE_PGM_RSRC2:TRAP_HANDLER: 0
; COMPUTE_PGM_RSRC2:TGID_X_EN: 1
; COMPUTE_PGM_RSRC2:TGID_Y_EN: 0
; COMPUTE_PGM_RSRC2:TGID_Z_EN: 0
; COMPUTE_PGM_RSRC2:TIDIG_COMP_CNT: 0
; COMPUTE_PGM_RSRC3_GFX90A:ACCUM_OFFSET: 0
; COMPUTE_PGM_RSRC3_GFX90A:TG_SPLIT: 0
	.section	.text._ZN7rocprim17ROCPRIM_400000_NS6detail17trampoline_kernelINS0_14default_configENS1_25transform_config_selectorIhLb0EEEZNS1_14transform_implILb0ES3_S5_NS0_18transform_iteratorINS0_17counting_iteratorImlEEZNS1_24adjacent_difference_implIS3_Lb1ELb0EPhN6thrust23THRUST_200600_302600_NS16discard_iteratorINSD_11use_defaultEEENSD_5minusIhEEEE10hipError_tPvRmT2_T3_mT4_P12ihipStream_tbEUlmE_hEESB_NS0_8identityIvEEEESJ_SM_SN_mSO_SQ_bEUlT_E_NS1_11comp_targetILNS1_3genE10ELNS1_11target_archE1201ELNS1_3gpuE5ELNS1_3repE0EEENS1_30default_config_static_selectorELNS0_4arch9wavefront6targetE1EEEvT1_,"axG",@progbits,_ZN7rocprim17ROCPRIM_400000_NS6detail17trampoline_kernelINS0_14default_configENS1_25transform_config_selectorIhLb0EEEZNS1_14transform_implILb0ES3_S5_NS0_18transform_iteratorINS0_17counting_iteratorImlEEZNS1_24adjacent_difference_implIS3_Lb1ELb0EPhN6thrust23THRUST_200600_302600_NS16discard_iteratorINSD_11use_defaultEEENSD_5minusIhEEEE10hipError_tPvRmT2_T3_mT4_P12ihipStream_tbEUlmE_hEESB_NS0_8identityIvEEEESJ_SM_SN_mSO_SQ_bEUlT_E_NS1_11comp_targetILNS1_3genE10ELNS1_11target_archE1201ELNS1_3gpuE5ELNS1_3repE0EEENS1_30default_config_static_selectorELNS0_4arch9wavefront6targetE1EEEvT1_,comdat
	.protected	_ZN7rocprim17ROCPRIM_400000_NS6detail17trampoline_kernelINS0_14default_configENS1_25transform_config_selectorIhLb0EEEZNS1_14transform_implILb0ES3_S5_NS0_18transform_iteratorINS0_17counting_iteratorImlEEZNS1_24adjacent_difference_implIS3_Lb1ELb0EPhN6thrust23THRUST_200600_302600_NS16discard_iteratorINSD_11use_defaultEEENSD_5minusIhEEEE10hipError_tPvRmT2_T3_mT4_P12ihipStream_tbEUlmE_hEESB_NS0_8identityIvEEEESJ_SM_SN_mSO_SQ_bEUlT_E_NS1_11comp_targetILNS1_3genE10ELNS1_11target_archE1201ELNS1_3gpuE5ELNS1_3repE0EEENS1_30default_config_static_selectorELNS0_4arch9wavefront6targetE1EEEvT1_ ; -- Begin function _ZN7rocprim17ROCPRIM_400000_NS6detail17trampoline_kernelINS0_14default_configENS1_25transform_config_selectorIhLb0EEEZNS1_14transform_implILb0ES3_S5_NS0_18transform_iteratorINS0_17counting_iteratorImlEEZNS1_24adjacent_difference_implIS3_Lb1ELb0EPhN6thrust23THRUST_200600_302600_NS16discard_iteratorINSD_11use_defaultEEENSD_5minusIhEEEE10hipError_tPvRmT2_T3_mT4_P12ihipStream_tbEUlmE_hEESB_NS0_8identityIvEEEESJ_SM_SN_mSO_SQ_bEUlT_E_NS1_11comp_targetILNS1_3genE10ELNS1_11target_archE1201ELNS1_3gpuE5ELNS1_3repE0EEENS1_30default_config_static_selectorELNS0_4arch9wavefront6targetE1EEEvT1_
	.globl	_ZN7rocprim17ROCPRIM_400000_NS6detail17trampoline_kernelINS0_14default_configENS1_25transform_config_selectorIhLb0EEEZNS1_14transform_implILb0ES3_S5_NS0_18transform_iteratorINS0_17counting_iteratorImlEEZNS1_24adjacent_difference_implIS3_Lb1ELb0EPhN6thrust23THRUST_200600_302600_NS16discard_iteratorINSD_11use_defaultEEENSD_5minusIhEEEE10hipError_tPvRmT2_T3_mT4_P12ihipStream_tbEUlmE_hEESB_NS0_8identityIvEEEESJ_SM_SN_mSO_SQ_bEUlT_E_NS1_11comp_targetILNS1_3genE10ELNS1_11target_archE1201ELNS1_3gpuE5ELNS1_3repE0EEENS1_30default_config_static_selectorELNS0_4arch9wavefront6targetE1EEEvT1_
	.p2align	8
	.type	_ZN7rocprim17ROCPRIM_400000_NS6detail17trampoline_kernelINS0_14default_configENS1_25transform_config_selectorIhLb0EEEZNS1_14transform_implILb0ES3_S5_NS0_18transform_iteratorINS0_17counting_iteratorImlEEZNS1_24adjacent_difference_implIS3_Lb1ELb0EPhN6thrust23THRUST_200600_302600_NS16discard_iteratorINSD_11use_defaultEEENSD_5minusIhEEEE10hipError_tPvRmT2_T3_mT4_P12ihipStream_tbEUlmE_hEESB_NS0_8identityIvEEEESJ_SM_SN_mSO_SQ_bEUlT_E_NS1_11comp_targetILNS1_3genE10ELNS1_11target_archE1201ELNS1_3gpuE5ELNS1_3repE0EEENS1_30default_config_static_selectorELNS0_4arch9wavefront6targetE1EEEvT1_,@function
_ZN7rocprim17ROCPRIM_400000_NS6detail17trampoline_kernelINS0_14default_configENS1_25transform_config_selectorIhLb0EEEZNS1_14transform_implILb0ES3_S5_NS0_18transform_iteratorINS0_17counting_iteratorImlEEZNS1_24adjacent_difference_implIS3_Lb1ELb0EPhN6thrust23THRUST_200600_302600_NS16discard_iteratorINSD_11use_defaultEEENSD_5minusIhEEEE10hipError_tPvRmT2_T3_mT4_P12ihipStream_tbEUlmE_hEESB_NS0_8identityIvEEEESJ_SM_SN_mSO_SQ_bEUlT_E_NS1_11comp_targetILNS1_3genE10ELNS1_11target_archE1201ELNS1_3gpuE5ELNS1_3repE0EEENS1_30default_config_static_selectorELNS0_4arch9wavefront6targetE1EEEvT1_: ; @_ZN7rocprim17ROCPRIM_400000_NS6detail17trampoline_kernelINS0_14default_configENS1_25transform_config_selectorIhLb0EEEZNS1_14transform_implILb0ES3_S5_NS0_18transform_iteratorINS0_17counting_iteratorImlEEZNS1_24adjacent_difference_implIS3_Lb1ELb0EPhN6thrust23THRUST_200600_302600_NS16discard_iteratorINSD_11use_defaultEEENSD_5minusIhEEEE10hipError_tPvRmT2_T3_mT4_P12ihipStream_tbEUlmE_hEESB_NS0_8identityIvEEEESJ_SM_SN_mSO_SQ_bEUlT_E_NS1_11comp_targetILNS1_3genE10ELNS1_11target_archE1201ELNS1_3gpuE5ELNS1_3repE0EEENS1_30default_config_static_selectorELNS0_4arch9wavefront6targetE1EEEvT1_
; %bb.0:
	.section	.rodata,"a",@progbits
	.p2align	6, 0x0
	.amdhsa_kernel _ZN7rocprim17ROCPRIM_400000_NS6detail17trampoline_kernelINS0_14default_configENS1_25transform_config_selectorIhLb0EEEZNS1_14transform_implILb0ES3_S5_NS0_18transform_iteratorINS0_17counting_iteratorImlEEZNS1_24adjacent_difference_implIS3_Lb1ELb0EPhN6thrust23THRUST_200600_302600_NS16discard_iteratorINSD_11use_defaultEEENSD_5minusIhEEEE10hipError_tPvRmT2_T3_mT4_P12ihipStream_tbEUlmE_hEESB_NS0_8identityIvEEEESJ_SM_SN_mSO_SQ_bEUlT_E_NS1_11comp_targetILNS1_3genE10ELNS1_11target_archE1201ELNS1_3gpuE5ELNS1_3repE0EEENS1_30default_config_static_selectorELNS0_4arch9wavefront6targetE1EEEvT1_
		.amdhsa_group_segment_fixed_size 0
		.amdhsa_private_segment_fixed_size 0
		.amdhsa_kernarg_size 56
		.amdhsa_user_sgpr_count 2
		.amdhsa_user_sgpr_dispatch_ptr 0
		.amdhsa_user_sgpr_queue_ptr 0
		.amdhsa_user_sgpr_kernarg_segment_ptr 1
		.amdhsa_user_sgpr_dispatch_id 0
		.amdhsa_user_sgpr_kernarg_preload_length 0
		.amdhsa_user_sgpr_kernarg_preload_offset 0
		.amdhsa_user_sgpr_private_segment_size 0
		.amdhsa_uses_dynamic_stack 0
		.amdhsa_enable_private_segment 0
		.amdhsa_system_sgpr_workgroup_id_x 1
		.amdhsa_system_sgpr_workgroup_id_y 0
		.amdhsa_system_sgpr_workgroup_id_z 0
		.amdhsa_system_sgpr_workgroup_info 0
		.amdhsa_system_vgpr_workitem_id 0
		.amdhsa_next_free_vgpr 1
		.amdhsa_next_free_sgpr 0
		.amdhsa_accum_offset 4
		.amdhsa_reserve_vcc 0
		.amdhsa_float_round_mode_32 0
		.amdhsa_float_round_mode_16_64 0
		.amdhsa_float_denorm_mode_32 3
		.amdhsa_float_denorm_mode_16_64 3
		.amdhsa_dx10_clamp 1
		.amdhsa_ieee_mode 1
		.amdhsa_fp16_overflow 0
		.amdhsa_tg_split 0
		.amdhsa_exception_fp_ieee_invalid_op 0
		.amdhsa_exception_fp_denorm_src 0
		.amdhsa_exception_fp_ieee_div_zero 0
		.amdhsa_exception_fp_ieee_overflow 0
		.amdhsa_exception_fp_ieee_underflow 0
		.amdhsa_exception_fp_ieee_inexact 0
		.amdhsa_exception_int_div_zero 0
	.end_amdhsa_kernel
	.section	.text._ZN7rocprim17ROCPRIM_400000_NS6detail17trampoline_kernelINS0_14default_configENS1_25transform_config_selectorIhLb0EEEZNS1_14transform_implILb0ES3_S5_NS0_18transform_iteratorINS0_17counting_iteratorImlEEZNS1_24adjacent_difference_implIS3_Lb1ELb0EPhN6thrust23THRUST_200600_302600_NS16discard_iteratorINSD_11use_defaultEEENSD_5minusIhEEEE10hipError_tPvRmT2_T3_mT4_P12ihipStream_tbEUlmE_hEESB_NS0_8identityIvEEEESJ_SM_SN_mSO_SQ_bEUlT_E_NS1_11comp_targetILNS1_3genE10ELNS1_11target_archE1201ELNS1_3gpuE5ELNS1_3repE0EEENS1_30default_config_static_selectorELNS0_4arch9wavefront6targetE1EEEvT1_,"axG",@progbits,_ZN7rocprim17ROCPRIM_400000_NS6detail17trampoline_kernelINS0_14default_configENS1_25transform_config_selectorIhLb0EEEZNS1_14transform_implILb0ES3_S5_NS0_18transform_iteratorINS0_17counting_iteratorImlEEZNS1_24adjacent_difference_implIS3_Lb1ELb0EPhN6thrust23THRUST_200600_302600_NS16discard_iteratorINSD_11use_defaultEEENSD_5minusIhEEEE10hipError_tPvRmT2_T3_mT4_P12ihipStream_tbEUlmE_hEESB_NS0_8identityIvEEEESJ_SM_SN_mSO_SQ_bEUlT_E_NS1_11comp_targetILNS1_3genE10ELNS1_11target_archE1201ELNS1_3gpuE5ELNS1_3repE0EEENS1_30default_config_static_selectorELNS0_4arch9wavefront6targetE1EEEvT1_,comdat
.Lfunc_end688:
	.size	_ZN7rocprim17ROCPRIM_400000_NS6detail17trampoline_kernelINS0_14default_configENS1_25transform_config_selectorIhLb0EEEZNS1_14transform_implILb0ES3_S5_NS0_18transform_iteratorINS0_17counting_iteratorImlEEZNS1_24adjacent_difference_implIS3_Lb1ELb0EPhN6thrust23THRUST_200600_302600_NS16discard_iteratorINSD_11use_defaultEEENSD_5minusIhEEEE10hipError_tPvRmT2_T3_mT4_P12ihipStream_tbEUlmE_hEESB_NS0_8identityIvEEEESJ_SM_SN_mSO_SQ_bEUlT_E_NS1_11comp_targetILNS1_3genE10ELNS1_11target_archE1201ELNS1_3gpuE5ELNS1_3repE0EEENS1_30default_config_static_selectorELNS0_4arch9wavefront6targetE1EEEvT1_, .Lfunc_end688-_ZN7rocprim17ROCPRIM_400000_NS6detail17trampoline_kernelINS0_14default_configENS1_25transform_config_selectorIhLb0EEEZNS1_14transform_implILb0ES3_S5_NS0_18transform_iteratorINS0_17counting_iteratorImlEEZNS1_24adjacent_difference_implIS3_Lb1ELb0EPhN6thrust23THRUST_200600_302600_NS16discard_iteratorINSD_11use_defaultEEENSD_5minusIhEEEE10hipError_tPvRmT2_T3_mT4_P12ihipStream_tbEUlmE_hEESB_NS0_8identityIvEEEESJ_SM_SN_mSO_SQ_bEUlT_E_NS1_11comp_targetILNS1_3genE10ELNS1_11target_archE1201ELNS1_3gpuE5ELNS1_3repE0EEENS1_30default_config_static_selectorELNS0_4arch9wavefront6targetE1EEEvT1_
                                        ; -- End function
	.section	.AMDGPU.csdata,"",@progbits
; Kernel info:
; codeLenInByte = 0
; NumSgprs: 6
; NumVgprs: 0
; NumAgprs: 0
; TotalNumVgprs: 0
; ScratchSize: 0
; MemoryBound: 0
; FloatMode: 240
; IeeeMode: 1
; LDSByteSize: 0 bytes/workgroup (compile time only)
; SGPRBlocks: 0
; VGPRBlocks: 0
; NumSGPRsForWavesPerEU: 6
; NumVGPRsForWavesPerEU: 1
; AccumOffset: 4
; Occupancy: 8
; WaveLimiterHint : 0
; COMPUTE_PGM_RSRC2:SCRATCH_EN: 0
; COMPUTE_PGM_RSRC2:USER_SGPR: 2
; COMPUTE_PGM_RSRC2:TRAP_HANDLER: 0
; COMPUTE_PGM_RSRC2:TGID_X_EN: 1
; COMPUTE_PGM_RSRC2:TGID_Y_EN: 0
; COMPUTE_PGM_RSRC2:TGID_Z_EN: 0
; COMPUTE_PGM_RSRC2:TIDIG_COMP_CNT: 0
; COMPUTE_PGM_RSRC3_GFX90A:ACCUM_OFFSET: 0
; COMPUTE_PGM_RSRC3_GFX90A:TG_SPLIT: 0
	.section	.text._ZN7rocprim17ROCPRIM_400000_NS6detail17trampoline_kernelINS0_14default_configENS1_25transform_config_selectorIhLb0EEEZNS1_14transform_implILb0ES3_S5_NS0_18transform_iteratorINS0_17counting_iteratorImlEEZNS1_24adjacent_difference_implIS3_Lb1ELb0EPhN6thrust23THRUST_200600_302600_NS16discard_iteratorINSD_11use_defaultEEENSD_5minusIhEEEE10hipError_tPvRmT2_T3_mT4_P12ihipStream_tbEUlmE_hEESB_NS0_8identityIvEEEESJ_SM_SN_mSO_SQ_bEUlT_E_NS1_11comp_targetILNS1_3genE10ELNS1_11target_archE1200ELNS1_3gpuE4ELNS1_3repE0EEENS1_30default_config_static_selectorELNS0_4arch9wavefront6targetE1EEEvT1_,"axG",@progbits,_ZN7rocprim17ROCPRIM_400000_NS6detail17trampoline_kernelINS0_14default_configENS1_25transform_config_selectorIhLb0EEEZNS1_14transform_implILb0ES3_S5_NS0_18transform_iteratorINS0_17counting_iteratorImlEEZNS1_24adjacent_difference_implIS3_Lb1ELb0EPhN6thrust23THRUST_200600_302600_NS16discard_iteratorINSD_11use_defaultEEENSD_5minusIhEEEE10hipError_tPvRmT2_T3_mT4_P12ihipStream_tbEUlmE_hEESB_NS0_8identityIvEEEESJ_SM_SN_mSO_SQ_bEUlT_E_NS1_11comp_targetILNS1_3genE10ELNS1_11target_archE1200ELNS1_3gpuE4ELNS1_3repE0EEENS1_30default_config_static_selectorELNS0_4arch9wavefront6targetE1EEEvT1_,comdat
	.protected	_ZN7rocprim17ROCPRIM_400000_NS6detail17trampoline_kernelINS0_14default_configENS1_25transform_config_selectorIhLb0EEEZNS1_14transform_implILb0ES3_S5_NS0_18transform_iteratorINS0_17counting_iteratorImlEEZNS1_24adjacent_difference_implIS3_Lb1ELb0EPhN6thrust23THRUST_200600_302600_NS16discard_iteratorINSD_11use_defaultEEENSD_5minusIhEEEE10hipError_tPvRmT2_T3_mT4_P12ihipStream_tbEUlmE_hEESB_NS0_8identityIvEEEESJ_SM_SN_mSO_SQ_bEUlT_E_NS1_11comp_targetILNS1_3genE10ELNS1_11target_archE1200ELNS1_3gpuE4ELNS1_3repE0EEENS1_30default_config_static_selectorELNS0_4arch9wavefront6targetE1EEEvT1_ ; -- Begin function _ZN7rocprim17ROCPRIM_400000_NS6detail17trampoline_kernelINS0_14default_configENS1_25transform_config_selectorIhLb0EEEZNS1_14transform_implILb0ES3_S5_NS0_18transform_iteratorINS0_17counting_iteratorImlEEZNS1_24adjacent_difference_implIS3_Lb1ELb0EPhN6thrust23THRUST_200600_302600_NS16discard_iteratorINSD_11use_defaultEEENSD_5minusIhEEEE10hipError_tPvRmT2_T3_mT4_P12ihipStream_tbEUlmE_hEESB_NS0_8identityIvEEEESJ_SM_SN_mSO_SQ_bEUlT_E_NS1_11comp_targetILNS1_3genE10ELNS1_11target_archE1200ELNS1_3gpuE4ELNS1_3repE0EEENS1_30default_config_static_selectorELNS0_4arch9wavefront6targetE1EEEvT1_
	.globl	_ZN7rocprim17ROCPRIM_400000_NS6detail17trampoline_kernelINS0_14default_configENS1_25transform_config_selectorIhLb0EEEZNS1_14transform_implILb0ES3_S5_NS0_18transform_iteratorINS0_17counting_iteratorImlEEZNS1_24adjacent_difference_implIS3_Lb1ELb0EPhN6thrust23THRUST_200600_302600_NS16discard_iteratorINSD_11use_defaultEEENSD_5minusIhEEEE10hipError_tPvRmT2_T3_mT4_P12ihipStream_tbEUlmE_hEESB_NS0_8identityIvEEEESJ_SM_SN_mSO_SQ_bEUlT_E_NS1_11comp_targetILNS1_3genE10ELNS1_11target_archE1200ELNS1_3gpuE4ELNS1_3repE0EEENS1_30default_config_static_selectorELNS0_4arch9wavefront6targetE1EEEvT1_
	.p2align	8
	.type	_ZN7rocprim17ROCPRIM_400000_NS6detail17trampoline_kernelINS0_14default_configENS1_25transform_config_selectorIhLb0EEEZNS1_14transform_implILb0ES3_S5_NS0_18transform_iteratorINS0_17counting_iteratorImlEEZNS1_24adjacent_difference_implIS3_Lb1ELb0EPhN6thrust23THRUST_200600_302600_NS16discard_iteratorINSD_11use_defaultEEENSD_5minusIhEEEE10hipError_tPvRmT2_T3_mT4_P12ihipStream_tbEUlmE_hEESB_NS0_8identityIvEEEESJ_SM_SN_mSO_SQ_bEUlT_E_NS1_11comp_targetILNS1_3genE10ELNS1_11target_archE1200ELNS1_3gpuE4ELNS1_3repE0EEENS1_30default_config_static_selectorELNS0_4arch9wavefront6targetE1EEEvT1_,@function
_ZN7rocprim17ROCPRIM_400000_NS6detail17trampoline_kernelINS0_14default_configENS1_25transform_config_selectorIhLb0EEEZNS1_14transform_implILb0ES3_S5_NS0_18transform_iteratorINS0_17counting_iteratorImlEEZNS1_24adjacent_difference_implIS3_Lb1ELb0EPhN6thrust23THRUST_200600_302600_NS16discard_iteratorINSD_11use_defaultEEENSD_5minusIhEEEE10hipError_tPvRmT2_T3_mT4_P12ihipStream_tbEUlmE_hEESB_NS0_8identityIvEEEESJ_SM_SN_mSO_SQ_bEUlT_E_NS1_11comp_targetILNS1_3genE10ELNS1_11target_archE1200ELNS1_3gpuE4ELNS1_3repE0EEENS1_30default_config_static_selectorELNS0_4arch9wavefront6targetE1EEEvT1_: ; @_ZN7rocprim17ROCPRIM_400000_NS6detail17trampoline_kernelINS0_14default_configENS1_25transform_config_selectorIhLb0EEEZNS1_14transform_implILb0ES3_S5_NS0_18transform_iteratorINS0_17counting_iteratorImlEEZNS1_24adjacent_difference_implIS3_Lb1ELb0EPhN6thrust23THRUST_200600_302600_NS16discard_iteratorINSD_11use_defaultEEENSD_5minusIhEEEE10hipError_tPvRmT2_T3_mT4_P12ihipStream_tbEUlmE_hEESB_NS0_8identityIvEEEESJ_SM_SN_mSO_SQ_bEUlT_E_NS1_11comp_targetILNS1_3genE10ELNS1_11target_archE1200ELNS1_3gpuE4ELNS1_3repE0EEENS1_30default_config_static_selectorELNS0_4arch9wavefront6targetE1EEEvT1_
; %bb.0:
	.section	.rodata,"a",@progbits
	.p2align	6, 0x0
	.amdhsa_kernel _ZN7rocprim17ROCPRIM_400000_NS6detail17trampoline_kernelINS0_14default_configENS1_25transform_config_selectorIhLb0EEEZNS1_14transform_implILb0ES3_S5_NS0_18transform_iteratorINS0_17counting_iteratorImlEEZNS1_24adjacent_difference_implIS3_Lb1ELb0EPhN6thrust23THRUST_200600_302600_NS16discard_iteratorINSD_11use_defaultEEENSD_5minusIhEEEE10hipError_tPvRmT2_T3_mT4_P12ihipStream_tbEUlmE_hEESB_NS0_8identityIvEEEESJ_SM_SN_mSO_SQ_bEUlT_E_NS1_11comp_targetILNS1_3genE10ELNS1_11target_archE1200ELNS1_3gpuE4ELNS1_3repE0EEENS1_30default_config_static_selectorELNS0_4arch9wavefront6targetE1EEEvT1_
		.amdhsa_group_segment_fixed_size 0
		.amdhsa_private_segment_fixed_size 0
		.amdhsa_kernarg_size 56
		.amdhsa_user_sgpr_count 2
		.amdhsa_user_sgpr_dispatch_ptr 0
		.amdhsa_user_sgpr_queue_ptr 0
		.amdhsa_user_sgpr_kernarg_segment_ptr 1
		.amdhsa_user_sgpr_dispatch_id 0
		.amdhsa_user_sgpr_kernarg_preload_length 0
		.amdhsa_user_sgpr_kernarg_preload_offset 0
		.amdhsa_user_sgpr_private_segment_size 0
		.amdhsa_uses_dynamic_stack 0
		.amdhsa_enable_private_segment 0
		.amdhsa_system_sgpr_workgroup_id_x 1
		.amdhsa_system_sgpr_workgroup_id_y 0
		.amdhsa_system_sgpr_workgroup_id_z 0
		.amdhsa_system_sgpr_workgroup_info 0
		.amdhsa_system_vgpr_workitem_id 0
		.amdhsa_next_free_vgpr 1
		.amdhsa_next_free_sgpr 0
		.amdhsa_accum_offset 4
		.amdhsa_reserve_vcc 0
		.amdhsa_float_round_mode_32 0
		.amdhsa_float_round_mode_16_64 0
		.amdhsa_float_denorm_mode_32 3
		.amdhsa_float_denorm_mode_16_64 3
		.amdhsa_dx10_clamp 1
		.amdhsa_ieee_mode 1
		.amdhsa_fp16_overflow 0
		.amdhsa_tg_split 0
		.amdhsa_exception_fp_ieee_invalid_op 0
		.amdhsa_exception_fp_denorm_src 0
		.amdhsa_exception_fp_ieee_div_zero 0
		.amdhsa_exception_fp_ieee_overflow 0
		.amdhsa_exception_fp_ieee_underflow 0
		.amdhsa_exception_fp_ieee_inexact 0
		.amdhsa_exception_int_div_zero 0
	.end_amdhsa_kernel
	.section	.text._ZN7rocprim17ROCPRIM_400000_NS6detail17trampoline_kernelINS0_14default_configENS1_25transform_config_selectorIhLb0EEEZNS1_14transform_implILb0ES3_S5_NS0_18transform_iteratorINS0_17counting_iteratorImlEEZNS1_24adjacent_difference_implIS3_Lb1ELb0EPhN6thrust23THRUST_200600_302600_NS16discard_iteratorINSD_11use_defaultEEENSD_5minusIhEEEE10hipError_tPvRmT2_T3_mT4_P12ihipStream_tbEUlmE_hEESB_NS0_8identityIvEEEESJ_SM_SN_mSO_SQ_bEUlT_E_NS1_11comp_targetILNS1_3genE10ELNS1_11target_archE1200ELNS1_3gpuE4ELNS1_3repE0EEENS1_30default_config_static_selectorELNS0_4arch9wavefront6targetE1EEEvT1_,"axG",@progbits,_ZN7rocprim17ROCPRIM_400000_NS6detail17trampoline_kernelINS0_14default_configENS1_25transform_config_selectorIhLb0EEEZNS1_14transform_implILb0ES3_S5_NS0_18transform_iteratorINS0_17counting_iteratorImlEEZNS1_24adjacent_difference_implIS3_Lb1ELb0EPhN6thrust23THRUST_200600_302600_NS16discard_iteratorINSD_11use_defaultEEENSD_5minusIhEEEE10hipError_tPvRmT2_T3_mT4_P12ihipStream_tbEUlmE_hEESB_NS0_8identityIvEEEESJ_SM_SN_mSO_SQ_bEUlT_E_NS1_11comp_targetILNS1_3genE10ELNS1_11target_archE1200ELNS1_3gpuE4ELNS1_3repE0EEENS1_30default_config_static_selectorELNS0_4arch9wavefront6targetE1EEEvT1_,comdat
.Lfunc_end689:
	.size	_ZN7rocprim17ROCPRIM_400000_NS6detail17trampoline_kernelINS0_14default_configENS1_25transform_config_selectorIhLb0EEEZNS1_14transform_implILb0ES3_S5_NS0_18transform_iteratorINS0_17counting_iteratorImlEEZNS1_24adjacent_difference_implIS3_Lb1ELb0EPhN6thrust23THRUST_200600_302600_NS16discard_iteratorINSD_11use_defaultEEENSD_5minusIhEEEE10hipError_tPvRmT2_T3_mT4_P12ihipStream_tbEUlmE_hEESB_NS0_8identityIvEEEESJ_SM_SN_mSO_SQ_bEUlT_E_NS1_11comp_targetILNS1_3genE10ELNS1_11target_archE1200ELNS1_3gpuE4ELNS1_3repE0EEENS1_30default_config_static_selectorELNS0_4arch9wavefront6targetE1EEEvT1_, .Lfunc_end689-_ZN7rocprim17ROCPRIM_400000_NS6detail17trampoline_kernelINS0_14default_configENS1_25transform_config_selectorIhLb0EEEZNS1_14transform_implILb0ES3_S5_NS0_18transform_iteratorINS0_17counting_iteratorImlEEZNS1_24adjacent_difference_implIS3_Lb1ELb0EPhN6thrust23THRUST_200600_302600_NS16discard_iteratorINSD_11use_defaultEEENSD_5minusIhEEEE10hipError_tPvRmT2_T3_mT4_P12ihipStream_tbEUlmE_hEESB_NS0_8identityIvEEEESJ_SM_SN_mSO_SQ_bEUlT_E_NS1_11comp_targetILNS1_3genE10ELNS1_11target_archE1200ELNS1_3gpuE4ELNS1_3repE0EEENS1_30default_config_static_selectorELNS0_4arch9wavefront6targetE1EEEvT1_
                                        ; -- End function
	.section	.AMDGPU.csdata,"",@progbits
; Kernel info:
; codeLenInByte = 0
; NumSgprs: 6
; NumVgprs: 0
; NumAgprs: 0
; TotalNumVgprs: 0
; ScratchSize: 0
; MemoryBound: 0
; FloatMode: 240
; IeeeMode: 1
; LDSByteSize: 0 bytes/workgroup (compile time only)
; SGPRBlocks: 0
; VGPRBlocks: 0
; NumSGPRsForWavesPerEU: 6
; NumVGPRsForWavesPerEU: 1
; AccumOffset: 4
; Occupancy: 8
; WaveLimiterHint : 0
; COMPUTE_PGM_RSRC2:SCRATCH_EN: 0
; COMPUTE_PGM_RSRC2:USER_SGPR: 2
; COMPUTE_PGM_RSRC2:TRAP_HANDLER: 0
; COMPUTE_PGM_RSRC2:TGID_X_EN: 1
; COMPUTE_PGM_RSRC2:TGID_Y_EN: 0
; COMPUTE_PGM_RSRC2:TGID_Z_EN: 0
; COMPUTE_PGM_RSRC2:TIDIG_COMP_CNT: 0
; COMPUTE_PGM_RSRC3_GFX90A:ACCUM_OFFSET: 0
; COMPUTE_PGM_RSRC3_GFX90A:TG_SPLIT: 0
	.section	.text._ZN7rocprim17ROCPRIM_400000_NS6detail17trampoline_kernelINS0_14default_configENS1_25transform_config_selectorIhLb0EEEZNS1_14transform_implILb0ES3_S5_NS0_18transform_iteratorINS0_17counting_iteratorImlEEZNS1_24adjacent_difference_implIS3_Lb1ELb0EPhN6thrust23THRUST_200600_302600_NS16discard_iteratorINSD_11use_defaultEEENSD_5minusIhEEEE10hipError_tPvRmT2_T3_mT4_P12ihipStream_tbEUlmE_hEESB_NS0_8identityIvEEEESJ_SM_SN_mSO_SQ_bEUlT_E_NS1_11comp_targetILNS1_3genE9ELNS1_11target_archE1100ELNS1_3gpuE3ELNS1_3repE0EEENS1_30default_config_static_selectorELNS0_4arch9wavefront6targetE1EEEvT1_,"axG",@progbits,_ZN7rocprim17ROCPRIM_400000_NS6detail17trampoline_kernelINS0_14default_configENS1_25transform_config_selectorIhLb0EEEZNS1_14transform_implILb0ES3_S5_NS0_18transform_iteratorINS0_17counting_iteratorImlEEZNS1_24adjacent_difference_implIS3_Lb1ELb0EPhN6thrust23THRUST_200600_302600_NS16discard_iteratorINSD_11use_defaultEEENSD_5minusIhEEEE10hipError_tPvRmT2_T3_mT4_P12ihipStream_tbEUlmE_hEESB_NS0_8identityIvEEEESJ_SM_SN_mSO_SQ_bEUlT_E_NS1_11comp_targetILNS1_3genE9ELNS1_11target_archE1100ELNS1_3gpuE3ELNS1_3repE0EEENS1_30default_config_static_selectorELNS0_4arch9wavefront6targetE1EEEvT1_,comdat
	.protected	_ZN7rocprim17ROCPRIM_400000_NS6detail17trampoline_kernelINS0_14default_configENS1_25transform_config_selectorIhLb0EEEZNS1_14transform_implILb0ES3_S5_NS0_18transform_iteratorINS0_17counting_iteratorImlEEZNS1_24adjacent_difference_implIS3_Lb1ELb0EPhN6thrust23THRUST_200600_302600_NS16discard_iteratorINSD_11use_defaultEEENSD_5minusIhEEEE10hipError_tPvRmT2_T3_mT4_P12ihipStream_tbEUlmE_hEESB_NS0_8identityIvEEEESJ_SM_SN_mSO_SQ_bEUlT_E_NS1_11comp_targetILNS1_3genE9ELNS1_11target_archE1100ELNS1_3gpuE3ELNS1_3repE0EEENS1_30default_config_static_selectorELNS0_4arch9wavefront6targetE1EEEvT1_ ; -- Begin function _ZN7rocprim17ROCPRIM_400000_NS6detail17trampoline_kernelINS0_14default_configENS1_25transform_config_selectorIhLb0EEEZNS1_14transform_implILb0ES3_S5_NS0_18transform_iteratorINS0_17counting_iteratorImlEEZNS1_24adjacent_difference_implIS3_Lb1ELb0EPhN6thrust23THRUST_200600_302600_NS16discard_iteratorINSD_11use_defaultEEENSD_5minusIhEEEE10hipError_tPvRmT2_T3_mT4_P12ihipStream_tbEUlmE_hEESB_NS0_8identityIvEEEESJ_SM_SN_mSO_SQ_bEUlT_E_NS1_11comp_targetILNS1_3genE9ELNS1_11target_archE1100ELNS1_3gpuE3ELNS1_3repE0EEENS1_30default_config_static_selectorELNS0_4arch9wavefront6targetE1EEEvT1_
	.globl	_ZN7rocprim17ROCPRIM_400000_NS6detail17trampoline_kernelINS0_14default_configENS1_25transform_config_selectorIhLb0EEEZNS1_14transform_implILb0ES3_S5_NS0_18transform_iteratorINS0_17counting_iteratorImlEEZNS1_24adjacent_difference_implIS3_Lb1ELb0EPhN6thrust23THRUST_200600_302600_NS16discard_iteratorINSD_11use_defaultEEENSD_5minusIhEEEE10hipError_tPvRmT2_T3_mT4_P12ihipStream_tbEUlmE_hEESB_NS0_8identityIvEEEESJ_SM_SN_mSO_SQ_bEUlT_E_NS1_11comp_targetILNS1_3genE9ELNS1_11target_archE1100ELNS1_3gpuE3ELNS1_3repE0EEENS1_30default_config_static_selectorELNS0_4arch9wavefront6targetE1EEEvT1_
	.p2align	8
	.type	_ZN7rocprim17ROCPRIM_400000_NS6detail17trampoline_kernelINS0_14default_configENS1_25transform_config_selectorIhLb0EEEZNS1_14transform_implILb0ES3_S5_NS0_18transform_iteratorINS0_17counting_iteratorImlEEZNS1_24adjacent_difference_implIS3_Lb1ELb0EPhN6thrust23THRUST_200600_302600_NS16discard_iteratorINSD_11use_defaultEEENSD_5minusIhEEEE10hipError_tPvRmT2_T3_mT4_P12ihipStream_tbEUlmE_hEESB_NS0_8identityIvEEEESJ_SM_SN_mSO_SQ_bEUlT_E_NS1_11comp_targetILNS1_3genE9ELNS1_11target_archE1100ELNS1_3gpuE3ELNS1_3repE0EEENS1_30default_config_static_selectorELNS0_4arch9wavefront6targetE1EEEvT1_,@function
_ZN7rocprim17ROCPRIM_400000_NS6detail17trampoline_kernelINS0_14default_configENS1_25transform_config_selectorIhLb0EEEZNS1_14transform_implILb0ES3_S5_NS0_18transform_iteratorINS0_17counting_iteratorImlEEZNS1_24adjacent_difference_implIS3_Lb1ELb0EPhN6thrust23THRUST_200600_302600_NS16discard_iteratorINSD_11use_defaultEEENSD_5minusIhEEEE10hipError_tPvRmT2_T3_mT4_P12ihipStream_tbEUlmE_hEESB_NS0_8identityIvEEEESJ_SM_SN_mSO_SQ_bEUlT_E_NS1_11comp_targetILNS1_3genE9ELNS1_11target_archE1100ELNS1_3gpuE3ELNS1_3repE0EEENS1_30default_config_static_selectorELNS0_4arch9wavefront6targetE1EEEvT1_: ; @_ZN7rocprim17ROCPRIM_400000_NS6detail17trampoline_kernelINS0_14default_configENS1_25transform_config_selectorIhLb0EEEZNS1_14transform_implILb0ES3_S5_NS0_18transform_iteratorINS0_17counting_iteratorImlEEZNS1_24adjacent_difference_implIS3_Lb1ELb0EPhN6thrust23THRUST_200600_302600_NS16discard_iteratorINSD_11use_defaultEEENSD_5minusIhEEEE10hipError_tPvRmT2_T3_mT4_P12ihipStream_tbEUlmE_hEESB_NS0_8identityIvEEEESJ_SM_SN_mSO_SQ_bEUlT_E_NS1_11comp_targetILNS1_3genE9ELNS1_11target_archE1100ELNS1_3gpuE3ELNS1_3repE0EEENS1_30default_config_static_selectorELNS0_4arch9wavefront6targetE1EEEvT1_
; %bb.0:
	.section	.rodata,"a",@progbits
	.p2align	6, 0x0
	.amdhsa_kernel _ZN7rocprim17ROCPRIM_400000_NS6detail17trampoline_kernelINS0_14default_configENS1_25transform_config_selectorIhLb0EEEZNS1_14transform_implILb0ES3_S5_NS0_18transform_iteratorINS0_17counting_iteratorImlEEZNS1_24adjacent_difference_implIS3_Lb1ELb0EPhN6thrust23THRUST_200600_302600_NS16discard_iteratorINSD_11use_defaultEEENSD_5minusIhEEEE10hipError_tPvRmT2_T3_mT4_P12ihipStream_tbEUlmE_hEESB_NS0_8identityIvEEEESJ_SM_SN_mSO_SQ_bEUlT_E_NS1_11comp_targetILNS1_3genE9ELNS1_11target_archE1100ELNS1_3gpuE3ELNS1_3repE0EEENS1_30default_config_static_selectorELNS0_4arch9wavefront6targetE1EEEvT1_
		.amdhsa_group_segment_fixed_size 0
		.amdhsa_private_segment_fixed_size 0
		.amdhsa_kernarg_size 56
		.amdhsa_user_sgpr_count 2
		.amdhsa_user_sgpr_dispatch_ptr 0
		.amdhsa_user_sgpr_queue_ptr 0
		.amdhsa_user_sgpr_kernarg_segment_ptr 1
		.amdhsa_user_sgpr_dispatch_id 0
		.amdhsa_user_sgpr_kernarg_preload_length 0
		.amdhsa_user_sgpr_kernarg_preload_offset 0
		.amdhsa_user_sgpr_private_segment_size 0
		.amdhsa_uses_dynamic_stack 0
		.amdhsa_enable_private_segment 0
		.amdhsa_system_sgpr_workgroup_id_x 1
		.amdhsa_system_sgpr_workgroup_id_y 0
		.amdhsa_system_sgpr_workgroup_id_z 0
		.amdhsa_system_sgpr_workgroup_info 0
		.amdhsa_system_vgpr_workitem_id 0
		.amdhsa_next_free_vgpr 1
		.amdhsa_next_free_sgpr 0
		.amdhsa_accum_offset 4
		.amdhsa_reserve_vcc 0
		.amdhsa_float_round_mode_32 0
		.amdhsa_float_round_mode_16_64 0
		.amdhsa_float_denorm_mode_32 3
		.amdhsa_float_denorm_mode_16_64 3
		.amdhsa_dx10_clamp 1
		.amdhsa_ieee_mode 1
		.amdhsa_fp16_overflow 0
		.amdhsa_tg_split 0
		.amdhsa_exception_fp_ieee_invalid_op 0
		.amdhsa_exception_fp_denorm_src 0
		.amdhsa_exception_fp_ieee_div_zero 0
		.amdhsa_exception_fp_ieee_overflow 0
		.amdhsa_exception_fp_ieee_underflow 0
		.amdhsa_exception_fp_ieee_inexact 0
		.amdhsa_exception_int_div_zero 0
	.end_amdhsa_kernel
	.section	.text._ZN7rocprim17ROCPRIM_400000_NS6detail17trampoline_kernelINS0_14default_configENS1_25transform_config_selectorIhLb0EEEZNS1_14transform_implILb0ES3_S5_NS0_18transform_iteratorINS0_17counting_iteratorImlEEZNS1_24adjacent_difference_implIS3_Lb1ELb0EPhN6thrust23THRUST_200600_302600_NS16discard_iteratorINSD_11use_defaultEEENSD_5minusIhEEEE10hipError_tPvRmT2_T3_mT4_P12ihipStream_tbEUlmE_hEESB_NS0_8identityIvEEEESJ_SM_SN_mSO_SQ_bEUlT_E_NS1_11comp_targetILNS1_3genE9ELNS1_11target_archE1100ELNS1_3gpuE3ELNS1_3repE0EEENS1_30default_config_static_selectorELNS0_4arch9wavefront6targetE1EEEvT1_,"axG",@progbits,_ZN7rocprim17ROCPRIM_400000_NS6detail17trampoline_kernelINS0_14default_configENS1_25transform_config_selectorIhLb0EEEZNS1_14transform_implILb0ES3_S5_NS0_18transform_iteratorINS0_17counting_iteratorImlEEZNS1_24adjacent_difference_implIS3_Lb1ELb0EPhN6thrust23THRUST_200600_302600_NS16discard_iteratorINSD_11use_defaultEEENSD_5minusIhEEEE10hipError_tPvRmT2_T3_mT4_P12ihipStream_tbEUlmE_hEESB_NS0_8identityIvEEEESJ_SM_SN_mSO_SQ_bEUlT_E_NS1_11comp_targetILNS1_3genE9ELNS1_11target_archE1100ELNS1_3gpuE3ELNS1_3repE0EEENS1_30default_config_static_selectorELNS0_4arch9wavefront6targetE1EEEvT1_,comdat
.Lfunc_end690:
	.size	_ZN7rocprim17ROCPRIM_400000_NS6detail17trampoline_kernelINS0_14default_configENS1_25transform_config_selectorIhLb0EEEZNS1_14transform_implILb0ES3_S5_NS0_18transform_iteratorINS0_17counting_iteratorImlEEZNS1_24adjacent_difference_implIS3_Lb1ELb0EPhN6thrust23THRUST_200600_302600_NS16discard_iteratorINSD_11use_defaultEEENSD_5minusIhEEEE10hipError_tPvRmT2_T3_mT4_P12ihipStream_tbEUlmE_hEESB_NS0_8identityIvEEEESJ_SM_SN_mSO_SQ_bEUlT_E_NS1_11comp_targetILNS1_3genE9ELNS1_11target_archE1100ELNS1_3gpuE3ELNS1_3repE0EEENS1_30default_config_static_selectorELNS0_4arch9wavefront6targetE1EEEvT1_, .Lfunc_end690-_ZN7rocprim17ROCPRIM_400000_NS6detail17trampoline_kernelINS0_14default_configENS1_25transform_config_selectorIhLb0EEEZNS1_14transform_implILb0ES3_S5_NS0_18transform_iteratorINS0_17counting_iteratorImlEEZNS1_24adjacent_difference_implIS3_Lb1ELb0EPhN6thrust23THRUST_200600_302600_NS16discard_iteratorINSD_11use_defaultEEENSD_5minusIhEEEE10hipError_tPvRmT2_T3_mT4_P12ihipStream_tbEUlmE_hEESB_NS0_8identityIvEEEESJ_SM_SN_mSO_SQ_bEUlT_E_NS1_11comp_targetILNS1_3genE9ELNS1_11target_archE1100ELNS1_3gpuE3ELNS1_3repE0EEENS1_30default_config_static_selectorELNS0_4arch9wavefront6targetE1EEEvT1_
                                        ; -- End function
	.section	.AMDGPU.csdata,"",@progbits
; Kernel info:
; codeLenInByte = 0
; NumSgprs: 6
; NumVgprs: 0
; NumAgprs: 0
; TotalNumVgprs: 0
; ScratchSize: 0
; MemoryBound: 0
; FloatMode: 240
; IeeeMode: 1
; LDSByteSize: 0 bytes/workgroup (compile time only)
; SGPRBlocks: 0
; VGPRBlocks: 0
; NumSGPRsForWavesPerEU: 6
; NumVGPRsForWavesPerEU: 1
; AccumOffset: 4
; Occupancy: 8
; WaveLimiterHint : 0
; COMPUTE_PGM_RSRC2:SCRATCH_EN: 0
; COMPUTE_PGM_RSRC2:USER_SGPR: 2
; COMPUTE_PGM_RSRC2:TRAP_HANDLER: 0
; COMPUTE_PGM_RSRC2:TGID_X_EN: 1
; COMPUTE_PGM_RSRC2:TGID_Y_EN: 0
; COMPUTE_PGM_RSRC2:TGID_Z_EN: 0
; COMPUTE_PGM_RSRC2:TIDIG_COMP_CNT: 0
; COMPUTE_PGM_RSRC3_GFX90A:ACCUM_OFFSET: 0
; COMPUTE_PGM_RSRC3_GFX90A:TG_SPLIT: 0
	.section	.text._ZN7rocprim17ROCPRIM_400000_NS6detail17trampoline_kernelINS0_14default_configENS1_25transform_config_selectorIhLb0EEEZNS1_14transform_implILb0ES3_S5_NS0_18transform_iteratorINS0_17counting_iteratorImlEEZNS1_24adjacent_difference_implIS3_Lb1ELb0EPhN6thrust23THRUST_200600_302600_NS16discard_iteratorINSD_11use_defaultEEENSD_5minusIhEEEE10hipError_tPvRmT2_T3_mT4_P12ihipStream_tbEUlmE_hEESB_NS0_8identityIvEEEESJ_SM_SN_mSO_SQ_bEUlT_E_NS1_11comp_targetILNS1_3genE8ELNS1_11target_archE1030ELNS1_3gpuE2ELNS1_3repE0EEENS1_30default_config_static_selectorELNS0_4arch9wavefront6targetE1EEEvT1_,"axG",@progbits,_ZN7rocprim17ROCPRIM_400000_NS6detail17trampoline_kernelINS0_14default_configENS1_25transform_config_selectorIhLb0EEEZNS1_14transform_implILb0ES3_S5_NS0_18transform_iteratorINS0_17counting_iteratorImlEEZNS1_24adjacent_difference_implIS3_Lb1ELb0EPhN6thrust23THRUST_200600_302600_NS16discard_iteratorINSD_11use_defaultEEENSD_5minusIhEEEE10hipError_tPvRmT2_T3_mT4_P12ihipStream_tbEUlmE_hEESB_NS0_8identityIvEEEESJ_SM_SN_mSO_SQ_bEUlT_E_NS1_11comp_targetILNS1_3genE8ELNS1_11target_archE1030ELNS1_3gpuE2ELNS1_3repE0EEENS1_30default_config_static_selectorELNS0_4arch9wavefront6targetE1EEEvT1_,comdat
	.protected	_ZN7rocprim17ROCPRIM_400000_NS6detail17trampoline_kernelINS0_14default_configENS1_25transform_config_selectorIhLb0EEEZNS1_14transform_implILb0ES3_S5_NS0_18transform_iteratorINS0_17counting_iteratorImlEEZNS1_24adjacent_difference_implIS3_Lb1ELb0EPhN6thrust23THRUST_200600_302600_NS16discard_iteratorINSD_11use_defaultEEENSD_5minusIhEEEE10hipError_tPvRmT2_T3_mT4_P12ihipStream_tbEUlmE_hEESB_NS0_8identityIvEEEESJ_SM_SN_mSO_SQ_bEUlT_E_NS1_11comp_targetILNS1_3genE8ELNS1_11target_archE1030ELNS1_3gpuE2ELNS1_3repE0EEENS1_30default_config_static_selectorELNS0_4arch9wavefront6targetE1EEEvT1_ ; -- Begin function _ZN7rocprim17ROCPRIM_400000_NS6detail17trampoline_kernelINS0_14default_configENS1_25transform_config_selectorIhLb0EEEZNS1_14transform_implILb0ES3_S5_NS0_18transform_iteratorINS0_17counting_iteratorImlEEZNS1_24adjacent_difference_implIS3_Lb1ELb0EPhN6thrust23THRUST_200600_302600_NS16discard_iteratorINSD_11use_defaultEEENSD_5minusIhEEEE10hipError_tPvRmT2_T3_mT4_P12ihipStream_tbEUlmE_hEESB_NS0_8identityIvEEEESJ_SM_SN_mSO_SQ_bEUlT_E_NS1_11comp_targetILNS1_3genE8ELNS1_11target_archE1030ELNS1_3gpuE2ELNS1_3repE0EEENS1_30default_config_static_selectorELNS0_4arch9wavefront6targetE1EEEvT1_
	.globl	_ZN7rocprim17ROCPRIM_400000_NS6detail17trampoline_kernelINS0_14default_configENS1_25transform_config_selectorIhLb0EEEZNS1_14transform_implILb0ES3_S5_NS0_18transform_iteratorINS0_17counting_iteratorImlEEZNS1_24adjacent_difference_implIS3_Lb1ELb0EPhN6thrust23THRUST_200600_302600_NS16discard_iteratorINSD_11use_defaultEEENSD_5minusIhEEEE10hipError_tPvRmT2_T3_mT4_P12ihipStream_tbEUlmE_hEESB_NS0_8identityIvEEEESJ_SM_SN_mSO_SQ_bEUlT_E_NS1_11comp_targetILNS1_3genE8ELNS1_11target_archE1030ELNS1_3gpuE2ELNS1_3repE0EEENS1_30default_config_static_selectorELNS0_4arch9wavefront6targetE1EEEvT1_
	.p2align	8
	.type	_ZN7rocprim17ROCPRIM_400000_NS6detail17trampoline_kernelINS0_14default_configENS1_25transform_config_selectorIhLb0EEEZNS1_14transform_implILb0ES3_S5_NS0_18transform_iteratorINS0_17counting_iteratorImlEEZNS1_24adjacent_difference_implIS3_Lb1ELb0EPhN6thrust23THRUST_200600_302600_NS16discard_iteratorINSD_11use_defaultEEENSD_5minusIhEEEE10hipError_tPvRmT2_T3_mT4_P12ihipStream_tbEUlmE_hEESB_NS0_8identityIvEEEESJ_SM_SN_mSO_SQ_bEUlT_E_NS1_11comp_targetILNS1_3genE8ELNS1_11target_archE1030ELNS1_3gpuE2ELNS1_3repE0EEENS1_30default_config_static_selectorELNS0_4arch9wavefront6targetE1EEEvT1_,@function
_ZN7rocprim17ROCPRIM_400000_NS6detail17trampoline_kernelINS0_14default_configENS1_25transform_config_selectorIhLb0EEEZNS1_14transform_implILb0ES3_S5_NS0_18transform_iteratorINS0_17counting_iteratorImlEEZNS1_24adjacent_difference_implIS3_Lb1ELb0EPhN6thrust23THRUST_200600_302600_NS16discard_iteratorINSD_11use_defaultEEENSD_5minusIhEEEE10hipError_tPvRmT2_T3_mT4_P12ihipStream_tbEUlmE_hEESB_NS0_8identityIvEEEESJ_SM_SN_mSO_SQ_bEUlT_E_NS1_11comp_targetILNS1_3genE8ELNS1_11target_archE1030ELNS1_3gpuE2ELNS1_3repE0EEENS1_30default_config_static_selectorELNS0_4arch9wavefront6targetE1EEEvT1_: ; @_ZN7rocprim17ROCPRIM_400000_NS6detail17trampoline_kernelINS0_14default_configENS1_25transform_config_selectorIhLb0EEEZNS1_14transform_implILb0ES3_S5_NS0_18transform_iteratorINS0_17counting_iteratorImlEEZNS1_24adjacent_difference_implIS3_Lb1ELb0EPhN6thrust23THRUST_200600_302600_NS16discard_iteratorINSD_11use_defaultEEENSD_5minusIhEEEE10hipError_tPvRmT2_T3_mT4_P12ihipStream_tbEUlmE_hEESB_NS0_8identityIvEEEESJ_SM_SN_mSO_SQ_bEUlT_E_NS1_11comp_targetILNS1_3genE8ELNS1_11target_archE1030ELNS1_3gpuE2ELNS1_3repE0EEENS1_30default_config_static_selectorELNS0_4arch9wavefront6targetE1EEEvT1_
; %bb.0:
	.section	.rodata,"a",@progbits
	.p2align	6, 0x0
	.amdhsa_kernel _ZN7rocprim17ROCPRIM_400000_NS6detail17trampoline_kernelINS0_14default_configENS1_25transform_config_selectorIhLb0EEEZNS1_14transform_implILb0ES3_S5_NS0_18transform_iteratorINS0_17counting_iteratorImlEEZNS1_24adjacent_difference_implIS3_Lb1ELb0EPhN6thrust23THRUST_200600_302600_NS16discard_iteratorINSD_11use_defaultEEENSD_5minusIhEEEE10hipError_tPvRmT2_T3_mT4_P12ihipStream_tbEUlmE_hEESB_NS0_8identityIvEEEESJ_SM_SN_mSO_SQ_bEUlT_E_NS1_11comp_targetILNS1_3genE8ELNS1_11target_archE1030ELNS1_3gpuE2ELNS1_3repE0EEENS1_30default_config_static_selectorELNS0_4arch9wavefront6targetE1EEEvT1_
		.amdhsa_group_segment_fixed_size 0
		.amdhsa_private_segment_fixed_size 0
		.amdhsa_kernarg_size 56
		.amdhsa_user_sgpr_count 2
		.amdhsa_user_sgpr_dispatch_ptr 0
		.amdhsa_user_sgpr_queue_ptr 0
		.amdhsa_user_sgpr_kernarg_segment_ptr 1
		.amdhsa_user_sgpr_dispatch_id 0
		.amdhsa_user_sgpr_kernarg_preload_length 0
		.amdhsa_user_sgpr_kernarg_preload_offset 0
		.amdhsa_user_sgpr_private_segment_size 0
		.amdhsa_uses_dynamic_stack 0
		.amdhsa_enable_private_segment 0
		.amdhsa_system_sgpr_workgroup_id_x 1
		.amdhsa_system_sgpr_workgroup_id_y 0
		.amdhsa_system_sgpr_workgroup_id_z 0
		.amdhsa_system_sgpr_workgroup_info 0
		.amdhsa_system_vgpr_workitem_id 0
		.amdhsa_next_free_vgpr 1
		.amdhsa_next_free_sgpr 0
		.amdhsa_accum_offset 4
		.amdhsa_reserve_vcc 0
		.amdhsa_float_round_mode_32 0
		.amdhsa_float_round_mode_16_64 0
		.amdhsa_float_denorm_mode_32 3
		.amdhsa_float_denorm_mode_16_64 3
		.amdhsa_dx10_clamp 1
		.amdhsa_ieee_mode 1
		.amdhsa_fp16_overflow 0
		.amdhsa_tg_split 0
		.amdhsa_exception_fp_ieee_invalid_op 0
		.amdhsa_exception_fp_denorm_src 0
		.amdhsa_exception_fp_ieee_div_zero 0
		.amdhsa_exception_fp_ieee_overflow 0
		.amdhsa_exception_fp_ieee_underflow 0
		.amdhsa_exception_fp_ieee_inexact 0
		.amdhsa_exception_int_div_zero 0
	.end_amdhsa_kernel
	.section	.text._ZN7rocprim17ROCPRIM_400000_NS6detail17trampoline_kernelINS0_14default_configENS1_25transform_config_selectorIhLb0EEEZNS1_14transform_implILb0ES3_S5_NS0_18transform_iteratorINS0_17counting_iteratorImlEEZNS1_24adjacent_difference_implIS3_Lb1ELb0EPhN6thrust23THRUST_200600_302600_NS16discard_iteratorINSD_11use_defaultEEENSD_5minusIhEEEE10hipError_tPvRmT2_T3_mT4_P12ihipStream_tbEUlmE_hEESB_NS0_8identityIvEEEESJ_SM_SN_mSO_SQ_bEUlT_E_NS1_11comp_targetILNS1_3genE8ELNS1_11target_archE1030ELNS1_3gpuE2ELNS1_3repE0EEENS1_30default_config_static_selectorELNS0_4arch9wavefront6targetE1EEEvT1_,"axG",@progbits,_ZN7rocprim17ROCPRIM_400000_NS6detail17trampoline_kernelINS0_14default_configENS1_25transform_config_selectorIhLb0EEEZNS1_14transform_implILb0ES3_S5_NS0_18transform_iteratorINS0_17counting_iteratorImlEEZNS1_24adjacent_difference_implIS3_Lb1ELb0EPhN6thrust23THRUST_200600_302600_NS16discard_iteratorINSD_11use_defaultEEENSD_5minusIhEEEE10hipError_tPvRmT2_T3_mT4_P12ihipStream_tbEUlmE_hEESB_NS0_8identityIvEEEESJ_SM_SN_mSO_SQ_bEUlT_E_NS1_11comp_targetILNS1_3genE8ELNS1_11target_archE1030ELNS1_3gpuE2ELNS1_3repE0EEENS1_30default_config_static_selectorELNS0_4arch9wavefront6targetE1EEEvT1_,comdat
.Lfunc_end691:
	.size	_ZN7rocprim17ROCPRIM_400000_NS6detail17trampoline_kernelINS0_14default_configENS1_25transform_config_selectorIhLb0EEEZNS1_14transform_implILb0ES3_S5_NS0_18transform_iteratorINS0_17counting_iteratorImlEEZNS1_24adjacent_difference_implIS3_Lb1ELb0EPhN6thrust23THRUST_200600_302600_NS16discard_iteratorINSD_11use_defaultEEENSD_5minusIhEEEE10hipError_tPvRmT2_T3_mT4_P12ihipStream_tbEUlmE_hEESB_NS0_8identityIvEEEESJ_SM_SN_mSO_SQ_bEUlT_E_NS1_11comp_targetILNS1_3genE8ELNS1_11target_archE1030ELNS1_3gpuE2ELNS1_3repE0EEENS1_30default_config_static_selectorELNS0_4arch9wavefront6targetE1EEEvT1_, .Lfunc_end691-_ZN7rocprim17ROCPRIM_400000_NS6detail17trampoline_kernelINS0_14default_configENS1_25transform_config_selectorIhLb0EEEZNS1_14transform_implILb0ES3_S5_NS0_18transform_iteratorINS0_17counting_iteratorImlEEZNS1_24adjacent_difference_implIS3_Lb1ELb0EPhN6thrust23THRUST_200600_302600_NS16discard_iteratorINSD_11use_defaultEEENSD_5minusIhEEEE10hipError_tPvRmT2_T3_mT4_P12ihipStream_tbEUlmE_hEESB_NS0_8identityIvEEEESJ_SM_SN_mSO_SQ_bEUlT_E_NS1_11comp_targetILNS1_3genE8ELNS1_11target_archE1030ELNS1_3gpuE2ELNS1_3repE0EEENS1_30default_config_static_selectorELNS0_4arch9wavefront6targetE1EEEvT1_
                                        ; -- End function
	.section	.AMDGPU.csdata,"",@progbits
; Kernel info:
; codeLenInByte = 0
; NumSgprs: 6
; NumVgprs: 0
; NumAgprs: 0
; TotalNumVgprs: 0
; ScratchSize: 0
; MemoryBound: 0
; FloatMode: 240
; IeeeMode: 1
; LDSByteSize: 0 bytes/workgroup (compile time only)
; SGPRBlocks: 0
; VGPRBlocks: 0
; NumSGPRsForWavesPerEU: 6
; NumVGPRsForWavesPerEU: 1
; AccumOffset: 4
; Occupancy: 8
; WaveLimiterHint : 0
; COMPUTE_PGM_RSRC2:SCRATCH_EN: 0
; COMPUTE_PGM_RSRC2:USER_SGPR: 2
; COMPUTE_PGM_RSRC2:TRAP_HANDLER: 0
; COMPUTE_PGM_RSRC2:TGID_X_EN: 1
; COMPUTE_PGM_RSRC2:TGID_Y_EN: 0
; COMPUTE_PGM_RSRC2:TGID_Z_EN: 0
; COMPUTE_PGM_RSRC2:TIDIG_COMP_CNT: 0
; COMPUTE_PGM_RSRC3_GFX90A:ACCUM_OFFSET: 0
; COMPUTE_PGM_RSRC3_GFX90A:TG_SPLIT: 0
	.section	.text._ZN7rocprim17ROCPRIM_400000_NS6detail17trampoline_kernelINS0_14default_configENS1_35adjacent_difference_config_selectorILb1EhEEZNS1_24adjacent_difference_implIS3_Lb1ELb0EPhN6thrust23THRUST_200600_302600_NS16discard_iteratorINS9_11use_defaultEEENS9_5minusIhEEEE10hipError_tPvRmT2_T3_mT4_P12ihipStream_tbEUlT_E_NS1_11comp_targetILNS1_3genE0ELNS1_11target_archE4294967295ELNS1_3gpuE0ELNS1_3repE0EEENS1_30default_config_static_selectorELNS0_4arch9wavefront6targetE1EEEvT1_,"axG",@progbits,_ZN7rocprim17ROCPRIM_400000_NS6detail17trampoline_kernelINS0_14default_configENS1_35adjacent_difference_config_selectorILb1EhEEZNS1_24adjacent_difference_implIS3_Lb1ELb0EPhN6thrust23THRUST_200600_302600_NS16discard_iteratorINS9_11use_defaultEEENS9_5minusIhEEEE10hipError_tPvRmT2_T3_mT4_P12ihipStream_tbEUlT_E_NS1_11comp_targetILNS1_3genE0ELNS1_11target_archE4294967295ELNS1_3gpuE0ELNS1_3repE0EEENS1_30default_config_static_selectorELNS0_4arch9wavefront6targetE1EEEvT1_,comdat
	.protected	_ZN7rocprim17ROCPRIM_400000_NS6detail17trampoline_kernelINS0_14default_configENS1_35adjacent_difference_config_selectorILb1EhEEZNS1_24adjacent_difference_implIS3_Lb1ELb0EPhN6thrust23THRUST_200600_302600_NS16discard_iteratorINS9_11use_defaultEEENS9_5minusIhEEEE10hipError_tPvRmT2_T3_mT4_P12ihipStream_tbEUlT_E_NS1_11comp_targetILNS1_3genE0ELNS1_11target_archE4294967295ELNS1_3gpuE0ELNS1_3repE0EEENS1_30default_config_static_selectorELNS0_4arch9wavefront6targetE1EEEvT1_ ; -- Begin function _ZN7rocprim17ROCPRIM_400000_NS6detail17trampoline_kernelINS0_14default_configENS1_35adjacent_difference_config_selectorILb1EhEEZNS1_24adjacent_difference_implIS3_Lb1ELb0EPhN6thrust23THRUST_200600_302600_NS16discard_iteratorINS9_11use_defaultEEENS9_5minusIhEEEE10hipError_tPvRmT2_T3_mT4_P12ihipStream_tbEUlT_E_NS1_11comp_targetILNS1_3genE0ELNS1_11target_archE4294967295ELNS1_3gpuE0ELNS1_3repE0EEENS1_30default_config_static_selectorELNS0_4arch9wavefront6targetE1EEEvT1_
	.globl	_ZN7rocprim17ROCPRIM_400000_NS6detail17trampoline_kernelINS0_14default_configENS1_35adjacent_difference_config_selectorILb1EhEEZNS1_24adjacent_difference_implIS3_Lb1ELb0EPhN6thrust23THRUST_200600_302600_NS16discard_iteratorINS9_11use_defaultEEENS9_5minusIhEEEE10hipError_tPvRmT2_T3_mT4_P12ihipStream_tbEUlT_E_NS1_11comp_targetILNS1_3genE0ELNS1_11target_archE4294967295ELNS1_3gpuE0ELNS1_3repE0EEENS1_30default_config_static_selectorELNS0_4arch9wavefront6targetE1EEEvT1_
	.p2align	8
	.type	_ZN7rocprim17ROCPRIM_400000_NS6detail17trampoline_kernelINS0_14default_configENS1_35adjacent_difference_config_selectorILb1EhEEZNS1_24adjacent_difference_implIS3_Lb1ELb0EPhN6thrust23THRUST_200600_302600_NS16discard_iteratorINS9_11use_defaultEEENS9_5minusIhEEEE10hipError_tPvRmT2_T3_mT4_P12ihipStream_tbEUlT_E_NS1_11comp_targetILNS1_3genE0ELNS1_11target_archE4294967295ELNS1_3gpuE0ELNS1_3repE0EEENS1_30default_config_static_selectorELNS0_4arch9wavefront6targetE1EEEvT1_,@function
_ZN7rocprim17ROCPRIM_400000_NS6detail17trampoline_kernelINS0_14default_configENS1_35adjacent_difference_config_selectorILb1EhEEZNS1_24adjacent_difference_implIS3_Lb1ELb0EPhN6thrust23THRUST_200600_302600_NS16discard_iteratorINS9_11use_defaultEEENS9_5minusIhEEEE10hipError_tPvRmT2_T3_mT4_P12ihipStream_tbEUlT_E_NS1_11comp_targetILNS1_3genE0ELNS1_11target_archE4294967295ELNS1_3gpuE0ELNS1_3repE0EEENS1_30default_config_static_selectorELNS0_4arch9wavefront6targetE1EEEvT1_: ; @_ZN7rocprim17ROCPRIM_400000_NS6detail17trampoline_kernelINS0_14default_configENS1_35adjacent_difference_config_selectorILb1EhEEZNS1_24adjacent_difference_implIS3_Lb1ELb0EPhN6thrust23THRUST_200600_302600_NS16discard_iteratorINS9_11use_defaultEEENS9_5minusIhEEEE10hipError_tPvRmT2_T3_mT4_P12ihipStream_tbEUlT_E_NS1_11comp_targetILNS1_3genE0ELNS1_11target_archE4294967295ELNS1_3gpuE0ELNS1_3repE0EEENS1_30default_config_static_selectorELNS0_4arch9wavefront6targetE1EEEvT1_
; %bb.0:
	.section	.rodata,"a",@progbits
	.p2align	6, 0x0
	.amdhsa_kernel _ZN7rocprim17ROCPRIM_400000_NS6detail17trampoline_kernelINS0_14default_configENS1_35adjacent_difference_config_selectorILb1EhEEZNS1_24adjacent_difference_implIS3_Lb1ELb0EPhN6thrust23THRUST_200600_302600_NS16discard_iteratorINS9_11use_defaultEEENS9_5minusIhEEEE10hipError_tPvRmT2_T3_mT4_P12ihipStream_tbEUlT_E_NS1_11comp_targetILNS1_3genE0ELNS1_11target_archE4294967295ELNS1_3gpuE0ELNS1_3repE0EEENS1_30default_config_static_selectorELNS0_4arch9wavefront6targetE1EEEvT1_
		.amdhsa_group_segment_fixed_size 0
		.amdhsa_private_segment_fixed_size 0
		.amdhsa_kernarg_size 64
		.amdhsa_user_sgpr_count 2
		.amdhsa_user_sgpr_dispatch_ptr 0
		.amdhsa_user_sgpr_queue_ptr 0
		.amdhsa_user_sgpr_kernarg_segment_ptr 1
		.amdhsa_user_sgpr_dispatch_id 0
		.amdhsa_user_sgpr_kernarg_preload_length 0
		.amdhsa_user_sgpr_kernarg_preload_offset 0
		.amdhsa_user_sgpr_private_segment_size 0
		.amdhsa_uses_dynamic_stack 0
		.amdhsa_enable_private_segment 0
		.amdhsa_system_sgpr_workgroup_id_x 1
		.amdhsa_system_sgpr_workgroup_id_y 0
		.amdhsa_system_sgpr_workgroup_id_z 0
		.amdhsa_system_sgpr_workgroup_info 0
		.amdhsa_system_vgpr_workitem_id 0
		.amdhsa_next_free_vgpr 1
		.amdhsa_next_free_sgpr 0
		.amdhsa_accum_offset 4
		.amdhsa_reserve_vcc 0
		.amdhsa_float_round_mode_32 0
		.amdhsa_float_round_mode_16_64 0
		.amdhsa_float_denorm_mode_32 3
		.amdhsa_float_denorm_mode_16_64 3
		.amdhsa_dx10_clamp 1
		.amdhsa_ieee_mode 1
		.amdhsa_fp16_overflow 0
		.amdhsa_tg_split 0
		.amdhsa_exception_fp_ieee_invalid_op 0
		.amdhsa_exception_fp_denorm_src 0
		.amdhsa_exception_fp_ieee_div_zero 0
		.amdhsa_exception_fp_ieee_overflow 0
		.amdhsa_exception_fp_ieee_underflow 0
		.amdhsa_exception_fp_ieee_inexact 0
		.amdhsa_exception_int_div_zero 0
	.end_amdhsa_kernel
	.section	.text._ZN7rocprim17ROCPRIM_400000_NS6detail17trampoline_kernelINS0_14default_configENS1_35adjacent_difference_config_selectorILb1EhEEZNS1_24adjacent_difference_implIS3_Lb1ELb0EPhN6thrust23THRUST_200600_302600_NS16discard_iteratorINS9_11use_defaultEEENS9_5minusIhEEEE10hipError_tPvRmT2_T3_mT4_P12ihipStream_tbEUlT_E_NS1_11comp_targetILNS1_3genE0ELNS1_11target_archE4294967295ELNS1_3gpuE0ELNS1_3repE0EEENS1_30default_config_static_selectorELNS0_4arch9wavefront6targetE1EEEvT1_,"axG",@progbits,_ZN7rocprim17ROCPRIM_400000_NS6detail17trampoline_kernelINS0_14default_configENS1_35adjacent_difference_config_selectorILb1EhEEZNS1_24adjacent_difference_implIS3_Lb1ELb0EPhN6thrust23THRUST_200600_302600_NS16discard_iteratorINS9_11use_defaultEEENS9_5minusIhEEEE10hipError_tPvRmT2_T3_mT4_P12ihipStream_tbEUlT_E_NS1_11comp_targetILNS1_3genE0ELNS1_11target_archE4294967295ELNS1_3gpuE0ELNS1_3repE0EEENS1_30default_config_static_selectorELNS0_4arch9wavefront6targetE1EEEvT1_,comdat
.Lfunc_end692:
	.size	_ZN7rocprim17ROCPRIM_400000_NS6detail17trampoline_kernelINS0_14default_configENS1_35adjacent_difference_config_selectorILb1EhEEZNS1_24adjacent_difference_implIS3_Lb1ELb0EPhN6thrust23THRUST_200600_302600_NS16discard_iteratorINS9_11use_defaultEEENS9_5minusIhEEEE10hipError_tPvRmT2_T3_mT4_P12ihipStream_tbEUlT_E_NS1_11comp_targetILNS1_3genE0ELNS1_11target_archE4294967295ELNS1_3gpuE0ELNS1_3repE0EEENS1_30default_config_static_selectorELNS0_4arch9wavefront6targetE1EEEvT1_, .Lfunc_end692-_ZN7rocprim17ROCPRIM_400000_NS6detail17trampoline_kernelINS0_14default_configENS1_35adjacent_difference_config_selectorILb1EhEEZNS1_24adjacent_difference_implIS3_Lb1ELb0EPhN6thrust23THRUST_200600_302600_NS16discard_iteratorINS9_11use_defaultEEENS9_5minusIhEEEE10hipError_tPvRmT2_T3_mT4_P12ihipStream_tbEUlT_E_NS1_11comp_targetILNS1_3genE0ELNS1_11target_archE4294967295ELNS1_3gpuE0ELNS1_3repE0EEENS1_30default_config_static_selectorELNS0_4arch9wavefront6targetE1EEEvT1_
                                        ; -- End function
	.section	.AMDGPU.csdata,"",@progbits
; Kernel info:
; codeLenInByte = 0
; NumSgprs: 6
; NumVgprs: 0
; NumAgprs: 0
; TotalNumVgprs: 0
; ScratchSize: 0
; MemoryBound: 0
; FloatMode: 240
; IeeeMode: 1
; LDSByteSize: 0 bytes/workgroup (compile time only)
; SGPRBlocks: 0
; VGPRBlocks: 0
; NumSGPRsForWavesPerEU: 6
; NumVGPRsForWavesPerEU: 1
; AccumOffset: 4
; Occupancy: 8
; WaveLimiterHint : 0
; COMPUTE_PGM_RSRC2:SCRATCH_EN: 0
; COMPUTE_PGM_RSRC2:USER_SGPR: 2
; COMPUTE_PGM_RSRC2:TRAP_HANDLER: 0
; COMPUTE_PGM_RSRC2:TGID_X_EN: 1
; COMPUTE_PGM_RSRC2:TGID_Y_EN: 0
; COMPUTE_PGM_RSRC2:TGID_Z_EN: 0
; COMPUTE_PGM_RSRC2:TIDIG_COMP_CNT: 0
; COMPUTE_PGM_RSRC3_GFX90A:ACCUM_OFFSET: 0
; COMPUTE_PGM_RSRC3_GFX90A:TG_SPLIT: 0
	.section	.text._ZN7rocprim17ROCPRIM_400000_NS6detail17trampoline_kernelINS0_14default_configENS1_35adjacent_difference_config_selectorILb1EhEEZNS1_24adjacent_difference_implIS3_Lb1ELb0EPhN6thrust23THRUST_200600_302600_NS16discard_iteratorINS9_11use_defaultEEENS9_5minusIhEEEE10hipError_tPvRmT2_T3_mT4_P12ihipStream_tbEUlT_E_NS1_11comp_targetILNS1_3genE10ELNS1_11target_archE1201ELNS1_3gpuE5ELNS1_3repE0EEENS1_30default_config_static_selectorELNS0_4arch9wavefront6targetE1EEEvT1_,"axG",@progbits,_ZN7rocprim17ROCPRIM_400000_NS6detail17trampoline_kernelINS0_14default_configENS1_35adjacent_difference_config_selectorILb1EhEEZNS1_24adjacent_difference_implIS3_Lb1ELb0EPhN6thrust23THRUST_200600_302600_NS16discard_iteratorINS9_11use_defaultEEENS9_5minusIhEEEE10hipError_tPvRmT2_T3_mT4_P12ihipStream_tbEUlT_E_NS1_11comp_targetILNS1_3genE10ELNS1_11target_archE1201ELNS1_3gpuE5ELNS1_3repE0EEENS1_30default_config_static_selectorELNS0_4arch9wavefront6targetE1EEEvT1_,comdat
	.protected	_ZN7rocprim17ROCPRIM_400000_NS6detail17trampoline_kernelINS0_14default_configENS1_35adjacent_difference_config_selectorILb1EhEEZNS1_24adjacent_difference_implIS3_Lb1ELb0EPhN6thrust23THRUST_200600_302600_NS16discard_iteratorINS9_11use_defaultEEENS9_5minusIhEEEE10hipError_tPvRmT2_T3_mT4_P12ihipStream_tbEUlT_E_NS1_11comp_targetILNS1_3genE10ELNS1_11target_archE1201ELNS1_3gpuE5ELNS1_3repE0EEENS1_30default_config_static_selectorELNS0_4arch9wavefront6targetE1EEEvT1_ ; -- Begin function _ZN7rocprim17ROCPRIM_400000_NS6detail17trampoline_kernelINS0_14default_configENS1_35adjacent_difference_config_selectorILb1EhEEZNS1_24adjacent_difference_implIS3_Lb1ELb0EPhN6thrust23THRUST_200600_302600_NS16discard_iteratorINS9_11use_defaultEEENS9_5minusIhEEEE10hipError_tPvRmT2_T3_mT4_P12ihipStream_tbEUlT_E_NS1_11comp_targetILNS1_3genE10ELNS1_11target_archE1201ELNS1_3gpuE5ELNS1_3repE0EEENS1_30default_config_static_selectorELNS0_4arch9wavefront6targetE1EEEvT1_
	.globl	_ZN7rocprim17ROCPRIM_400000_NS6detail17trampoline_kernelINS0_14default_configENS1_35adjacent_difference_config_selectorILb1EhEEZNS1_24adjacent_difference_implIS3_Lb1ELb0EPhN6thrust23THRUST_200600_302600_NS16discard_iteratorINS9_11use_defaultEEENS9_5minusIhEEEE10hipError_tPvRmT2_T3_mT4_P12ihipStream_tbEUlT_E_NS1_11comp_targetILNS1_3genE10ELNS1_11target_archE1201ELNS1_3gpuE5ELNS1_3repE0EEENS1_30default_config_static_selectorELNS0_4arch9wavefront6targetE1EEEvT1_
	.p2align	8
	.type	_ZN7rocprim17ROCPRIM_400000_NS6detail17trampoline_kernelINS0_14default_configENS1_35adjacent_difference_config_selectorILb1EhEEZNS1_24adjacent_difference_implIS3_Lb1ELb0EPhN6thrust23THRUST_200600_302600_NS16discard_iteratorINS9_11use_defaultEEENS9_5minusIhEEEE10hipError_tPvRmT2_T3_mT4_P12ihipStream_tbEUlT_E_NS1_11comp_targetILNS1_3genE10ELNS1_11target_archE1201ELNS1_3gpuE5ELNS1_3repE0EEENS1_30default_config_static_selectorELNS0_4arch9wavefront6targetE1EEEvT1_,@function
_ZN7rocprim17ROCPRIM_400000_NS6detail17trampoline_kernelINS0_14default_configENS1_35adjacent_difference_config_selectorILb1EhEEZNS1_24adjacent_difference_implIS3_Lb1ELb0EPhN6thrust23THRUST_200600_302600_NS16discard_iteratorINS9_11use_defaultEEENS9_5minusIhEEEE10hipError_tPvRmT2_T3_mT4_P12ihipStream_tbEUlT_E_NS1_11comp_targetILNS1_3genE10ELNS1_11target_archE1201ELNS1_3gpuE5ELNS1_3repE0EEENS1_30default_config_static_selectorELNS0_4arch9wavefront6targetE1EEEvT1_: ; @_ZN7rocprim17ROCPRIM_400000_NS6detail17trampoline_kernelINS0_14default_configENS1_35adjacent_difference_config_selectorILb1EhEEZNS1_24adjacent_difference_implIS3_Lb1ELb0EPhN6thrust23THRUST_200600_302600_NS16discard_iteratorINS9_11use_defaultEEENS9_5minusIhEEEE10hipError_tPvRmT2_T3_mT4_P12ihipStream_tbEUlT_E_NS1_11comp_targetILNS1_3genE10ELNS1_11target_archE1201ELNS1_3gpuE5ELNS1_3repE0EEENS1_30default_config_static_selectorELNS0_4arch9wavefront6targetE1EEEvT1_
; %bb.0:
	.section	.rodata,"a",@progbits
	.p2align	6, 0x0
	.amdhsa_kernel _ZN7rocprim17ROCPRIM_400000_NS6detail17trampoline_kernelINS0_14default_configENS1_35adjacent_difference_config_selectorILb1EhEEZNS1_24adjacent_difference_implIS3_Lb1ELb0EPhN6thrust23THRUST_200600_302600_NS16discard_iteratorINS9_11use_defaultEEENS9_5minusIhEEEE10hipError_tPvRmT2_T3_mT4_P12ihipStream_tbEUlT_E_NS1_11comp_targetILNS1_3genE10ELNS1_11target_archE1201ELNS1_3gpuE5ELNS1_3repE0EEENS1_30default_config_static_selectorELNS0_4arch9wavefront6targetE1EEEvT1_
		.amdhsa_group_segment_fixed_size 0
		.amdhsa_private_segment_fixed_size 0
		.amdhsa_kernarg_size 64
		.amdhsa_user_sgpr_count 2
		.amdhsa_user_sgpr_dispatch_ptr 0
		.amdhsa_user_sgpr_queue_ptr 0
		.amdhsa_user_sgpr_kernarg_segment_ptr 1
		.amdhsa_user_sgpr_dispatch_id 0
		.amdhsa_user_sgpr_kernarg_preload_length 0
		.amdhsa_user_sgpr_kernarg_preload_offset 0
		.amdhsa_user_sgpr_private_segment_size 0
		.amdhsa_uses_dynamic_stack 0
		.amdhsa_enable_private_segment 0
		.amdhsa_system_sgpr_workgroup_id_x 1
		.amdhsa_system_sgpr_workgroup_id_y 0
		.amdhsa_system_sgpr_workgroup_id_z 0
		.amdhsa_system_sgpr_workgroup_info 0
		.amdhsa_system_vgpr_workitem_id 0
		.amdhsa_next_free_vgpr 1
		.amdhsa_next_free_sgpr 0
		.amdhsa_accum_offset 4
		.amdhsa_reserve_vcc 0
		.amdhsa_float_round_mode_32 0
		.amdhsa_float_round_mode_16_64 0
		.amdhsa_float_denorm_mode_32 3
		.amdhsa_float_denorm_mode_16_64 3
		.amdhsa_dx10_clamp 1
		.amdhsa_ieee_mode 1
		.amdhsa_fp16_overflow 0
		.amdhsa_tg_split 0
		.amdhsa_exception_fp_ieee_invalid_op 0
		.amdhsa_exception_fp_denorm_src 0
		.amdhsa_exception_fp_ieee_div_zero 0
		.amdhsa_exception_fp_ieee_overflow 0
		.amdhsa_exception_fp_ieee_underflow 0
		.amdhsa_exception_fp_ieee_inexact 0
		.amdhsa_exception_int_div_zero 0
	.end_amdhsa_kernel
	.section	.text._ZN7rocprim17ROCPRIM_400000_NS6detail17trampoline_kernelINS0_14default_configENS1_35adjacent_difference_config_selectorILb1EhEEZNS1_24adjacent_difference_implIS3_Lb1ELb0EPhN6thrust23THRUST_200600_302600_NS16discard_iteratorINS9_11use_defaultEEENS9_5minusIhEEEE10hipError_tPvRmT2_T3_mT4_P12ihipStream_tbEUlT_E_NS1_11comp_targetILNS1_3genE10ELNS1_11target_archE1201ELNS1_3gpuE5ELNS1_3repE0EEENS1_30default_config_static_selectorELNS0_4arch9wavefront6targetE1EEEvT1_,"axG",@progbits,_ZN7rocprim17ROCPRIM_400000_NS6detail17trampoline_kernelINS0_14default_configENS1_35adjacent_difference_config_selectorILb1EhEEZNS1_24adjacent_difference_implIS3_Lb1ELb0EPhN6thrust23THRUST_200600_302600_NS16discard_iteratorINS9_11use_defaultEEENS9_5minusIhEEEE10hipError_tPvRmT2_T3_mT4_P12ihipStream_tbEUlT_E_NS1_11comp_targetILNS1_3genE10ELNS1_11target_archE1201ELNS1_3gpuE5ELNS1_3repE0EEENS1_30default_config_static_selectorELNS0_4arch9wavefront6targetE1EEEvT1_,comdat
.Lfunc_end693:
	.size	_ZN7rocprim17ROCPRIM_400000_NS6detail17trampoline_kernelINS0_14default_configENS1_35adjacent_difference_config_selectorILb1EhEEZNS1_24adjacent_difference_implIS3_Lb1ELb0EPhN6thrust23THRUST_200600_302600_NS16discard_iteratorINS9_11use_defaultEEENS9_5minusIhEEEE10hipError_tPvRmT2_T3_mT4_P12ihipStream_tbEUlT_E_NS1_11comp_targetILNS1_3genE10ELNS1_11target_archE1201ELNS1_3gpuE5ELNS1_3repE0EEENS1_30default_config_static_selectorELNS0_4arch9wavefront6targetE1EEEvT1_, .Lfunc_end693-_ZN7rocprim17ROCPRIM_400000_NS6detail17trampoline_kernelINS0_14default_configENS1_35adjacent_difference_config_selectorILb1EhEEZNS1_24adjacent_difference_implIS3_Lb1ELb0EPhN6thrust23THRUST_200600_302600_NS16discard_iteratorINS9_11use_defaultEEENS9_5minusIhEEEE10hipError_tPvRmT2_T3_mT4_P12ihipStream_tbEUlT_E_NS1_11comp_targetILNS1_3genE10ELNS1_11target_archE1201ELNS1_3gpuE5ELNS1_3repE0EEENS1_30default_config_static_selectorELNS0_4arch9wavefront6targetE1EEEvT1_
                                        ; -- End function
	.section	.AMDGPU.csdata,"",@progbits
; Kernel info:
; codeLenInByte = 0
; NumSgprs: 6
; NumVgprs: 0
; NumAgprs: 0
; TotalNumVgprs: 0
; ScratchSize: 0
; MemoryBound: 0
; FloatMode: 240
; IeeeMode: 1
; LDSByteSize: 0 bytes/workgroup (compile time only)
; SGPRBlocks: 0
; VGPRBlocks: 0
; NumSGPRsForWavesPerEU: 6
; NumVGPRsForWavesPerEU: 1
; AccumOffset: 4
; Occupancy: 8
; WaveLimiterHint : 0
; COMPUTE_PGM_RSRC2:SCRATCH_EN: 0
; COMPUTE_PGM_RSRC2:USER_SGPR: 2
; COMPUTE_PGM_RSRC2:TRAP_HANDLER: 0
; COMPUTE_PGM_RSRC2:TGID_X_EN: 1
; COMPUTE_PGM_RSRC2:TGID_Y_EN: 0
; COMPUTE_PGM_RSRC2:TGID_Z_EN: 0
; COMPUTE_PGM_RSRC2:TIDIG_COMP_CNT: 0
; COMPUTE_PGM_RSRC3_GFX90A:ACCUM_OFFSET: 0
; COMPUTE_PGM_RSRC3_GFX90A:TG_SPLIT: 0
	.section	.text._ZN7rocprim17ROCPRIM_400000_NS6detail17trampoline_kernelINS0_14default_configENS1_35adjacent_difference_config_selectorILb1EhEEZNS1_24adjacent_difference_implIS3_Lb1ELb0EPhN6thrust23THRUST_200600_302600_NS16discard_iteratorINS9_11use_defaultEEENS9_5minusIhEEEE10hipError_tPvRmT2_T3_mT4_P12ihipStream_tbEUlT_E_NS1_11comp_targetILNS1_3genE5ELNS1_11target_archE942ELNS1_3gpuE9ELNS1_3repE0EEENS1_30default_config_static_selectorELNS0_4arch9wavefront6targetE1EEEvT1_,"axG",@progbits,_ZN7rocprim17ROCPRIM_400000_NS6detail17trampoline_kernelINS0_14default_configENS1_35adjacent_difference_config_selectorILb1EhEEZNS1_24adjacent_difference_implIS3_Lb1ELb0EPhN6thrust23THRUST_200600_302600_NS16discard_iteratorINS9_11use_defaultEEENS9_5minusIhEEEE10hipError_tPvRmT2_T3_mT4_P12ihipStream_tbEUlT_E_NS1_11comp_targetILNS1_3genE5ELNS1_11target_archE942ELNS1_3gpuE9ELNS1_3repE0EEENS1_30default_config_static_selectorELNS0_4arch9wavefront6targetE1EEEvT1_,comdat
	.protected	_ZN7rocprim17ROCPRIM_400000_NS6detail17trampoline_kernelINS0_14default_configENS1_35adjacent_difference_config_selectorILb1EhEEZNS1_24adjacent_difference_implIS3_Lb1ELb0EPhN6thrust23THRUST_200600_302600_NS16discard_iteratorINS9_11use_defaultEEENS9_5minusIhEEEE10hipError_tPvRmT2_T3_mT4_P12ihipStream_tbEUlT_E_NS1_11comp_targetILNS1_3genE5ELNS1_11target_archE942ELNS1_3gpuE9ELNS1_3repE0EEENS1_30default_config_static_selectorELNS0_4arch9wavefront6targetE1EEEvT1_ ; -- Begin function _ZN7rocprim17ROCPRIM_400000_NS6detail17trampoline_kernelINS0_14default_configENS1_35adjacent_difference_config_selectorILb1EhEEZNS1_24adjacent_difference_implIS3_Lb1ELb0EPhN6thrust23THRUST_200600_302600_NS16discard_iteratorINS9_11use_defaultEEENS9_5minusIhEEEE10hipError_tPvRmT2_T3_mT4_P12ihipStream_tbEUlT_E_NS1_11comp_targetILNS1_3genE5ELNS1_11target_archE942ELNS1_3gpuE9ELNS1_3repE0EEENS1_30default_config_static_selectorELNS0_4arch9wavefront6targetE1EEEvT1_
	.globl	_ZN7rocprim17ROCPRIM_400000_NS6detail17trampoline_kernelINS0_14default_configENS1_35adjacent_difference_config_selectorILb1EhEEZNS1_24adjacent_difference_implIS3_Lb1ELb0EPhN6thrust23THRUST_200600_302600_NS16discard_iteratorINS9_11use_defaultEEENS9_5minusIhEEEE10hipError_tPvRmT2_T3_mT4_P12ihipStream_tbEUlT_E_NS1_11comp_targetILNS1_3genE5ELNS1_11target_archE942ELNS1_3gpuE9ELNS1_3repE0EEENS1_30default_config_static_selectorELNS0_4arch9wavefront6targetE1EEEvT1_
	.p2align	8
	.type	_ZN7rocprim17ROCPRIM_400000_NS6detail17trampoline_kernelINS0_14default_configENS1_35adjacent_difference_config_selectorILb1EhEEZNS1_24adjacent_difference_implIS3_Lb1ELb0EPhN6thrust23THRUST_200600_302600_NS16discard_iteratorINS9_11use_defaultEEENS9_5minusIhEEEE10hipError_tPvRmT2_T3_mT4_P12ihipStream_tbEUlT_E_NS1_11comp_targetILNS1_3genE5ELNS1_11target_archE942ELNS1_3gpuE9ELNS1_3repE0EEENS1_30default_config_static_selectorELNS0_4arch9wavefront6targetE1EEEvT1_,@function
_ZN7rocprim17ROCPRIM_400000_NS6detail17trampoline_kernelINS0_14default_configENS1_35adjacent_difference_config_selectorILb1EhEEZNS1_24adjacent_difference_implIS3_Lb1ELb0EPhN6thrust23THRUST_200600_302600_NS16discard_iteratorINS9_11use_defaultEEENS9_5minusIhEEEE10hipError_tPvRmT2_T3_mT4_P12ihipStream_tbEUlT_E_NS1_11comp_targetILNS1_3genE5ELNS1_11target_archE942ELNS1_3gpuE9ELNS1_3repE0EEENS1_30default_config_static_selectorELNS0_4arch9wavefront6targetE1EEEvT1_: ; @_ZN7rocprim17ROCPRIM_400000_NS6detail17trampoline_kernelINS0_14default_configENS1_35adjacent_difference_config_selectorILb1EhEEZNS1_24adjacent_difference_implIS3_Lb1ELb0EPhN6thrust23THRUST_200600_302600_NS16discard_iteratorINS9_11use_defaultEEENS9_5minusIhEEEE10hipError_tPvRmT2_T3_mT4_P12ihipStream_tbEUlT_E_NS1_11comp_targetILNS1_3genE5ELNS1_11target_archE942ELNS1_3gpuE9ELNS1_3repE0EEENS1_30default_config_static_selectorELNS0_4arch9wavefront6targetE1EEEvT1_
; %bb.0:
	s_load_dwordx4 s[12:15], s[0:1], 0x0
	s_load_dwordx2 s[8:9], s[0:1], 0x20
	s_load_dwordx4 s[4:7], s[0:1], 0x30
	s_movk_i32 s0, 0xb80
	s_mul_i32 s17, s2, 0xb80
	s_waitcnt lgkmcnt(0)
	s_add_u32 s3, s12, s14
	s_addc_u32 s16, s13, s15
	s_add_u32 s1, 0, 0x590b2000
	s_addc_u32 s10, 0, 0
	s_add_i32 s10, s10, 0x1642c8
	s_mul_hi_u32 s18, s1, 0xfffff480
	s_sub_i32 s18, s18, s1
	s_mul_i32 s19, s10, 0xfffff480
	s_mul_i32 s11, s1, 0xfffff480
	s_add_i32 s18, s18, s19
	s_mul_hi_u32 s13, s10, s11
	s_mul_i32 s15, s10, s11
	s_mul_i32 s20, s1, s18
	s_mul_hi_u32 s11, s1, s11
	s_mul_hi_u32 s19, s1, s18
	s_add_u32 s11, s11, s20
	s_addc_u32 s19, 0, s19
	s_add_u32 s11, s11, s15
	s_mul_hi_u32 s20, s10, s18
	s_addc_u32 s11, s19, s13
	s_addc_u32 s13, s20, 0
	s_mul_i32 s15, s10, s18
	s_add_u32 s11, s11, s15
	v_mov_b32_e32 v1, s11
	s_addc_u32 s13, 0, s13
	v_add_co_u32_e32 v1, vcc, s1, v1
	s_cmp_lg_u64 vcc, 0
	s_addc_u32 s1, s10, s13
	v_readfirstlane_b32 s13, v1
	s_mul_i32 s11, s8, s1
	s_mul_hi_u32 s15, s8, s13
	s_mul_hi_u32 s10, s8, s1
	s_add_u32 s11, s15, s11
	s_addc_u32 s10, 0, s10
	s_mul_hi_u32 s18, s9, s13
	s_mul_i32 s13, s9, s13
	s_add_u32 s11, s11, s13
	s_mul_hi_u32 s15, s9, s1
	s_addc_u32 s10, s10, s18
	s_addc_u32 s11, s15, 0
	s_mul_i32 s1, s9, s1
	s_add_u32 s10, s10, s1
	s_addc_u32 s1, 0, s11
	s_add_u32 s11, s10, 1
	s_addc_u32 s13, s1, 0
	s_add_u32 s15, s10, 2
	s_mul_i32 s19, s1, 0xb80
	s_mul_hi_u32 s20, s10, 0xb80
	s_addc_u32 s18, s1, 0
	s_add_i32 s20, s20, s19
	s_mul_i32 s19, s10, 0xb80
	v_mov_b32_e32 v1, s19
	v_sub_co_u32_e32 v1, vcc, s8, v1
	s_cmp_lg_u64 vcc, 0
	s_subb_u32 s19, s9, s20
	v_subrev_co_u32_e32 v2, vcc, s0, v1
	s_cmp_lg_u64 vcc, 0
	s_subb_u32 s0, s19, 0
	v_readfirstlane_b32 s20, v2
	s_cmpk_gt_u32 s20, 0xb7f
	s_cselect_b32 s20, -1, 0
	s_cmp_eq_u32 s0, 0
	s_cselect_b32 s0, s20, -1
	s_cmp_lg_u32 s0, 0
	s_cselect_b32 s0, s15, s11
	s_cselect_b32 s11, s18, s13
	v_readfirstlane_b32 s13, v1
	s_cmpk_gt_u32 s13, 0xb7f
	s_cselect_b32 s13, -1, 0
	s_cmp_eq_u32 s19, 0
	s_cselect_b32 s13, s13, -1
	s_cmp_lg_u32 s13, 0
	s_cselect_b32 s1, s11, s1
	s_cselect_b32 s0, s0, s10
	s_mul_i32 s10, s1, 0xb80
	s_mul_hi_u32 s11, s0, 0xb80
	s_add_i32 s11, s11, s10
	s_mul_i32 s10, s0, 0xb80
	s_sub_u32 s10, s8, s10
	s_subb_u32 s11, s9, s11
	s_cmp_lg_u64 s[10:11], 0
	s_mov_b32 s12, 0
	s_cselect_b64 s[10:11], -1, 0
	v_cndmask_b32_e64 v2, 0, 1, s[10:11]
	v_mov_b32_e32 v3, s12
	v_lshl_add_u64 v[2:3], s[0:1], 0, v[2:3]
	s_add_u32 s10, s6, s2
	s_addc_u32 s11, s7, 0
	v_lshl_add_u64 v[8:9], v[2:3], 0, -1
	v_cmp_ge_u64_e64 s[0:1], s[10:11], v[8:9]
	s_movk_i32 s14, 0xf480
	s_mov_b64 s[12:13], -1
	s_and_b64 vcc, exec, s[0:1]
	s_cbranch_vccz .LBB694_48
; %bb.1:
	v_mul_lo_u32 v1, v8, s14
	v_add_u32_e32 v4, s8, v1
	s_add_u32 s12, s3, s17
	s_addc_u32 s13, s16, 0
	v_cmp_lt_u32_e32 vcc, v0, v4
                                        ; implicit-def: $vgpr1
	s_and_saveexec_b64 s[14:15], vcc
	s_cbranch_execz .LBB694_3
; %bb.2:
	global_load_ubyte v1, v0, s[12:13]
.LBB694_3:
	s_or_b64 exec, exec, s[14:15]
	v_or_b32_e32 v5, 0x80, v0
	v_cmp_lt_u32_e32 vcc, v5, v4
                                        ; implicit-def: $vgpr5
	s_and_saveexec_b64 s[14:15], vcc
	s_cbranch_execz .LBB694_5
; %bb.4:
	global_load_ubyte v5, v0, s[12:13] offset:128
.LBB694_5:
	s_or_b64 exec, exec, s[14:15]
	v_or_b32_e32 v6, 0x100, v0
	v_cmp_lt_u32_e32 vcc, v6, v4
                                        ; implicit-def: $vgpr6
	s_and_saveexec_b64 s[14:15], vcc
	s_cbranch_execz .LBB694_7
; %bb.6:
	global_load_ubyte v6, v0, s[12:13] offset:256
.LBB694_7:
	s_or_b64 exec, exec, s[14:15]
	v_or_b32_e32 v7, 0x180, v0
	v_cmp_lt_u32_e32 vcc, v7, v4
                                        ; implicit-def: $vgpr7
	s_and_saveexec_b64 s[14:15], vcc
	s_cbranch_execz .LBB694_9
; %bb.8:
	global_load_ubyte v7, v0, s[12:13] offset:384
.LBB694_9:
	s_or_b64 exec, exec, s[14:15]
	v_or_b32_e32 v10, 0x200, v0
	v_cmp_lt_u32_e32 vcc, v10, v4
                                        ; implicit-def: $vgpr10
	s_and_saveexec_b64 s[14:15], vcc
	s_cbranch_execz .LBB694_11
; %bb.10:
	global_load_ubyte v10, v0, s[12:13] offset:512
.LBB694_11:
	s_or_b64 exec, exec, s[14:15]
	v_or_b32_e32 v11, 0x280, v0
	v_cmp_lt_u32_e32 vcc, v11, v4
                                        ; implicit-def: $vgpr11
	s_and_saveexec_b64 s[14:15], vcc
	s_cbranch_execz .LBB694_13
; %bb.12:
	global_load_ubyte v11, v0, s[12:13] offset:640
.LBB694_13:
	s_or_b64 exec, exec, s[14:15]
	v_or_b32_e32 v12, 0x300, v0
	v_cmp_lt_u32_e32 vcc, v12, v4
                                        ; implicit-def: $vgpr12
	s_and_saveexec_b64 s[14:15], vcc
	s_cbranch_execz .LBB694_15
; %bb.14:
	global_load_ubyte v12, v0, s[12:13] offset:768
.LBB694_15:
	s_or_b64 exec, exec, s[14:15]
	v_or_b32_e32 v13, 0x380, v0
	v_cmp_lt_u32_e32 vcc, v13, v4
                                        ; implicit-def: $vgpr13
	s_and_saveexec_b64 s[14:15], vcc
	s_cbranch_execz .LBB694_17
; %bb.16:
	global_load_ubyte v13, v0, s[12:13] offset:896
.LBB694_17:
	s_or_b64 exec, exec, s[14:15]
	v_or_b32_e32 v14, 0x400, v0
	v_cmp_lt_u32_e32 vcc, v14, v4
                                        ; implicit-def: $vgpr14
	s_and_saveexec_b64 s[14:15], vcc
	s_cbranch_execz .LBB694_19
; %bb.18:
	global_load_ubyte v14, v0, s[12:13] offset:1024
.LBB694_19:
	s_or_b64 exec, exec, s[14:15]
	v_or_b32_e32 v15, 0x480, v0
	v_cmp_lt_u32_e32 vcc, v15, v4
                                        ; implicit-def: $vgpr15
	s_and_saveexec_b64 s[14:15], vcc
	s_cbranch_execz .LBB694_21
; %bb.20:
	global_load_ubyte v15, v0, s[12:13] offset:1152
.LBB694_21:
	s_or_b64 exec, exec, s[14:15]
	v_or_b32_e32 v16, 0x500, v0
	v_cmp_lt_u32_e32 vcc, v16, v4
                                        ; implicit-def: $vgpr16
	s_and_saveexec_b64 s[14:15], vcc
	s_cbranch_execz .LBB694_23
; %bb.22:
	global_load_ubyte v16, v0, s[12:13] offset:1280
.LBB694_23:
	s_or_b64 exec, exec, s[14:15]
	v_or_b32_e32 v17, 0x580, v0
	v_cmp_lt_u32_e32 vcc, v17, v4
                                        ; implicit-def: $vgpr17
	s_and_saveexec_b64 s[14:15], vcc
	s_cbranch_execz .LBB694_25
; %bb.24:
	global_load_ubyte v17, v0, s[12:13] offset:1408
.LBB694_25:
	s_or_b64 exec, exec, s[14:15]
	v_or_b32_e32 v18, 0x600, v0
	v_cmp_lt_u32_e32 vcc, v18, v4
                                        ; implicit-def: $vgpr18
	s_and_saveexec_b64 s[14:15], vcc
	s_cbranch_execz .LBB694_27
; %bb.26:
	global_load_ubyte v18, v0, s[12:13] offset:1536
.LBB694_27:
	s_or_b64 exec, exec, s[14:15]
	v_or_b32_e32 v19, 0x680, v0
	v_cmp_lt_u32_e32 vcc, v19, v4
                                        ; implicit-def: $vgpr19
	s_and_saveexec_b64 s[14:15], vcc
	s_cbranch_execz .LBB694_29
; %bb.28:
	global_load_ubyte v19, v0, s[12:13] offset:1664
.LBB694_29:
	s_or_b64 exec, exec, s[14:15]
	v_or_b32_e32 v20, 0x700, v0
	v_cmp_lt_u32_e32 vcc, v20, v4
                                        ; implicit-def: $vgpr20
	s_and_saveexec_b64 s[14:15], vcc
	s_cbranch_execz .LBB694_31
; %bb.30:
	global_load_ubyte v20, v0, s[12:13] offset:1792
.LBB694_31:
	s_or_b64 exec, exec, s[14:15]
	v_or_b32_e32 v21, 0x780, v0
	v_cmp_lt_u32_e32 vcc, v21, v4
                                        ; implicit-def: $vgpr21
	s_and_saveexec_b64 s[14:15], vcc
	s_cbranch_execz .LBB694_33
; %bb.32:
	global_load_ubyte v21, v0, s[12:13] offset:1920
.LBB694_33:
	s_or_b64 exec, exec, s[14:15]
	v_or_b32_e32 v22, 0x800, v0
	v_cmp_lt_u32_e32 vcc, v22, v4
                                        ; implicit-def: $vgpr22
	s_and_saveexec_b64 s[14:15], vcc
	s_cbranch_execz .LBB694_35
; %bb.34:
	global_load_ubyte v22, v0, s[12:13] offset:2048
.LBB694_35:
	s_or_b64 exec, exec, s[14:15]
	v_or_b32_e32 v23, 0x880, v0
	v_cmp_lt_u32_e32 vcc, v23, v4
                                        ; implicit-def: $vgpr23
	s_and_saveexec_b64 s[14:15], vcc
	s_cbranch_execz .LBB694_37
; %bb.36:
	global_load_ubyte v23, v0, s[12:13] offset:2176
.LBB694_37:
	s_or_b64 exec, exec, s[14:15]
	v_or_b32_e32 v24, 0x900, v0
	v_cmp_lt_u32_e32 vcc, v24, v4
                                        ; implicit-def: $vgpr24
	s_and_saveexec_b64 s[14:15], vcc
	s_cbranch_execz .LBB694_39
; %bb.38:
	global_load_ubyte v24, v0, s[12:13] offset:2304
.LBB694_39:
	s_or_b64 exec, exec, s[14:15]
	v_or_b32_e32 v25, 0x980, v0
	v_cmp_lt_u32_e32 vcc, v25, v4
                                        ; implicit-def: $vgpr25
	s_and_saveexec_b64 s[14:15], vcc
	s_cbranch_execz .LBB694_41
; %bb.40:
	global_load_ubyte v25, v0, s[12:13] offset:2432
.LBB694_41:
	s_or_b64 exec, exec, s[14:15]
	v_or_b32_e32 v26, 0xa00, v0
	v_cmp_lt_u32_e32 vcc, v26, v4
                                        ; implicit-def: $vgpr26
	s_and_saveexec_b64 s[14:15], vcc
	s_cbranch_execz .LBB694_43
; %bb.42:
	global_load_ubyte v26, v0, s[12:13] offset:2560
.LBB694_43:
	s_or_b64 exec, exec, s[14:15]
	v_or_b32_e32 v27, 0xa80, v0
	v_cmp_lt_u32_e32 vcc, v27, v4
                                        ; implicit-def: $vgpr27
	s_and_saveexec_b64 s[14:15], vcc
	s_cbranch_execz .LBB694_45
; %bb.44:
	global_load_ubyte v27, v0, s[12:13] offset:2688
.LBB694_45:
	s_or_b64 exec, exec, s[14:15]
	v_or_b32_e32 v28, 0xb00, v0
	v_cmp_lt_u32_e32 vcc, v28, v4
                                        ; implicit-def: $vgpr4
	s_and_saveexec_b64 s[14:15], vcc
	s_cbranch_execz .LBB694_47
; %bb.46:
	global_load_ubyte v4, v0, s[12:13] offset:2816
.LBB694_47:
	s_or_b64 exec, exec, s[14:15]
	s_mov_b64 s[12:13], 0
	s_waitcnt vmcnt(0)
	ds_write_b8 v0, v1
	ds_write_b8 v0, v5 offset:128
	ds_write_b8 v0, v6 offset:256
	;; [unrolled: 1-line block ×22, first 2 shown]
	s_waitcnt lgkmcnt(0)
	s_barrier
.LBB694_48:
	s_and_b64 vcc, exec, s[12:13]
	s_cbranch_vccz .LBB694_50
; %bb.49:
	s_add_u32 s12, s3, s17
	s_addc_u32 s13, s16, 0
	global_load_ubyte v1, v0, s[12:13]
	global_load_ubyte v4, v0, s[12:13] offset:128
	global_load_ubyte v5, v0, s[12:13] offset:256
	global_load_ubyte v6, v0, s[12:13] offset:384
	global_load_ubyte v7, v0, s[12:13] offset:512
	global_load_ubyte v10, v0, s[12:13] offset:640
	global_load_ubyte v11, v0, s[12:13] offset:768
	global_load_ubyte v12, v0, s[12:13] offset:896
	global_load_ubyte v13, v0, s[12:13] offset:1024
	global_load_ubyte v14, v0, s[12:13] offset:1152
	global_load_ubyte v15, v0, s[12:13] offset:1280
	global_load_ubyte v16, v0, s[12:13] offset:1408
	global_load_ubyte v17, v0, s[12:13] offset:1536
	global_load_ubyte v18, v0, s[12:13] offset:1664
	global_load_ubyte v19, v0, s[12:13] offset:1792
	global_load_ubyte v20, v0, s[12:13] offset:1920
	global_load_ubyte v21, v0, s[12:13] offset:2048
	global_load_ubyte v22, v0, s[12:13] offset:2176
	global_load_ubyte v23, v0, s[12:13] offset:2304
	global_load_ubyte v24, v0, s[12:13] offset:2432
	global_load_ubyte v25, v0, s[12:13] offset:2560
	global_load_ubyte v26, v0, s[12:13] offset:2688
	global_load_ubyte v27, v0, s[12:13] offset:2816
	s_waitcnt vmcnt(22)
	ds_write_b8 v0, v1
	s_waitcnt vmcnt(21)
	ds_write_b8 v0, v4 offset:128
	s_waitcnt vmcnt(20)
	ds_write_b8 v0, v5 offset:256
	;; [unrolled: 2-line block ×22, first 2 shown]
	s_waitcnt lgkmcnt(0)
	s_barrier
.LBB694_50:
	v_mul_u32_u24_e32 v1, 23, v0
	ds_read_u8 v12, v1
	ds_read_b64 v[6:7], v1 offset:1
	ds_read_u8 v11, v1 offset:9
	ds_read_b64 v[4:5], v1 offset:10
	ds_read_u8 v10, v1 offset:18
	ds_read_b32 v1, v1 offset:19
	s_cmp_eq_u64 s[10:11], 0
	s_waitcnt lgkmcnt(0)
	s_barrier
	s_cbranch_scc1 .LBB694_55
; %bb.51:
	s_add_u32 s3, s4, s6
	s_addc_u32 s4, s5, s7
	s_add_u32 s2, s3, s2
	s_addc_u32 s3, s4, 0
	v_mov_b32_e32 v13, 0
	global_load_ubyte v16, v13, s[2:3] offset:-1
	v_cmp_eq_u64_e32 vcc, s[10:11], v[8:9]
	s_cbranch_vccnz .LBB694_56
; %bb.52:
	v_lshrrev_b32_e32 v8, 24, v1
	ds_write_b8 v0, v8
	v_cmp_ne_u32_e32 vcc, 0, v0
	s_waitcnt vmcnt(0)
	v_mov_b32_e32 v8, v16
	s_waitcnt lgkmcnt(0)
	s_barrier
	s_and_saveexec_b64 s[2:3], vcc
	s_cbranch_execz .LBB694_54
; %bb.53:
	v_add_u32_e32 v8, -1, v0
	ds_read_u8 v8, v8
.LBB694_54:
	s_or_b64 exec, exec, s[2:3]
	v_lshrrev_b32_e32 v9, 16, v6
	v_lshlrev_b16_e32 v18, 8, v6
	v_lshlrev_b16_e32 v19, 8, v9
	v_mov_b32_e32 v22, 8
	v_lshrrev_b32_e32 v9, 16, v4
	v_lshrrev_b32_sdwa v18, v22, v18 dst_sel:BYTE_1 dst_unused:UNUSED_PAD src0_sel:DWORD src1_sel:DWORD
	v_lshrrev_b32_sdwa v19, v22, v19 dst_sel:BYTE_1 dst_unused:UNUSED_PAD src0_sel:DWORD src1_sel:DWORD
	v_lshlrev_b16_e32 v20, 8, v4
	v_lshlrev_b16_e32 v21, 8, v9
	v_or_b32_sdwa v18, v12, v18 dst_sel:DWORD dst_unused:UNUSED_PAD src0_sel:BYTE_0 src1_sel:DWORD
	v_or_b32_sdwa v19, v6, v19 dst_sel:WORD_1 dst_unused:UNUSED_PAD src0_sel:BYTE_1 src1_sel:DWORD
	s_mov_b32 s2, 0x2010007
	v_or_b32_sdwa v19, v18, v19 dst_sel:DWORD dst_unused:UNUSED_PAD src0_sel:WORD_0 src1_sel:DWORD
	v_lshrrev_b32_sdwa v18, v22, v20 dst_sel:BYTE_1 dst_unused:UNUSED_PAD src0_sel:DWORD src1_sel:DWORD
	v_lshrrev_b32_sdwa v20, v22, v21 dst_sel:BYTE_1 dst_unused:UNUSED_PAD src0_sel:DWORD src1_sel:DWORD
	v_perm_b32 v17, v6, v7, s2
	v_perm_b32 v15, v4, v5, s2
	s_mov_b32 s2, 0x2010004
	v_or_b32_sdwa v18, v11, v18 dst_sel:DWORD dst_unused:UNUSED_PAD src0_sel:BYTE_0 src1_sel:DWORD
	v_or_b32_sdwa v20, v4, v20 dst_sel:WORD_1 dst_unused:UNUSED_PAD src0_sel:BYTE_1 src1_sel:DWORD
	s_waitcnt lgkmcnt(0)
	v_sub_u16_e32 v13, v12, v8
	v_lshrrev_b32_e32 v14, 24, v7
	v_lshrrev_b32_e32 v9, 24, v5
	v_perm_b32 v8, v10, v1, s2
	v_or_b32_sdwa v18, v18, v20 dst_sel:DWORD dst_unused:UNUSED_PAD src0_sel:WORD_0 src1_sel:DWORD
	s_branch .LBB694_60
.LBB694_55:
                                        ; implicit-def: $vgpr15
                                        ; implicit-def: $vgpr18
                                        ; implicit-def: $vgpr17
                                        ; implicit-def: $vgpr19
                                        ; implicit-def: $vgpr8
                                        ; implicit-def: $vgpr13
                                        ; implicit-def: $vgpr14
                                        ; implicit-def: $vgpr9
	s_branch .LBB694_61
.LBB694_56:
                                        ; implicit-def: $vgpr15
                                        ; implicit-def: $vgpr18
                                        ; implicit-def: $vgpr17
                                        ; implicit-def: $vgpr19
                                        ; implicit-def: $vgpr8
                                        ; implicit-def: $vgpr13
                                        ; implicit-def: $vgpr14
                                        ; implicit-def: $vgpr9
	s_cbranch_execz .LBB694_60
; %bb.57:
	v_lshrrev_b32_e32 v8, 24, v1
	v_mul_u32_u24_e32 v13, 23, v0
	v_cmp_ne_u32_e32 vcc, 0, v0
	ds_write_b8 v0, v8
	s_waitcnt lgkmcnt(0)
	s_barrier
	s_and_saveexec_b64 s[2:3], vcc
	s_cbranch_execz .LBB694_59
; %bb.58:
	v_add_u32_e32 v8, -1, v0
	s_waitcnt vmcnt(0)
	ds_read_u8 v16, v8
.LBB694_59:
	s_or_b64 exec, exec, s[2:3]
	s_mul_i32 s2, s10, 0xfffff480
	s_add_i32 s2, s2, s8
	v_add_u32_e32 v25, 20, v13
	v_add_u32_e32 v26, 19, v13
	v_cmp_gt_u32_e32 vcc, s2, v25
	v_add_u32_e32 v27, 21, v13
	v_lshrrev_b16_e32 v9, 8, v1
	v_cndmask_b32_e32 v25, 0, v1, vcc
	v_cmp_gt_u32_e32 vcc, s2, v26
	v_add_u32_e32 v28, 22, v13
	v_lshrrev_b32_e32 v8, 16, v1
	v_cndmask_b32_e32 v26, 0, v10, vcc
	v_cmp_gt_u32_e32 vcc, s2, v27
	v_lshlrev_b16_e32 v25, 8, v25
	v_or_b32_sdwa v25, v26, v25 dst_sel:DWORD dst_unused:UNUSED_PAD src0_sel:BYTE_0 src1_sel:DWORD
	v_cndmask_b32_e32 v9, 0, v9, vcc
	v_cmp_gt_u32_e32 vcc, s2, v28
	v_lshrrev_b16_e32 v24, 8, v5
	v_add_u32_e32 v26, 17, v13
	v_cndmask_b32_e32 v8, 0, v8, vcc
	v_lshlrev_b16_e32 v8, 8, v8
	v_or_b32_sdwa v8, v9, v8 dst_sel:WORD_1 dst_unused:UNUSED_PAD src0_sel:DWORD src1_sel:DWORD
	v_add_u32_e32 v9, 18, v13
	v_or_b32_sdwa v8, v25, v8 dst_sel:DWORD dst_unused:UNUSED_PAD src0_sel:WORD_0 src1_sel:DWORD
	v_lshrrev_b32_e32 v25, 24, v5
	v_cmp_gt_u32_e32 vcc, s2, v9
	v_lshrrev_b32_e32 v23, 16, v5
	v_add_u32_e32 v27, 14, v13
	v_cndmask_b32_e32 v9, 0, v25, vcc
	v_add_u32_e32 v25, 16, v13
	v_cmp_gt_u32_e32 vcc, s2, v25
	v_lshrrev_b32_e32 v22, 24, v4
	v_add_u32_e32 v28, 15, v13
	v_cndmask_b32_e32 v24, 0, v24, vcc
	v_cmp_gt_u32_e32 vcc, s2, v26
	v_add_u32_e32 v29, 12, v13
	v_lshrrev_b16_e32 v21, 8, v4
	v_cndmask_b32_e32 v23, 0, v23, vcc
	v_cmp_gt_u32_e32 vcc, s2, v27
	v_add_u32_e32 v30, 13, v13
	v_lshrrev_b32_e32 v14, 16, v4
	v_cndmask_b32_e32 v22, 0, v22, vcc
	v_cmp_gt_u32_e32 vcc, s2, v28
	v_add_u32_e32 v31, 11, v13
	v_add_u32_e32 v32, 10, v13
	v_cndmask_b32_e32 v26, 0, v5, vcc
	v_cmp_gt_u32_e32 vcc, s2, v29
	v_lshrrev_b16_e32 v20, 8, v7
	v_lshrrev_b32_e32 v19, 16, v7
	v_cndmask_b32_e32 v21, 0, v21, vcc
	v_cmp_gt_u32_e32 vcc, s2, v30
	v_lshrrev_b32_e32 v30, 24, v7
	v_lshrrev_b32_e32 v18, 24, v6
	v_cndmask_b32_e32 v14, 0, v14, vcc
	v_cmp_gt_u32_e32 vcc, s2, v31
	v_lshlrev_b16_e32 v27, 8, v14
	v_add_u32_e32 v31, 8, v13
	v_cndmask_b32_e32 v14, 0, v4, vcc
	v_lshlrev_b16_e32 v28, 8, v14
	v_cmp_gt_u32_e32 vcc, s2, v32
	v_add_u32_e32 v14, 9, v13
	v_add_u32_e32 v32, 5, v13
	v_cndmask_b32_e32 v29, 0, v11, vcc
	v_cmp_gt_u32_e32 vcc, s2, v14
	v_add_u32_e32 v33, 6, v13
	v_mov_b32_e32 v25, 8
	v_cndmask_b32_e32 v14, 0, v30, vcc
	v_add_u32_e32 v30, 7, v13
	v_cmp_gt_u32_e32 vcc, s2, v30
	v_add_u32_e32 v34, 3, v13
	v_lshrrev_b16_e32 v17, 8, v6
	v_cndmask_b32_e32 v20, 0, v20, vcc
	v_cmp_gt_u32_e32 vcc, s2, v31
	v_add_u32_e32 v35, 4, v13
	v_lshrrev_b32_e32 v15, 16, v6
	v_cndmask_b32_e32 v19, 0, v19, vcc
	v_cmp_gt_u32_e32 vcc, s2, v32
	v_lshlrev_b16_e32 v19, 8, v19
	v_lshrrev_b32_sdwa v30, v25, v19 dst_sel:BYTE_1 dst_unused:UNUSED_PAD src0_sel:DWORD src1_sel:DWORD
	v_cndmask_b32_e32 v18, 0, v18, vcc
	v_cmp_gt_u32_e32 vcc, s2, v33
	v_add_u32_e32 v36, 2, v13
	v_add_u32_e32 v37, 1, v13
	v_cndmask_b32_e32 v19, 0, v7, vcc
	v_cmp_gt_u32_e32 vcc, s2, v34
	v_lshlrev_b16_e32 v19, 8, v19
	v_lshrrev_b32_sdwa v31, v25, v19 dst_sel:BYTE_1 dst_unused:UNUSED_PAD src0_sel:DWORD src1_sel:DWORD
	v_cndmask_b32_e32 v17, 0, v17, vcc
	v_cmp_gt_u32_e32 vcc, s2, v35
	v_lshlrev_b16_e32 v23, 8, v23
	v_lshlrev_b16_e32 v26, 8, v26
	v_cndmask_b32_e32 v15, 0, v15, vcc
	v_cmp_gt_u32_e32 vcc, s2, v36
	v_lshlrev_b16_e32 v15, 8, v15
	v_lshrrev_b32_sdwa v15, v25, v15 dst_sel:BYTE_1 dst_unused:UNUSED_PAD src0_sel:DWORD src1_sel:DWORD
	v_cndmask_b32_e32 v19, 0, v6, vcc
	v_cmp_gt_u32_e32 vcc, s2, v37
	v_lshlrev_b16_e32 v19, 8, v19
	v_or_b32_sdwa v15, v17, v15 dst_sel:WORD_1 dst_unused:UNUSED_PAD src0_sel:DWORD src1_sel:DWORD
	v_cndmask_b32_e32 v32, 0, v12, vcc
	v_cmp_gt_u32_e32 vcc, s2, v13
	v_lshrrev_b32_sdwa v23, v25, v23 dst_sel:BYTE_1 dst_unused:UNUSED_PAD src0_sel:DWORD src1_sel:DWORD
	v_lshrrev_b32_sdwa v26, v25, v26 dst_sel:BYTE_1 dst_unused:UNUSED_PAD src0_sel:DWORD src1_sel:DWORD
	s_waitcnt vmcnt(0) lgkmcnt(0)
	v_cndmask_b32_e32 v13, 0, v16, vcc
	v_lshrrev_b32_sdwa v16, v25, v19 dst_sel:BYTE_1 dst_unused:UNUSED_PAD src0_sel:DWORD src1_sel:DWORD
	v_sub_u16_e32 v13, v12, v13
	v_or_b32_sdwa v16, v32, v16 dst_sel:DWORD dst_unused:UNUSED_PAD src0_sel:BYTE_0 src1_sel:DWORD
	v_or_b32_sdwa v19, v16, v15 dst_sel:DWORD dst_unused:UNUSED_PAD src0_sel:WORD_0 src1_sel:DWORD
	v_or_b32_e32 v15, v18, v31
	v_or_b32_sdwa v16, v20, v30 dst_sel:WORD_1 dst_unused:UNUSED_PAD src0_sel:DWORD src1_sel:DWORD
	s_nop 0
	v_or_b32_sdwa v17, v15, v16 dst_sel:DWORD dst_unused:UNUSED_PAD src0_sel:WORD_0 src1_sel:DWORD
	v_lshrrev_b32_sdwa v15, v25, v28 dst_sel:BYTE_1 dst_unused:UNUSED_PAD src0_sel:DWORD src1_sel:DWORD
	v_lshrrev_b32_sdwa v16, v25, v27 dst_sel:BYTE_1 dst_unused:UNUSED_PAD src0_sel:DWORD src1_sel:DWORD
	v_or_b32_sdwa v15, v29, v15 dst_sel:DWORD dst_unused:UNUSED_PAD src0_sel:BYTE_0 src1_sel:DWORD
	v_or_b32_sdwa v16, v21, v16 dst_sel:WORD_1 dst_unused:UNUSED_PAD src0_sel:DWORD src1_sel:DWORD
	s_nop 0
	v_or_b32_sdwa v18, v15, v16 dst_sel:DWORD dst_unused:UNUSED_PAD src0_sel:WORD_0 src1_sel:DWORD
	v_or_b32_e32 v15, v22, v26
	v_or_b32_sdwa v16, v24, v23 dst_sel:WORD_1 dst_unused:UNUSED_PAD src0_sel:DWORD src1_sel:DWORD
	s_nop 0
	v_or_b32_sdwa v15, v15, v16 dst_sel:DWORD dst_unused:UNUSED_PAD src0_sel:WORD_0 src1_sel:DWORD
.LBB694_60:
	s_cbranch_execnz .LBB694_70
.LBB694_61:
	v_cmp_eq_u64_e32 vcc, 1, v[2:3]
	v_cmp_ne_u32_e64 s[2:3], 0, v0
	s_cbranch_vccnz .LBB694_65
; %bb.62:
	v_lshrrev_b32_e32 v3, 16, v6
	v_lshlrev_b16_e32 v2, 8, v6
	v_lshlrev_b16_e32 v8, 8, v3
	v_lshrrev_b32_e32 v3, 16, v4
	v_mov_b32_e32 v14, 8
	v_lshlrev_b16_e32 v13, 8, v3
	v_lshrrev_b32_e32 v3, 24, v1
	v_lshrrev_b32_sdwa v2, v14, v2 dst_sel:BYTE_1 dst_unused:UNUSED_PAD src0_sel:DWORD src1_sel:DWORD
	v_lshlrev_b16_e32 v9, 8, v4
	ds_write_b8 v0, v3
	v_or_b32_sdwa v3, v12, v2 dst_sel:DWORD dst_unused:UNUSED_PAD src0_sel:BYTE_0 src1_sel:DWORD
	v_lshrrev_b32_sdwa v2, v14, v8 dst_sel:BYTE_1 dst_unused:UNUSED_PAD src0_sel:DWORD src1_sel:DWORD
	s_mov_b32 s7, 0x2010007
	s_waitcnt vmcnt(0)
	v_or_b32_sdwa v16, v6, v2 dst_sel:WORD_1 dst_unused:UNUSED_PAD src0_sel:BYTE_1 src1_sel:DWORD
	v_lshrrev_b32_sdwa v2, v14, v9 dst_sel:BYTE_1 dst_unused:UNUSED_PAD src0_sel:DWORD src1_sel:DWORD
	s_mov_b32 s6, 0x2010004
	v_or_b32_sdwa v18, v11, v2 dst_sel:DWORD dst_unused:UNUSED_PAD src0_sel:BYTE_0 src1_sel:DWORD
	v_lshrrev_b32_sdwa v2, v14, v13 dst_sel:BYTE_1 dst_unused:UNUSED_PAD src0_sel:DWORD src1_sel:DWORD
	v_mov_b32_e32 v13, v12
	v_or_b32_sdwa v20, v4, v2 dst_sel:WORD_1 dst_unused:UNUSED_PAD src0_sel:BYTE_1 src1_sel:DWORD
	v_mov_b32_e32 v2, 0
	s_waitcnt lgkmcnt(0)
	s_barrier
	s_and_saveexec_b64 s[4:5], s[2:3]
	s_cbranch_execz .LBB694_64
; %bb.63:
	v_add_u32_e32 v2, -1, v0
	ds_read_u8 v2, v2
	s_waitcnt lgkmcnt(0)
	v_sub_u16_e32 v13, v12, v2
	v_mov_b32_e32 v2, v0
.LBB694_64:
	s_or_b64 exec, exec, s[4:5]
	v_perm_b32 v17, v6, v7, s7
	v_lshrrev_b32_e32 v14, 24, v7
	v_perm_b32 v15, v4, v5, s7
	v_lshrrev_b32_e32 v9, 24, v5
	v_perm_b32 v8, v10, v1, s6
	v_or_b32_sdwa v19, v3, v16 dst_sel:DWORD dst_unused:UNUSED_PAD src0_sel:WORD_0 src1_sel:DWORD
	v_or_b32_sdwa v18, v18, v20 dst_sel:DWORD dst_unused:UNUSED_PAD src0_sel:WORD_0 src1_sel:DWORD
	s_cbranch_execz .LBB694_66
	s_branch .LBB694_69
.LBB694_65:
                                        ; implicit-def: $vgpr15
                                        ; implicit-def: $vgpr18
                                        ; implicit-def: $vgpr17
                                        ; implicit-def: $vgpr19
                                        ; implicit-def: $vgpr8
                                        ; implicit-def: $vgpr13
                                        ; implicit-def: $vgpr14
                                        ; implicit-def: $vgpr9
                                        ; implicit-def: $vgpr2
.LBB694_66:
	v_lshrrev_b32_e32 v2, 24, v1
	ds_write_b8 v0, v2
	v_mad_u32_u24 v2, v0, 23, 20
	v_mad_u32_u24 v9, v0, 23, 19
	v_cmp_gt_u32_e32 vcc, s8, v2
	v_mad_u32_u24 v24, v0, 23, 21
	v_lshrrev_b16_e32 v8, 8, v1
	v_cndmask_b32_e32 v2, 0, v1, vcc
	v_cmp_gt_u32_e32 vcc, s8, v9
	v_mad_u32_u24 v25, v0, 23, 22
	v_lshrrev_b32_e32 v3, 16, v1
	v_cndmask_b32_e32 v9, 0, v10, vcc
	v_cmp_gt_u32_e32 vcc, s8, v24
	v_lshrrev_b16_e32 v22, 8, v5
	v_mad_u32_u24 v24, v0, 23, 17
	v_cndmask_b32_e32 v8, 0, v8, vcc
	v_cmp_gt_u32_e32 vcc, s8, v25
	v_lshrrev_b32_e32 v21, 16, v5
	v_mad_u32_u24 v25, v0, 23, 14
	v_cndmask_b32_e32 v3, 0, v3, vcc
	v_lshlrev_b16_e32 v3, 8, v3
	v_or_b32_sdwa v3, v8, v3 dst_sel:WORD_1 dst_unused:UNUSED_PAD src0_sel:DWORD src1_sel:DWORD
	v_mad_u32_u24 v8, v0, 23, 18
	v_cmp_gt_u32_e32 vcc, s8, v8
	v_mad_u32_u24 v8, v0, 23, 16
	v_cmp_gt_u32_e64 s[2:3], s8, v8
	v_lshrrev_b32_e32 v20, 24, v4
	v_mad_u32_u24 v26, v0, 23, 15
	v_cndmask_b32_e64 v8, 0, v22, s[2:3]
	v_cmp_gt_u32_e64 s[2:3], s8, v24
	v_mad_u32_u24 v27, v0, 23, 12
	v_lshrrev_b16_e32 v19, 8, v4
	v_cndmask_b32_e64 v21, 0, v21, s[2:3]
	v_cmp_gt_u32_e64 s[2:3], s8, v25
	v_mad_u32_u24 v28, v0, 23, 13
	v_lshrrev_b32_e32 v13, 16, v4
	v_cndmask_b32_e64 v25, 0, v20, s[2:3]
	v_cmp_gt_u32_e64 s[2:3], s8, v26
	v_mad_u32_u24 v29, v0, 23, 11
	v_lshrrev_b16_e32 v18, 8, v7
	v_cndmask_b32_e64 v20, 0, v5, s[2:3]
	v_cmp_gt_u32_e64 s[2:3], s8, v27
	v_lshrrev_b32_e32 v17, 16, v7
	v_mad_u32_u24 v30, v0, 23, 10
	v_cndmask_b32_e64 v19, 0, v19, s[2:3]
	v_cmp_gt_u32_e64 s[2:3], s8, v28
	v_mad_u32_u24 v28, v0, 23, 7
	v_cmp_gt_u32_e64 s[4:5], s8, v28
	v_cndmask_b32_e64 v13, 0, v13, s[2:3]
	v_cmp_gt_u32_e64 s[2:3], s8, v29
	v_mad_u32_u24 v29, v0, 23, 8
	v_lshlrev_b16_e32 v21, 8, v21
	v_mov_b32_e32 v22, 8
	v_cndmask_b32_e64 v18, 0, v18, s[4:5]
	v_cmp_gt_u32_e64 s[4:5], s8, v29
	v_lshrrev_b32_sdwa v24, v22, v21 dst_sel:BYTE_1 dst_unused:UNUSED_PAD src0_sel:DWORD src1_sel:DWORD
	v_lshlrev_b16_e32 v21, 8, v13
	v_cndmask_b32_e64 v13, 0, v4, s[2:3]
	v_cmp_gt_u32_e64 s[2:3], s8, v30
	v_mad_u32_u24 v30, v0, 23, 5
	v_cndmask_b32_e64 v17, 0, v17, s[4:5]
	s_waitcnt vmcnt(0)
	v_lshrrev_b32_e32 v16, 24, v6
	v_mad_u32_u24 v31, v0, 23, 6
	v_lshlrev_b16_e32 v17, 8, v17
	v_cmp_gt_u32_e64 s[4:5], s8, v30
	v_lshrrev_b32_sdwa v28, v22, v17 dst_sel:BYTE_1 dst_unused:UNUSED_PAD src0_sel:DWORD src1_sel:DWORD
	v_mad_u32_u24 v32, v0, 23, 3
	v_cndmask_b32_e64 v17, 0, v16, s[4:5]
	v_cmp_gt_u32_e64 s[4:5], s8, v31
	v_lshrrev_b16_e32 v15, 8, v6
	v_mad_u32_u24 v33, v0, 23, 4
	v_cndmask_b32_e64 v16, 0, v7, s[4:5]
	v_lshlrev_b16_e32 v16, 8, v16
	v_cmp_gt_u32_e64 s[4:5], s8, v32
	v_lshrrev_b32_e32 v14, 16, v6
	v_lshrrev_b32_sdwa v29, v22, v16 dst_sel:BYTE_1 dst_unused:UNUSED_PAD src0_sel:DWORD src1_sel:DWORD
	v_cndmask_b32_e64 v16, 0, v15, s[4:5]
	v_cmp_gt_u32_e64 s[4:5], s8, v33
	v_mad_u32_u24 v34, v0, 23, 2
	v_lshlrev_b16_e32 v20, 8, v20
	v_cndmask_b32_e64 v14, 0, v14, s[4:5]
	v_lshlrev_b16_e32 v14, 8, v14
	v_cmp_gt_u32_e64 s[4:5], s8, v34
	v_lshrrev_b32_sdwa v26, v22, v20 dst_sel:BYTE_1 dst_unused:UNUSED_PAD src0_sel:DWORD src1_sel:DWORD
	v_lshlrev_b16_e32 v20, 8, v13
	v_mad_u32_u24 v35, v0, 23, 1
	v_cndmask_b32_e64 v15, 0, v6, s[4:5]
	v_lshrrev_b32_sdwa v14, v22, v14 dst_sel:BYTE_1 dst_unused:UNUSED_PAD src0_sel:DWORD src1_sel:DWORD
	v_mul_u32_u24_e32 v23, 23, v0
	v_cndmask_b32_e64 v27, 0, v11, s[2:3]
	v_lshlrev_b16_e32 v15, 8, v15
	v_cmp_gt_u32_e64 s[4:5], s8, v35
	v_or_b32_sdwa v16, v16, v14 dst_sel:WORD_1 dst_unused:UNUSED_PAD src0_sel:DWORD src1_sel:DWORD
	v_lshrrev_b32_sdwa v14, v22, v20 dst_sel:BYTE_1 dst_unused:UNUSED_PAD src0_sel:DWORD src1_sel:DWORD
	v_lshlrev_b16_e32 v2, 8, v2
	v_mad_u32_u24 v13, v0, 23, 9
	v_cndmask_b32_e64 v30, 0, v12, s[4:5]
	v_cmp_ne_u32_e64 s[4:5], 0, v0
	v_cmp_gt_u32_e64 s[6:7], s8, v23
	v_lshrrev_b32_sdwa v15, v22, v15 dst_sel:BYTE_1 dst_unused:UNUSED_PAD src0_sel:DWORD src1_sel:DWORD
	v_or_b32_sdwa v20, v27, v14 dst_sel:DWORD dst_unused:UNUSED_PAD src0_sel:BYTE_0 src1_sel:DWORD
	v_lshrrev_b32_sdwa v14, v22, v21 dst_sel:BYTE_1 dst_unused:UNUSED_PAD src0_sel:DWORD src1_sel:DWORD
	v_or_b32_sdwa v2, v9, v2 dst_sel:DWORD dst_unused:UNUSED_PAD src0_sel:BYTE_0 src1_sel:DWORD
	v_lshrrev_b32_e32 v9, 24, v5
	v_cmp_gt_u32_e64 s[2:3], s8, v13
	v_lshrrev_b32_e32 v13, 24, v7
	s_and_b64 s[6:7], s[4:5], s[6:7]
	v_or_b32_sdwa v15, v30, v15 dst_sel:DWORD dst_unused:UNUSED_PAD src0_sel:BYTE_0 src1_sel:DWORD
	v_or_b32_e32 v17, v17, v29
	v_or_b32_sdwa v18, v18, v28 dst_sel:WORD_1 dst_unused:UNUSED_PAD src0_sel:DWORD src1_sel:DWORD
	v_or_b32_sdwa v21, v19, v14 dst_sel:WORD_1 dst_unused:UNUSED_PAD src0_sel:DWORD src1_sel:DWORD
	v_or_b32_e32 v22, v25, v26
	v_or_b32_sdwa v23, v8, v24 dst_sel:WORD_1 dst_unused:UNUSED_PAD src0_sel:DWORD src1_sel:DWORD
	s_waitcnt lgkmcnt(0)
	s_barrier
	s_and_saveexec_b64 s[4:5], s[6:7]
	s_cbranch_execz .LBB694_68
; %bb.67:
	v_add_u32_e32 v8, -1, v0
	ds_read_u8 v8, v8
	s_waitcnt lgkmcnt(0)
	v_sub_u16_e32 v12, v12, v8
.LBB694_68:
	s_or_b64 exec, exec, s[4:5]
	v_or_b32_sdwa v8, v2, v3 dst_sel:DWORD dst_unused:UNUSED_PAD src0_sel:WORD_0 src1_sel:DWORD
	v_cndmask_b32_e32 v9, 0, v9, vcc
	v_cndmask_b32_e64 v14, 0, v13, s[2:3]
	v_or_b32_sdwa v19, v15, v16 dst_sel:DWORD dst_unused:UNUSED_PAD src0_sel:WORD_0 src1_sel:DWORD
	v_or_b32_sdwa v17, v17, v18 dst_sel:DWORD dst_unused:UNUSED_PAD src0_sel:WORD_0 src1_sel:DWORD
	v_or_b32_sdwa v18, v20, v21 dst_sel:DWORD dst_unused:UNUSED_PAD src0_sel:WORD_0 src1_sel:DWORD
	v_or_b32_sdwa v15, v22, v23 dst_sel:DWORD dst_unused:UNUSED_PAD src0_sel:WORD_0 src1_sel:DWORD
	v_mov_b32_e32 v13, v12
	v_mov_b32_e32 v2, v0
.LBB694_69:
	v_mov_b32_e32 v0, v2
.LBB694_70:
	v_sub_u16_sdwa v2, v7, v17 dst_sel:BYTE_1 dst_unused:UNUSED_PAD src0_sel:BYTE_3 src1_sel:BYTE_3
	v_sub_u16_sdwa v3, v7, v17 dst_sel:DWORD dst_unused:UNUSED_PAD src0_sel:WORD_1 src1_sel:WORD_1
	v_or_b32_sdwa v2, v3, v2 dst_sel:WORD_1 dst_unused:UNUSED_PAD src0_sel:BYTE_0 src1_sel:DWORD
	v_sub_u16_sdwa v3, v7, v17 dst_sel:BYTE_1 dst_unused:UNUSED_PAD src0_sel:BYTE_1 src1_sel:BYTE_1
	v_sub_u16_e32 v7, v7, v17
	v_or_b32_sdwa v3, v7, v3 dst_sel:DWORD dst_unused:UNUSED_PAD src0_sel:BYTE_0 src1_sel:DWORD
	v_or_b32_sdwa v3, v3, v2 dst_sel:DWORD dst_unused:UNUSED_PAD src0_sel:WORD_0 src1_sel:DWORD
	v_sub_u16_sdwa v2, v6, v19 dst_sel:BYTE_1 dst_unused:UNUSED_PAD src0_sel:BYTE_3 src1_sel:BYTE_3
	v_sub_u16_sdwa v7, v6, v19 dst_sel:DWORD dst_unused:UNUSED_PAD src0_sel:WORD_1 src1_sel:WORD_1
	v_or_b32_sdwa v2, v7, v2 dst_sel:WORD_1 dst_unused:UNUSED_PAD src0_sel:BYTE_0 src1_sel:DWORD
	v_sub_u16_sdwa v7, v6, v19 dst_sel:BYTE_1 dst_unused:UNUSED_PAD src0_sel:BYTE_1 src1_sel:BYTE_1
	v_sub_u16_e32 v6, v6, v19
	v_or_b32_sdwa v6, v6, v7 dst_sel:DWORD dst_unused:UNUSED_PAD src0_sel:BYTE_0 src1_sel:DWORD
	v_or_b32_sdwa v2, v6, v2 dst_sel:DWORD dst_unused:UNUSED_PAD src0_sel:WORD_0 src1_sel:DWORD
	v_sub_u16_e32 v6, v11, v14
	v_sub_u16_sdwa v7, v5, v15 dst_sel:BYTE_1 dst_unused:UNUSED_PAD src0_sel:BYTE_3 src1_sel:BYTE_3
	v_sub_u16_sdwa v11, v5, v15 dst_sel:DWORD dst_unused:UNUSED_PAD src0_sel:WORD_1 src1_sel:WORD_1
	v_or_b32_sdwa v7, v11, v7 dst_sel:WORD_1 dst_unused:UNUSED_PAD src0_sel:BYTE_0 src1_sel:DWORD
	v_sub_u16_sdwa v11, v5, v15 dst_sel:BYTE_1 dst_unused:UNUSED_PAD src0_sel:BYTE_1 src1_sel:BYTE_1
	v_sub_u16_e32 v5, v5, v15
	v_or_b32_sdwa v5, v5, v11 dst_sel:DWORD dst_unused:UNUSED_PAD src0_sel:BYTE_0 src1_sel:DWORD
	v_or_b32_sdwa v5, v5, v7 dst_sel:DWORD dst_unused:UNUSED_PAD src0_sel:WORD_0 src1_sel:DWORD
	v_sub_u16_sdwa v7, v4, v18 dst_sel:BYTE_1 dst_unused:UNUSED_PAD src0_sel:BYTE_3 src1_sel:BYTE_3
	v_sub_u16_sdwa v11, v4, v18 dst_sel:DWORD dst_unused:UNUSED_PAD src0_sel:WORD_1 src1_sel:WORD_1
	v_or_b32_sdwa v7, v11, v7 dst_sel:WORD_1 dst_unused:UNUSED_PAD src0_sel:BYTE_0 src1_sel:DWORD
	v_sub_u16_sdwa v11, v4, v18 dst_sel:BYTE_1 dst_unused:UNUSED_PAD src0_sel:BYTE_1 src1_sel:BYTE_1
	v_sub_u16_e32 v4, v4, v18
	v_or_b32_sdwa v4, v4, v11 dst_sel:DWORD dst_unused:UNUSED_PAD src0_sel:BYTE_0 src1_sel:DWORD
	v_or_b32_sdwa v4, v4, v7 dst_sel:DWORD dst_unused:UNUSED_PAD src0_sel:WORD_0 src1_sel:DWORD
	v_sub_u16_e32 v7, v10, v9
	v_sub_u16_sdwa v9, v1, v8 dst_sel:BYTE_1 dst_unused:UNUSED_PAD src0_sel:BYTE_3 src1_sel:BYTE_3
	v_sub_u16_sdwa v10, v1, v8 dst_sel:DWORD dst_unused:UNUSED_PAD src0_sel:WORD_1 src1_sel:WORD_1
	v_or_b32_sdwa v9, v10, v9 dst_sel:WORD_1 dst_unused:UNUSED_PAD src0_sel:BYTE_0 src1_sel:DWORD
	v_sub_u16_sdwa v10, v1, v8 dst_sel:BYTE_1 dst_unused:UNUSED_PAD src0_sel:BYTE_1 src1_sel:BYTE_1
	v_sub_u16_e32 v1, v1, v8
	v_or_b32_sdwa v1, v1, v10 dst_sel:DWORD dst_unused:UNUSED_PAD src0_sel:BYTE_0 src1_sel:DWORD
	v_mul_u32_u24_e32 v0, 23, v0
	s_mov_b64 s[2:3], -1
	s_and_b64 vcc, exec, s[0:1]
	v_or_b32_sdwa v1, v1, v9 dst_sel:DWORD dst_unused:UNUSED_PAD src0_sel:WORD_0 src1_sel:DWORD
	s_barrier
	ds_write_b8 v0, v13
	ds_write_b64 v0, v[2:3] offset:1
	ds_write_b8 v0, v6 offset:9
	ds_write_b64 v0, v[4:5] offset:10
	ds_write_b8 v0, v7 offset:18
	ds_write_b32 v0, v1 offset:19
	s_waitcnt lgkmcnt(0)
	s_cbranch_vccnz .LBB694_73
; %bb.71:
	s_andn2_b64 vcc, exec, s[2:3]
	s_cbranch_vccz .LBB694_74
.LBB694_72:
	s_endpgm
.LBB694_73:
	s_barrier
	s_cbranch_execnz .LBB694_72
.LBB694_74:
	s_barrier
	s_endpgm
	.section	.rodata,"a",@progbits
	.p2align	6, 0x0
	.amdhsa_kernel _ZN7rocprim17ROCPRIM_400000_NS6detail17trampoline_kernelINS0_14default_configENS1_35adjacent_difference_config_selectorILb1EhEEZNS1_24adjacent_difference_implIS3_Lb1ELb0EPhN6thrust23THRUST_200600_302600_NS16discard_iteratorINS9_11use_defaultEEENS9_5minusIhEEEE10hipError_tPvRmT2_T3_mT4_P12ihipStream_tbEUlT_E_NS1_11comp_targetILNS1_3genE5ELNS1_11target_archE942ELNS1_3gpuE9ELNS1_3repE0EEENS1_30default_config_static_selectorELNS0_4arch9wavefront6targetE1EEEvT1_
		.amdhsa_group_segment_fixed_size 2944
		.amdhsa_private_segment_fixed_size 0
		.amdhsa_kernarg_size 64
		.amdhsa_user_sgpr_count 2
		.amdhsa_user_sgpr_dispatch_ptr 0
		.amdhsa_user_sgpr_queue_ptr 0
		.amdhsa_user_sgpr_kernarg_segment_ptr 1
		.amdhsa_user_sgpr_dispatch_id 0
		.amdhsa_user_sgpr_kernarg_preload_length 0
		.amdhsa_user_sgpr_kernarg_preload_offset 0
		.amdhsa_user_sgpr_private_segment_size 0
		.amdhsa_uses_dynamic_stack 0
		.amdhsa_enable_private_segment 0
		.amdhsa_system_sgpr_workgroup_id_x 1
		.amdhsa_system_sgpr_workgroup_id_y 0
		.amdhsa_system_sgpr_workgroup_id_z 0
		.amdhsa_system_sgpr_workgroup_info 0
		.amdhsa_system_vgpr_workitem_id 0
		.amdhsa_next_free_vgpr 38
		.amdhsa_next_free_sgpr 21
		.amdhsa_accum_offset 40
		.amdhsa_reserve_vcc 1
		.amdhsa_float_round_mode_32 0
		.amdhsa_float_round_mode_16_64 0
		.amdhsa_float_denorm_mode_32 3
		.amdhsa_float_denorm_mode_16_64 3
		.amdhsa_dx10_clamp 1
		.amdhsa_ieee_mode 1
		.amdhsa_fp16_overflow 0
		.amdhsa_tg_split 0
		.amdhsa_exception_fp_ieee_invalid_op 0
		.amdhsa_exception_fp_denorm_src 0
		.amdhsa_exception_fp_ieee_div_zero 0
		.amdhsa_exception_fp_ieee_overflow 0
		.amdhsa_exception_fp_ieee_underflow 0
		.amdhsa_exception_fp_ieee_inexact 0
		.amdhsa_exception_int_div_zero 0
	.end_amdhsa_kernel
	.section	.text._ZN7rocprim17ROCPRIM_400000_NS6detail17trampoline_kernelINS0_14default_configENS1_35adjacent_difference_config_selectorILb1EhEEZNS1_24adjacent_difference_implIS3_Lb1ELb0EPhN6thrust23THRUST_200600_302600_NS16discard_iteratorINS9_11use_defaultEEENS9_5minusIhEEEE10hipError_tPvRmT2_T3_mT4_P12ihipStream_tbEUlT_E_NS1_11comp_targetILNS1_3genE5ELNS1_11target_archE942ELNS1_3gpuE9ELNS1_3repE0EEENS1_30default_config_static_selectorELNS0_4arch9wavefront6targetE1EEEvT1_,"axG",@progbits,_ZN7rocprim17ROCPRIM_400000_NS6detail17trampoline_kernelINS0_14default_configENS1_35adjacent_difference_config_selectorILb1EhEEZNS1_24adjacent_difference_implIS3_Lb1ELb0EPhN6thrust23THRUST_200600_302600_NS16discard_iteratorINS9_11use_defaultEEENS9_5minusIhEEEE10hipError_tPvRmT2_T3_mT4_P12ihipStream_tbEUlT_E_NS1_11comp_targetILNS1_3genE5ELNS1_11target_archE942ELNS1_3gpuE9ELNS1_3repE0EEENS1_30default_config_static_selectorELNS0_4arch9wavefront6targetE1EEEvT1_,comdat
.Lfunc_end694:
	.size	_ZN7rocprim17ROCPRIM_400000_NS6detail17trampoline_kernelINS0_14default_configENS1_35adjacent_difference_config_selectorILb1EhEEZNS1_24adjacent_difference_implIS3_Lb1ELb0EPhN6thrust23THRUST_200600_302600_NS16discard_iteratorINS9_11use_defaultEEENS9_5minusIhEEEE10hipError_tPvRmT2_T3_mT4_P12ihipStream_tbEUlT_E_NS1_11comp_targetILNS1_3genE5ELNS1_11target_archE942ELNS1_3gpuE9ELNS1_3repE0EEENS1_30default_config_static_selectorELNS0_4arch9wavefront6targetE1EEEvT1_, .Lfunc_end694-_ZN7rocprim17ROCPRIM_400000_NS6detail17trampoline_kernelINS0_14default_configENS1_35adjacent_difference_config_selectorILb1EhEEZNS1_24adjacent_difference_implIS3_Lb1ELb0EPhN6thrust23THRUST_200600_302600_NS16discard_iteratorINS9_11use_defaultEEENS9_5minusIhEEEE10hipError_tPvRmT2_T3_mT4_P12ihipStream_tbEUlT_E_NS1_11comp_targetILNS1_3genE5ELNS1_11target_archE942ELNS1_3gpuE9ELNS1_3repE0EEENS1_30default_config_static_selectorELNS0_4arch9wavefront6targetE1EEEvT1_
                                        ; -- End function
	.section	.AMDGPU.csdata,"",@progbits
; Kernel info:
; codeLenInByte = 4356
; NumSgprs: 27
; NumVgprs: 38
; NumAgprs: 0
; TotalNumVgprs: 38
; ScratchSize: 0
; MemoryBound: 0
; FloatMode: 240
; IeeeMode: 1
; LDSByteSize: 2944 bytes/workgroup (compile time only)
; SGPRBlocks: 3
; VGPRBlocks: 4
; NumSGPRsForWavesPerEU: 27
; NumVGPRsForWavesPerEU: 38
; AccumOffset: 40
; Occupancy: 8
; WaveLimiterHint : 1
; COMPUTE_PGM_RSRC2:SCRATCH_EN: 0
; COMPUTE_PGM_RSRC2:USER_SGPR: 2
; COMPUTE_PGM_RSRC2:TRAP_HANDLER: 0
; COMPUTE_PGM_RSRC2:TGID_X_EN: 1
; COMPUTE_PGM_RSRC2:TGID_Y_EN: 0
; COMPUTE_PGM_RSRC2:TGID_Z_EN: 0
; COMPUTE_PGM_RSRC2:TIDIG_COMP_CNT: 0
; COMPUTE_PGM_RSRC3_GFX90A:ACCUM_OFFSET: 9
; COMPUTE_PGM_RSRC3_GFX90A:TG_SPLIT: 0
	.section	.text._ZN7rocprim17ROCPRIM_400000_NS6detail17trampoline_kernelINS0_14default_configENS1_35adjacent_difference_config_selectorILb1EhEEZNS1_24adjacent_difference_implIS3_Lb1ELb0EPhN6thrust23THRUST_200600_302600_NS16discard_iteratorINS9_11use_defaultEEENS9_5minusIhEEEE10hipError_tPvRmT2_T3_mT4_P12ihipStream_tbEUlT_E_NS1_11comp_targetILNS1_3genE4ELNS1_11target_archE910ELNS1_3gpuE8ELNS1_3repE0EEENS1_30default_config_static_selectorELNS0_4arch9wavefront6targetE1EEEvT1_,"axG",@progbits,_ZN7rocprim17ROCPRIM_400000_NS6detail17trampoline_kernelINS0_14default_configENS1_35adjacent_difference_config_selectorILb1EhEEZNS1_24adjacent_difference_implIS3_Lb1ELb0EPhN6thrust23THRUST_200600_302600_NS16discard_iteratorINS9_11use_defaultEEENS9_5minusIhEEEE10hipError_tPvRmT2_T3_mT4_P12ihipStream_tbEUlT_E_NS1_11comp_targetILNS1_3genE4ELNS1_11target_archE910ELNS1_3gpuE8ELNS1_3repE0EEENS1_30default_config_static_selectorELNS0_4arch9wavefront6targetE1EEEvT1_,comdat
	.protected	_ZN7rocprim17ROCPRIM_400000_NS6detail17trampoline_kernelINS0_14default_configENS1_35adjacent_difference_config_selectorILb1EhEEZNS1_24adjacent_difference_implIS3_Lb1ELb0EPhN6thrust23THRUST_200600_302600_NS16discard_iteratorINS9_11use_defaultEEENS9_5minusIhEEEE10hipError_tPvRmT2_T3_mT4_P12ihipStream_tbEUlT_E_NS1_11comp_targetILNS1_3genE4ELNS1_11target_archE910ELNS1_3gpuE8ELNS1_3repE0EEENS1_30default_config_static_selectorELNS0_4arch9wavefront6targetE1EEEvT1_ ; -- Begin function _ZN7rocprim17ROCPRIM_400000_NS6detail17trampoline_kernelINS0_14default_configENS1_35adjacent_difference_config_selectorILb1EhEEZNS1_24adjacent_difference_implIS3_Lb1ELb0EPhN6thrust23THRUST_200600_302600_NS16discard_iteratorINS9_11use_defaultEEENS9_5minusIhEEEE10hipError_tPvRmT2_T3_mT4_P12ihipStream_tbEUlT_E_NS1_11comp_targetILNS1_3genE4ELNS1_11target_archE910ELNS1_3gpuE8ELNS1_3repE0EEENS1_30default_config_static_selectorELNS0_4arch9wavefront6targetE1EEEvT1_
	.globl	_ZN7rocprim17ROCPRIM_400000_NS6detail17trampoline_kernelINS0_14default_configENS1_35adjacent_difference_config_selectorILb1EhEEZNS1_24adjacent_difference_implIS3_Lb1ELb0EPhN6thrust23THRUST_200600_302600_NS16discard_iteratorINS9_11use_defaultEEENS9_5minusIhEEEE10hipError_tPvRmT2_T3_mT4_P12ihipStream_tbEUlT_E_NS1_11comp_targetILNS1_3genE4ELNS1_11target_archE910ELNS1_3gpuE8ELNS1_3repE0EEENS1_30default_config_static_selectorELNS0_4arch9wavefront6targetE1EEEvT1_
	.p2align	8
	.type	_ZN7rocprim17ROCPRIM_400000_NS6detail17trampoline_kernelINS0_14default_configENS1_35adjacent_difference_config_selectorILb1EhEEZNS1_24adjacent_difference_implIS3_Lb1ELb0EPhN6thrust23THRUST_200600_302600_NS16discard_iteratorINS9_11use_defaultEEENS9_5minusIhEEEE10hipError_tPvRmT2_T3_mT4_P12ihipStream_tbEUlT_E_NS1_11comp_targetILNS1_3genE4ELNS1_11target_archE910ELNS1_3gpuE8ELNS1_3repE0EEENS1_30default_config_static_selectorELNS0_4arch9wavefront6targetE1EEEvT1_,@function
_ZN7rocprim17ROCPRIM_400000_NS6detail17trampoline_kernelINS0_14default_configENS1_35adjacent_difference_config_selectorILb1EhEEZNS1_24adjacent_difference_implIS3_Lb1ELb0EPhN6thrust23THRUST_200600_302600_NS16discard_iteratorINS9_11use_defaultEEENS9_5minusIhEEEE10hipError_tPvRmT2_T3_mT4_P12ihipStream_tbEUlT_E_NS1_11comp_targetILNS1_3genE4ELNS1_11target_archE910ELNS1_3gpuE8ELNS1_3repE0EEENS1_30default_config_static_selectorELNS0_4arch9wavefront6targetE1EEEvT1_: ; @_ZN7rocprim17ROCPRIM_400000_NS6detail17trampoline_kernelINS0_14default_configENS1_35adjacent_difference_config_selectorILb1EhEEZNS1_24adjacent_difference_implIS3_Lb1ELb0EPhN6thrust23THRUST_200600_302600_NS16discard_iteratorINS9_11use_defaultEEENS9_5minusIhEEEE10hipError_tPvRmT2_T3_mT4_P12ihipStream_tbEUlT_E_NS1_11comp_targetILNS1_3genE4ELNS1_11target_archE910ELNS1_3gpuE8ELNS1_3repE0EEENS1_30default_config_static_selectorELNS0_4arch9wavefront6targetE1EEEvT1_
; %bb.0:
	.section	.rodata,"a",@progbits
	.p2align	6, 0x0
	.amdhsa_kernel _ZN7rocprim17ROCPRIM_400000_NS6detail17trampoline_kernelINS0_14default_configENS1_35adjacent_difference_config_selectorILb1EhEEZNS1_24adjacent_difference_implIS3_Lb1ELb0EPhN6thrust23THRUST_200600_302600_NS16discard_iteratorINS9_11use_defaultEEENS9_5minusIhEEEE10hipError_tPvRmT2_T3_mT4_P12ihipStream_tbEUlT_E_NS1_11comp_targetILNS1_3genE4ELNS1_11target_archE910ELNS1_3gpuE8ELNS1_3repE0EEENS1_30default_config_static_selectorELNS0_4arch9wavefront6targetE1EEEvT1_
		.amdhsa_group_segment_fixed_size 0
		.amdhsa_private_segment_fixed_size 0
		.amdhsa_kernarg_size 64
		.amdhsa_user_sgpr_count 2
		.amdhsa_user_sgpr_dispatch_ptr 0
		.amdhsa_user_sgpr_queue_ptr 0
		.amdhsa_user_sgpr_kernarg_segment_ptr 1
		.amdhsa_user_sgpr_dispatch_id 0
		.amdhsa_user_sgpr_kernarg_preload_length 0
		.amdhsa_user_sgpr_kernarg_preload_offset 0
		.amdhsa_user_sgpr_private_segment_size 0
		.amdhsa_uses_dynamic_stack 0
		.amdhsa_enable_private_segment 0
		.amdhsa_system_sgpr_workgroup_id_x 1
		.amdhsa_system_sgpr_workgroup_id_y 0
		.amdhsa_system_sgpr_workgroup_id_z 0
		.amdhsa_system_sgpr_workgroup_info 0
		.amdhsa_system_vgpr_workitem_id 0
		.amdhsa_next_free_vgpr 1
		.amdhsa_next_free_sgpr 0
		.amdhsa_accum_offset 4
		.amdhsa_reserve_vcc 0
		.amdhsa_float_round_mode_32 0
		.amdhsa_float_round_mode_16_64 0
		.amdhsa_float_denorm_mode_32 3
		.amdhsa_float_denorm_mode_16_64 3
		.amdhsa_dx10_clamp 1
		.amdhsa_ieee_mode 1
		.amdhsa_fp16_overflow 0
		.amdhsa_tg_split 0
		.amdhsa_exception_fp_ieee_invalid_op 0
		.amdhsa_exception_fp_denorm_src 0
		.amdhsa_exception_fp_ieee_div_zero 0
		.amdhsa_exception_fp_ieee_overflow 0
		.amdhsa_exception_fp_ieee_underflow 0
		.amdhsa_exception_fp_ieee_inexact 0
		.amdhsa_exception_int_div_zero 0
	.end_amdhsa_kernel
	.section	.text._ZN7rocprim17ROCPRIM_400000_NS6detail17trampoline_kernelINS0_14default_configENS1_35adjacent_difference_config_selectorILb1EhEEZNS1_24adjacent_difference_implIS3_Lb1ELb0EPhN6thrust23THRUST_200600_302600_NS16discard_iteratorINS9_11use_defaultEEENS9_5minusIhEEEE10hipError_tPvRmT2_T3_mT4_P12ihipStream_tbEUlT_E_NS1_11comp_targetILNS1_3genE4ELNS1_11target_archE910ELNS1_3gpuE8ELNS1_3repE0EEENS1_30default_config_static_selectorELNS0_4arch9wavefront6targetE1EEEvT1_,"axG",@progbits,_ZN7rocprim17ROCPRIM_400000_NS6detail17trampoline_kernelINS0_14default_configENS1_35adjacent_difference_config_selectorILb1EhEEZNS1_24adjacent_difference_implIS3_Lb1ELb0EPhN6thrust23THRUST_200600_302600_NS16discard_iteratorINS9_11use_defaultEEENS9_5minusIhEEEE10hipError_tPvRmT2_T3_mT4_P12ihipStream_tbEUlT_E_NS1_11comp_targetILNS1_3genE4ELNS1_11target_archE910ELNS1_3gpuE8ELNS1_3repE0EEENS1_30default_config_static_selectorELNS0_4arch9wavefront6targetE1EEEvT1_,comdat
.Lfunc_end695:
	.size	_ZN7rocprim17ROCPRIM_400000_NS6detail17trampoline_kernelINS0_14default_configENS1_35adjacent_difference_config_selectorILb1EhEEZNS1_24adjacent_difference_implIS3_Lb1ELb0EPhN6thrust23THRUST_200600_302600_NS16discard_iteratorINS9_11use_defaultEEENS9_5minusIhEEEE10hipError_tPvRmT2_T3_mT4_P12ihipStream_tbEUlT_E_NS1_11comp_targetILNS1_3genE4ELNS1_11target_archE910ELNS1_3gpuE8ELNS1_3repE0EEENS1_30default_config_static_selectorELNS0_4arch9wavefront6targetE1EEEvT1_, .Lfunc_end695-_ZN7rocprim17ROCPRIM_400000_NS6detail17trampoline_kernelINS0_14default_configENS1_35adjacent_difference_config_selectorILb1EhEEZNS1_24adjacent_difference_implIS3_Lb1ELb0EPhN6thrust23THRUST_200600_302600_NS16discard_iteratorINS9_11use_defaultEEENS9_5minusIhEEEE10hipError_tPvRmT2_T3_mT4_P12ihipStream_tbEUlT_E_NS1_11comp_targetILNS1_3genE4ELNS1_11target_archE910ELNS1_3gpuE8ELNS1_3repE0EEENS1_30default_config_static_selectorELNS0_4arch9wavefront6targetE1EEEvT1_
                                        ; -- End function
	.section	.AMDGPU.csdata,"",@progbits
; Kernel info:
; codeLenInByte = 0
; NumSgprs: 6
; NumVgprs: 0
; NumAgprs: 0
; TotalNumVgprs: 0
; ScratchSize: 0
; MemoryBound: 0
; FloatMode: 240
; IeeeMode: 1
; LDSByteSize: 0 bytes/workgroup (compile time only)
; SGPRBlocks: 0
; VGPRBlocks: 0
; NumSGPRsForWavesPerEU: 6
; NumVGPRsForWavesPerEU: 1
; AccumOffset: 4
; Occupancy: 8
; WaveLimiterHint : 0
; COMPUTE_PGM_RSRC2:SCRATCH_EN: 0
; COMPUTE_PGM_RSRC2:USER_SGPR: 2
; COMPUTE_PGM_RSRC2:TRAP_HANDLER: 0
; COMPUTE_PGM_RSRC2:TGID_X_EN: 1
; COMPUTE_PGM_RSRC2:TGID_Y_EN: 0
; COMPUTE_PGM_RSRC2:TGID_Z_EN: 0
; COMPUTE_PGM_RSRC2:TIDIG_COMP_CNT: 0
; COMPUTE_PGM_RSRC3_GFX90A:ACCUM_OFFSET: 0
; COMPUTE_PGM_RSRC3_GFX90A:TG_SPLIT: 0
	.section	.text._ZN7rocprim17ROCPRIM_400000_NS6detail17trampoline_kernelINS0_14default_configENS1_35adjacent_difference_config_selectorILb1EhEEZNS1_24adjacent_difference_implIS3_Lb1ELb0EPhN6thrust23THRUST_200600_302600_NS16discard_iteratorINS9_11use_defaultEEENS9_5minusIhEEEE10hipError_tPvRmT2_T3_mT4_P12ihipStream_tbEUlT_E_NS1_11comp_targetILNS1_3genE3ELNS1_11target_archE908ELNS1_3gpuE7ELNS1_3repE0EEENS1_30default_config_static_selectorELNS0_4arch9wavefront6targetE1EEEvT1_,"axG",@progbits,_ZN7rocprim17ROCPRIM_400000_NS6detail17trampoline_kernelINS0_14default_configENS1_35adjacent_difference_config_selectorILb1EhEEZNS1_24adjacent_difference_implIS3_Lb1ELb0EPhN6thrust23THRUST_200600_302600_NS16discard_iteratorINS9_11use_defaultEEENS9_5minusIhEEEE10hipError_tPvRmT2_T3_mT4_P12ihipStream_tbEUlT_E_NS1_11comp_targetILNS1_3genE3ELNS1_11target_archE908ELNS1_3gpuE7ELNS1_3repE0EEENS1_30default_config_static_selectorELNS0_4arch9wavefront6targetE1EEEvT1_,comdat
	.protected	_ZN7rocprim17ROCPRIM_400000_NS6detail17trampoline_kernelINS0_14default_configENS1_35adjacent_difference_config_selectorILb1EhEEZNS1_24adjacent_difference_implIS3_Lb1ELb0EPhN6thrust23THRUST_200600_302600_NS16discard_iteratorINS9_11use_defaultEEENS9_5minusIhEEEE10hipError_tPvRmT2_T3_mT4_P12ihipStream_tbEUlT_E_NS1_11comp_targetILNS1_3genE3ELNS1_11target_archE908ELNS1_3gpuE7ELNS1_3repE0EEENS1_30default_config_static_selectorELNS0_4arch9wavefront6targetE1EEEvT1_ ; -- Begin function _ZN7rocprim17ROCPRIM_400000_NS6detail17trampoline_kernelINS0_14default_configENS1_35adjacent_difference_config_selectorILb1EhEEZNS1_24adjacent_difference_implIS3_Lb1ELb0EPhN6thrust23THRUST_200600_302600_NS16discard_iteratorINS9_11use_defaultEEENS9_5minusIhEEEE10hipError_tPvRmT2_T3_mT4_P12ihipStream_tbEUlT_E_NS1_11comp_targetILNS1_3genE3ELNS1_11target_archE908ELNS1_3gpuE7ELNS1_3repE0EEENS1_30default_config_static_selectorELNS0_4arch9wavefront6targetE1EEEvT1_
	.globl	_ZN7rocprim17ROCPRIM_400000_NS6detail17trampoline_kernelINS0_14default_configENS1_35adjacent_difference_config_selectorILb1EhEEZNS1_24adjacent_difference_implIS3_Lb1ELb0EPhN6thrust23THRUST_200600_302600_NS16discard_iteratorINS9_11use_defaultEEENS9_5minusIhEEEE10hipError_tPvRmT2_T3_mT4_P12ihipStream_tbEUlT_E_NS1_11comp_targetILNS1_3genE3ELNS1_11target_archE908ELNS1_3gpuE7ELNS1_3repE0EEENS1_30default_config_static_selectorELNS0_4arch9wavefront6targetE1EEEvT1_
	.p2align	8
	.type	_ZN7rocprim17ROCPRIM_400000_NS6detail17trampoline_kernelINS0_14default_configENS1_35adjacent_difference_config_selectorILb1EhEEZNS1_24adjacent_difference_implIS3_Lb1ELb0EPhN6thrust23THRUST_200600_302600_NS16discard_iteratorINS9_11use_defaultEEENS9_5minusIhEEEE10hipError_tPvRmT2_T3_mT4_P12ihipStream_tbEUlT_E_NS1_11comp_targetILNS1_3genE3ELNS1_11target_archE908ELNS1_3gpuE7ELNS1_3repE0EEENS1_30default_config_static_selectorELNS0_4arch9wavefront6targetE1EEEvT1_,@function
_ZN7rocprim17ROCPRIM_400000_NS6detail17trampoline_kernelINS0_14default_configENS1_35adjacent_difference_config_selectorILb1EhEEZNS1_24adjacent_difference_implIS3_Lb1ELb0EPhN6thrust23THRUST_200600_302600_NS16discard_iteratorINS9_11use_defaultEEENS9_5minusIhEEEE10hipError_tPvRmT2_T3_mT4_P12ihipStream_tbEUlT_E_NS1_11comp_targetILNS1_3genE3ELNS1_11target_archE908ELNS1_3gpuE7ELNS1_3repE0EEENS1_30default_config_static_selectorELNS0_4arch9wavefront6targetE1EEEvT1_: ; @_ZN7rocprim17ROCPRIM_400000_NS6detail17trampoline_kernelINS0_14default_configENS1_35adjacent_difference_config_selectorILb1EhEEZNS1_24adjacent_difference_implIS3_Lb1ELb0EPhN6thrust23THRUST_200600_302600_NS16discard_iteratorINS9_11use_defaultEEENS9_5minusIhEEEE10hipError_tPvRmT2_T3_mT4_P12ihipStream_tbEUlT_E_NS1_11comp_targetILNS1_3genE3ELNS1_11target_archE908ELNS1_3gpuE7ELNS1_3repE0EEENS1_30default_config_static_selectorELNS0_4arch9wavefront6targetE1EEEvT1_
; %bb.0:
	.section	.rodata,"a",@progbits
	.p2align	6, 0x0
	.amdhsa_kernel _ZN7rocprim17ROCPRIM_400000_NS6detail17trampoline_kernelINS0_14default_configENS1_35adjacent_difference_config_selectorILb1EhEEZNS1_24adjacent_difference_implIS3_Lb1ELb0EPhN6thrust23THRUST_200600_302600_NS16discard_iteratorINS9_11use_defaultEEENS9_5minusIhEEEE10hipError_tPvRmT2_T3_mT4_P12ihipStream_tbEUlT_E_NS1_11comp_targetILNS1_3genE3ELNS1_11target_archE908ELNS1_3gpuE7ELNS1_3repE0EEENS1_30default_config_static_selectorELNS0_4arch9wavefront6targetE1EEEvT1_
		.amdhsa_group_segment_fixed_size 0
		.amdhsa_private_segment_fixed_size 0
		.amdhsa_kernarg_size 64
		.amdhsa_user_sgpr_count 2
		.amdhsa_user_sgpr_dispatch_ptr 0
		.amdhsa_user_sgpr_queue_ptr 0
		.amdhsa_user_sgpr_kernarg_segment_ptr 1
		.amdhsa_user_sgpr_dispatch_id 0
		.amdhsa_user_sgpr_kernarg_preload_length 0
		.amdhsa_user_sgpr_kernarg_preload_offset 0
		.amdhsa_user_sgpr_private_segment_size 0
		.amdhsa_uses_dynamic_stack 0
		.amdhsa_enable_private_segment 0
		.amdhsa_system_sgpr_workgroup_id_x 1
		.amdhsa_system_sgpr_workgroup_id_y 0
		.amdhsa_system_sgpr_workgroup_id_z 0
		.amdhsa_system_sgpr_workgroup_info 0
		.amdhsa_system_vgpr_workitem_id 0
		.amdhsa_next_free_vgpr 1
		.amdhsa_next_free_sgpr 0
		.amdhsa_accum_offset 4
		.amdhsa_reserve_vcc 0
		.amdhsa_float_round_mode_32 0
		.amdhsa_float_round_mode_16_64 0
		.amdhsa_float_denorm_mode_32 3
		.amdhsa_float_denorm_mode_16_64 3
		.amdhsa_dx10_clamp 1
		.amdhsa_ieee_mode 1
		.amdhsa_fp16_overflow 0
		.amdhsa_tg_split 0
		.amdhsa_exception_fp_ieee_invalid_op 0
		.amdhsa_exception_fp_denorm_src 0
		.amdhsa_exception_fp_ieee_div_zero 0
		.amdhsa_exception_fp_ieee_overflow 0
		.amdhsa_exception_fp_ieee_underflow 0
		.amdhsa_exception_fp_ieee_inexact 0
		.amdhsa_exception_int_div_zero 0
	.end_amdhsa_kernel
	.section	.text._ZN7rocprim17ROCPRIM_400000_NS6detail17trampoline_kernelINS0_14default_configENS1_35adjacent_difference_config_selectorILb1EhEEZNS1_24adjacent_difference_implIS3_Lb1ELb0EPhN6thrust23THRUST_200600_302600_NS16discard_iteratorINS9_11use_defaultEEENS9_5minusIhEEEE10hipError_tPvRmT2_T3_mT4_P12ihipStream_tbEUlT_E_NS1_11comp_targetILNS1_3genE3ELNS1_11target_archE908ELNS1_3gpuE7ELNS1_3repE0EEENS1_30default_config_static_selectorELNS0_4arch9wavefront6targetE1EEEvT1_,"axG",@progbits,_ZN7rocprim17ROCPRIM_400000_NS6detail17trampoline_kernelINS0_14default_configENS1_35adjacent_difference_config_selectorILb1EhEEZNS1_24adjacent_difference_implIS3_Lb1ELb0EPhN6thrust23THRUST_200600_302600_NS16discard_iteratorINS9_11use_defaultEEENS9_5minusIhEEEE10hipError_tPvRmT2_T3_mT4_P12ihipStream_tbEUlT_E_NS1_11comp_targetILNS1_3genE3ELNS1_11target_archE908ELNS1_3gpuE7ELNS1_3repE0EEENS1_30default_config_static_selectorELNS0_4arch9wavefront6targetE1EEEvT1_,comdat
.Lfunc_end696:
	.size	_ZN7rocprim17ROCPRIM_400000_NS6detail17trampoline_kernelINS0_14default_configENS1_35adjacent_difference_config_selectorILb1EhEEZNS1_24adjacent_difference_implIS3_Lb1ELb0EPhN6thrust23THRUST_200600_302600_NS16discard_iteratorINS9_11use_defaultEEENS9_5minusIhEEEE10hipError_tPvRmT2_T3_mT4_P12ihipStream_tbEUlT_E_NS1_11comp_targetILNS1_3genE3ELNS1_11target_archE908ELNS1_3gpuE7ELNS1_3repE0EEENS1_30default_config_static_selectorELNS0_4arch9wavefront6targetE1EEEvT1_, .Lfunc_end696-_ZN7rocprim17ROCPRIM_400000_NS6detail17trampoline_kernelINS0_14default_configENS1_35adjacent_difference_config_selectorILb1EhEEZNS1_24adjacent_difference_implIS3_Lb1ELb0EPhN6thrust23THRUST_200600_302600_NS16discard_iteratorINS9_11use_defaultEEENS9_5minusIhEEEE10hipError_tPvRmT2_T3_mT4_P12ihipStream_tbEUlT_E_NS1_11comp_targetILNS1_3genE3ELNS1_11target_archE908ELNS1_3gpuE7ELNS1_3repE0EEENS1_30default_config_static_selectorELNS0_4arch9wavefront6targetE1EEEvT1_
                                        ; -- End function
	.section	.AMDGPU.csdata,"",@progbits
; Kernel info:
; codeLenInByte = 0
; NumSgprs: 6
; NumVgprs: 0
; NumAgprs: 0
; TotalNumVgprs: 0
; ScratchSize: 0
; MemoryBound: 0
; FloatMode: 240
; IeeeMode: 1
; LDSByteSize: 0 bytes/workgroup (compile time only)
; SGPRBlocks: 0
; VGPRBlocks: 0
; NumSGPRsForWavesPerEU: 6
; NumVGPRsForWavesPerEU: 1
; AccumOffset: 4
; Occupancy: 8
; WaveLimiterHint : 0
; COMPUTE_PGM_RSRC2:SCRATCH_EN: 0
; COMPUTE_PGM_RSRC2:USER_SGPR: 2
; COMPUTE_PGM_RSRC2:TRAP_HANDLER: 0
; COMPUTE_PGM_RSRC2:TGID_X_EN: 1
; COMPUTE_PGM_RSRC2:TGID_Y_EN: 0
; COMPUTE_PGM_RSRC2:TGID_Z_EN: 0
; COMPUTE_PGM_RSRC2:TIDIG_COMP_CNT: 0
; COMPUTE_PGM_RSRC3_GFX90A:ACCUM_OFFSET: 0
; COMPUTE_PGM_RSRC3_GFX90A:TG_SPLIT: 0
	.section	.text._ZN7rocprim17ROCPRIM_400000_NS6detail17trampoline_kernelINS0_14default_configENS1_35adjacent_difference_config_selectorILb1EhEEZNS1_24adjacent_difference_implIS3_Lb1ELb0EPhN6thrust23THRUST_200600_302600_NS16discard_iteratorINS9_11use_defaultEEENS9_5minusIhEEEE10hipError_tPvRmT2_T3_mT4_P12ihipStream_tbEUlT_E_NS1_11comp_targetILNS1_3genE2ELNS1_11target_archE906ELNS1_3gpuE6ELNS1_3repE0EEENS1_30default_config_static_selectorELNS0_4arch9wavefront6targetE1EEEvT1_,"axG",@progbits,_ZN7rocprim17ROCPRIM_400000_NS6detail17trampoline_kernelINS0_14default_configENS1_35adjacent_difference_config_selectorILb1EhEEZNS1_24adjacent_difference_implIS3_Lb1ELb0EPhN6thrust23THRUST_200600_302600_NS16discard_iteratorINS9_11use_defaultEEENS9_5minusIhEEEE10hipError_tPvRmT2_T3_mT4_P12ihipStream_tbEUlT_E_NS1_11comp_targetILNS1_3genE2ELNS1_11target_archE906ELNS1_3gpuE6ELNS1_3repE0EEENS1_30default_config_static_selectorELNS0_4arch9wavefront6targetE1EEEvT1_,comdat
	.protected	_ZN7rocprim17ROCPRIM_400000_NS6detail17trampoline_kernelINS0_14default_configENS1_35adjacent_difference_config_selectorILb1EhEEZNS1_24adjacent_difference_implIS3_Lb1ELb0EPhN6thrust23THRUST_200600_302600_NS16discard_iteratorINS9_11use_defaultEEENS9_5minusIhEEEE10hipError_tPvRmT2_T3_mT4_P12ihipStream_tbEUlT_E_NS1_11comp_targetILNS1_3genE2ELNS1_11target_archE906ELNS1_3gpuE6ELNS1_3repE0EEENS1_30default_config_static_selectorELNS0_4arch9wavefront6targetE1EEEvT1_ ; -- Begin function _ZN7rocprim17ROCPRIM_400000_NS6detail17trampoline_kernelINS0_14default_configENS1_35adjacent_difference_config_selectorILb1EhEEZNS1_24adjacent_difference_implIS3_Lb1ELb0EPhN6thrust23THRUST_200600_302600_NS16discard_iteratorINS9_11use_defaultEEENS9_5minusIhEEEE10hipError_tPvRmT2_T3_mT4_P12ihipStream_tbEUlT_E_NS1_11comp_targetILNS1_3genE2ELNS1_11target_archE906ELNS1_3gpuE6ELNS1_3repE0EEENS1_30default_config_static_selectorELNS0_4arch9wavefront6targetE1EEEvT1_
	.globl	_ZN7rocprim17ROCPRIM_400000_NS6detail17trampoline_kernelINS0_14default_configENS1_35adjacent_difference_config_selectorILb1EhEEZNS1_24adjacent_difference_implIS3_Lb1ELb0EPhN6thrust23THRUST_200600_302600_NS16discard_iteratorINS9_11use_defaultEEENS9_5minusIhEEEE10hipError_tPvRmT2_T3_mT4_P12ihipStream_tbEUlT_E_NS1_11comp_targetILNS1_3genE2ELNS1_11target_archE906ELNS1_3gpuE6ELNS1_3repE0EEENS1_30default_config_static_selectorELNS0_4arch9wavefront6targetE1EEEvT1_
	.p2align	8
	.type	_ZN7rocprim17ROCPRIM_400000_NS6detail17trampoline_kernelINS0_14default_configENS1_35adjacent_difference_config_selectorILb1EhEEZNS1_24adjacent_difference_implIS3_Lb1ELb0EPhN6thrust23THRUST_200600_302600_NS16discard_iteratorINS9_11use_defaultEEENS9_5minusIhEEEE10hipError_tPvRmT2_T3_mT4_P12ihipStream_tbEUlT_E_NS1_11comp_targetILNS1_3genE2ELNS1_11target_archE906ELNS1_3gpuE6ELNS1_3repE0EEENS1_30default_config_static_selectorELNS0_4arch9wavefront6targetE1EEEvT1_,@function
_ZN7rocprim17ROCPRIM_400000_NS6detail17trampoline_kernelINS0_14default_configENS1_35adjacent_difference_config_selectorILb1EhEEZNS1_24adjacent_difference_implIS3_Lb1ELb0EPhN6thrust23THRUST_200600_302600_NS16discard_iteratorINS9_11use_defaultEEENS9_5minusIhEEEE10hipError_tPvRmT2_T3_mT4_P12ihipStream_tbEUlT_E_NS1_11comp_targetILNS1_3genE2ELNS1_11target_archE906ELNS1_3gpuE6ELNS1_3repE0EEENS1_30default_config_static_selectorELNS0_4arch9wavefront6targetE1EEEvT1_: ; @_ZN7rocprim17ROCPRIM_400000_NS6detail17trampoline_kernelINS0_14default_configENS1_35adjacent_difference_config_selectorILb1EhEEZNS1_24adjacent_difference_implIS3_Lb1ELb0EPhN6thrust23THRUST_200600_302600_NS16discard_iteratorINS9_11use_defaultEEENS9_5minusIhEEEE10hipError_tPvRmT2_T3_mT4_P12ihipStream_tbEUlT_E_NS1_11comp_targetILNS1_3genE2ELNS1_11target_archE906ELNS1_3gpuE6ELNS1_3repE0EEENS1_30default_config_static_selectorELNS0_4arch9wavefront6targetE1EEEvT1_
; %bb.0:
	.section	.rodata,"a",@progbits
	.p2align	6, 0x0
	.amdhsa_kernel _ZN7rocprim17ROCPRIM_400000_NS6detail17trampoline_kernelINS0_14default_configENS1_35adjacent_difference_config_selectorILb1EhEEZNS1_24adjacent_difference_implIS3_Lb1ELb0EPhN6thrust23THRUST_200600_302600_NS16discard_iteratorINS9_11use_defaultEEENS9_5minusIhEEEE10hipError_tPvRmT2_T3_mT4_P12ihipStream_tbEUlT_E_NS1_11comp_targetILNS1_3genE2ELNS1_11target_archE906ELNS1_3gpuE6ELNS1_3repE0EEENS1_30default_config_static_selectorELNS0_4arch9wavefront6targetE1EEEvT1_
		.amdhsa_group_segment_fixed_size 0
		.amdhsa_private_segment_fixed_size 0
		.amdhsa_kernarg_size 64
		.amdhsa_user_sgpr_count 2
		.amdhsa_user_sgpr_dispatch_ptr 0
		.amdhsa_user_sgpr_queue_ptr 0
		.amdhsa_user_sgpr_kernarg_segment_ptr 1
		.amdhsa_user_sgpr_dispatch_id 0
		.amdhsa_user_sgpr_kernarg_preload_length 0
		.amdhsa_user_sgpr_kernarg_preload_offset 0
		.amdhsa_user_sgpr_private_segment_size 0
		.amdhsa_uses_dynamic_stack 0
		.amdhsa_enable_private_segment 0
		.amdhsa_system_sgpr_workgroup_id_x 1
		.amdhsa_system_sgpr_workgroup_id_y 0
		.amdhsa_system_sgpr_workgroup_id_z 0
		.amdhsa_system_sgpr_workgroup_info 0
		.amdhsa_system_vgpr_workitem_id 0
		.amdhsa_next_free_vgpr 1
		.amdhsa_next_free_sgpr 0
		.amdhsa_accum_offset 4
		.amdhsa_reserve_vcc 0
		.amdhsa_float_round_mode_32 0
		.amdhsa_float_round_mode_16_64 0
		.amdhsa_float_denorm_mode_32 3
		.amdhsa_float_denorm_mode_16_64 3
		.amdhsa_dx10_clamp 1
		.amdhsa_ieee_mode 1
		.amdhsa_fp16_overflow 0
		.amdhsa_tg_split 0
		.amdhsa_exception_fp_ieee_invalid_op 0
		.amdhsa_exception_fp_denorm_src 0
		.amdhsa_exception_fp_ieee_div_zero 0
		.amdhsa_exception_fp_ieee_overflow 0
		.amdhsa_exception_fp_ieee_underflow 0
		.amdhsa_exception_fp_ieee_inexact 0
		.amdhsa_exception_int_div_zero 0
	.end_amdhsa_kernel
	.section	.text._ZN7rocprim17ROCPRIM_400000_NS6detail17trampoline_kernelINS0_14default_configENS1_35adjacent_difference_config_selectorILb1EhEEZNS1_24adjacent_difference_implIS3_Lb1ELb0EPhN6thrust23THRUST_200600_302600_NS16discard_iteratorINS9_11use_defaultEEENS9_5minusIhEEEE10hipError_tPvRmT2_T3_mT4_P12ihipStream_tbEUlT_E_NS1_11comp_targetILNS1_3genE2ELNS1_11target_archE906ELNS1_3gpuE6ELNS1_3repE0EEENS1_30default_config_static_selectorELNS0_4arch9wavefront6targetE1EEEvT1_,"axG",@progbits,_ZN7rocprim17ROCPRIM_400000_NS6detail17trampoline_kernelINS0_14default_configENS1_35adjacent_difference_config_selectorILb1EhEEZNS1_24adjacent_difference_implIS3_Lb1ELb0EPhN6thrust23THRUST_200600_302600_NS16discard_iteratorINS9_11use_defaultEEENS9_5minusIhEEEE10hipError_tPvRmT2_T3_mT4_P12ihipStream_tbEUlT_E_NS1_11comp_targetILNS1_3genE2ELNS1_11target_archE906ELNS1_3gpuE6ELNS1_3repE0EEENS1_30default_config_static_selectorELNS0_4arch9wavefront6targetE1EEEvT1_,comdat
.Lfunc_end697:
	.size	_ZN7rocprim17ROCPRIM_400000_NS6detail17trampoline_kernelINS0_14default_configENS1_35adjacent_difference_config_selectorILb1EhEEZNS1_24adjacent_difference_implIS3_Lb1ELb0EPhN6thrust23THRUST_200600_302600_NS16discard_iteratorINS9_11use_defaultEEENS9_5minusIhEEEE10hipError_tPvRmT2_T3_mT4_P12ihipStream_tbEUlT_E_NS1_11comp_targetILNS1_3genE2ELNS1_11target_archE906ELNS1_3gpuE6ELNS1_3repE0EEENS1_30default_config_static_selectorELNS0_4arch9wavefront6targetE1EEEvT1_, .Lfunc_end697-_ZN7rocprim17ROCPRIM_400000_NS6detail17trampoline_kernelINS0_14default_configENS1_35adjacent_difference_config_selectorILb1EhEEZNS1_24adjacent_difference_implIS3_Lb1ELb0EPhN6thrust23THRUST_200600_302600_NS16discard_iteratorINS9_11use_defaultEEENS9_5minusIhEEEE10hipError_tPvRmT2_T3_mT4_P12ihipStream_tbEUlT_E_NS1_11comp_targetILNS1_3genE2ELNS1_11target_archE906ELNS1_3gpuE6ELNS1_3repE0EEENS1_30default_config_static_selectorELNS0_4arch9wavefront6targetE1EEEvT1_
                                        ; -- End function
	.section	.AMDGPU.csdata,"",@progbits
; Kernel info:
; codeLenInByte = 0
; NumSgprs: 6
; NumVgprs: 0
; NumAgprs: 0
; TotalNumVgprs: 0
; ScratchSize: 0
; MemoryBound: 0
; FloatMode: 240
; IeeeMode: 1
; LDSByteSize: 0 bytes/workgroup (compile time only)
; SGPRBlocks: 0
; VGPRBlocks: 0
; NumSGPRsForWavesPerEU: 6
; NumVGPRsForWavesPerEU: 1
; AccumOffset: 4
; Occupancy: 8
; WaveLimiterHint : 0
; COMPUTE_PGM_RSRC2:SCRATCH_EN: 0
; COMPUTE_PGM_RSRC2:USER_SGPR: 2
; COMPUTE_PGM_RSRC2:TRAP_HANDLER: 0
; COMPUTE_PGM_RSRC2:TGID_X_EN: 1
; COMPUTE_PGM_RSRC2:TGID_Y_EN: 0
; COMPUTE_PGM_RSRC2:TGID_Z_EN: 0
; COMPUTE_PGM_RSRC2:TIDIG_COMP_CNT: 0
; COMPUTE_PGM_RSRC3_GFX90A:ACCUM_OFFSET: 0
; COMPUTE_PGM_RSRC3_GFX90A:TG_SPLIT: 0
	.section	.text._ZN7rocprim17ROCPRIM_400000_NS6detail17trampoline_kernelINS0_14default_configENS1_35adjacent_difference_config_selectorILb1EhEEZNS1_24adjacent_difference_implIS3_Lb1ELb0EPhN6thrust23THRUST_200600_302600_NS16discard_iteratorINS9_11use_defaultEEENS9_5minusIhEEEE10hipError_tPvRmT2_T3_mT4_P12ihipStream_tbEUlT_E_NS1_11comp_targetILNS1_3genE9ELNS1_11target_archE1100ELNS1_3gpuE3ELNS1_3repE0EEENS1_30default_config_static_selectorELNS0_4arch9wavefront6targetE1EEEvT1_,"axG",@progbits,_ZN7rocprim17ROCPRIM_400000_NS6detail17trampoline_kernelINS0_14default_configENS1_35adjacent_difference_config_selectorILb1EhEEZNS1_24adjacent_difference_implIS3_Lb1ELb0EPhN6thrust23THRUST_200600_302600_NS16discard_iteratorINS9_11use_defaultEEENS9_5minusIhEEEE10hipError_tPvRmT2_T3_mT4_P12ihipStream_tbEUlT_E_NS1_11comp_targetILNS1_3genE9ELNS1_11target_archE1100ELNS1_3gpuE3ELNS1_3repE0EEENS1_30default_config_static_selectorELNS0_4arch9wavefront6targetE1EEEvT1_,comdat
	.protected	_ZN7rocprim17ROCPRIM_400000_NS6detail17trampoline_kernelINS0_14default_configENS1_35adjacent_difference_config_selectorILb1EhEEZNS1_24adjacent_difference_implIS3_Lb1ELb0EPhN6thrust23THRUST_200600_302600_NS16discard_iteratorINS9_11use_defaultEEENS9_5minusIhEEEE10hipError_tPvRmT2_T3_mT4_P12ihipStream_tbEUlT_E_NS1_11comp_targetILNS1_3genE9ELNS1_11target_archE1100ELNS1_3gpuE3ELNS1_3repE0EEENS1_30default_config_static_selectorELNS0_4arch9wavefront6targetE1EEEvT1_ ; -- Begin function _ZN7rocprim17ROCPRIM_400000_NS6detail17trampoline_kernelINS0_14default_configENS1_35adjacent_difference_config_selectorILb1EhEEZNS1_24adjacent_difference_implIS3_Lb1ELb0EPhN6thrust23THRUST_200600_302600_NS16discard_iteratorINS9_11use_defaultEEENS9_5minusIhEEEE10hipError_tPvRmT2_T3_mT4_P12ihipStream_tbEUlT_E_NS1_11comp_targetILNS1_3genE9ELNS1_11target_archE1100ELNS1_3gpuE3ELNS1_3repE0EEENS1_30default_config_static_selectorELNS0_4arch9wavefront6targetE1EEEvT1_
	.globl	_ZN7rocprim17ROCPRIM_400000_NS6detail17trampoline_kernelINS0_14default_configENS1_35adjacent_difference_config_selectorILb1EhEEZNS1_24adjacent_difference_implIS3_Lb1ELb0EPhN6thrust23THRUST_200600_302600_NS16discard_iteratorINS9_11use_defaultEEENS9_5minusIhEEEE10hipError_tPvRmT2_T3_mT4_P12ihipStream_tbEUlT_E_NS1_11comp_targetILNS1_3genE9ELNS1_11target_archE1100ELNS1_3gpuE3ELNS1_3repE0EEENS1_30default_config_static_selectorELNS0_4arch9wavefront6targetE1EEEvT1_
	.p2align	8
	.type	_ZN7rocprim17ROCPRIM_400000_NS6detail17trampoline_kernelINS0_14default_configENS1_35adjacent_difference_config_selectorILb1EhEEZNS1_24adjacent_difference_implIS3_Lb1ELb0EPhN6thrust23THRUST_200600_302600_NS16discard_iteratorINS9_11use_defaultEEENS9_5minusIhEEEE10hipError_tPvRmT2_T3_mT4_P12ihipStream_tbEUlT_E_NS1_11comp_targetILNS1_3genE9ELNS1_11target_archE1100ELNS1_3gpuE3ELNS1_3repE0EEENS1_30default_config_static_selectorELNS0_4arch9wavefront6targetE1EEEvT1_,@function
_ZN7rocprim17ROCPRIM_400000_NS6detail17trampoline_kernelINS0_14default_configENS1_35adjacent_difference_config_selectorILb1EhEEZNS1_24adjacent_difference_implIS3_Lb1ELb0EPhN6thrust23THRUST_200600_302600_NS16discard_iteratorINS9_11use_defaultEEENS9_5minusIhEEEE10hipError_tPvRmT2_T3_mT4_P12ihipStream_tbEUlT_E_NS1_11comp_targetILNS1_3genE9ELNS1_11target_archE1100ELNS1_3gpuE3ELNS1_3repE0EEENS1_30default_config_static_selectorELNS0_4arch9wavefront6targetE1EEEvT1_: ; @_ZN7rocprim17ROCPRIM_400000_NS6detail17trampoline_kernelINS0_14default_configENS1_35adjacent_difference_config_selectorILb1EhEEZNS1_24adjacent_difference_implIS3_Lb1ELb0EPhN6thrust23THRUST_200600_302600_NS16discard_iteratorINS9_11use_defaultEEENS9_5minusIhEEEE10hipError_tPvRmT2_T3_mT4_P12ihipStream_tbEUlT_E_NS1_11comp_targetILNS1_3genE9ELNS1_11target_archE1100ELNS1_3gpuE3ELNS1_3repE0EEENS1_30default_config_static_selectorELNS0_4arch9wavefront6targetE1EEEvT1_
; %bb.0:
	.section	.rodata,"a",@progbits
	.p2align	6, 0x0
	.amdhsa_kernel _ZN7rocprim17ROCPRIM_400000_NS6detail17trampoline_kernelINS0_14default_configENS1_35adjacent_difference_config_selectorILb1EhEEZNS1_24adjacent_difference_implIS3_Lb1ELb0EPhN6thrust23THRUST_200600_302600_NS16discard_iteratorINS9_11use_defaultEEENS9_5minusIhEEEE10hipError_tPvRmT2_T3_mT4_P12ihipStream_tbEUlT_E_NS1_11comp_targetILNS1_3genE9ELNS1_11target_archE1100ELNS1_3gpuE3ELNS1_3repE0EEENS1_30default_config_static_selectorELNS0_4arch9wavefront6targetE1EEEvT1_
		.amdhsa_group_segment_fixed_size 0
		.amdhsa_private_segment_fixed_size 0
		.amdhsa_kernarg_size 64
		.amdhsa_user_sgpr_count 2
		.amdhsa_user_sgpr_dispatch_ptr 0
		.amdhsa_user_sgpr_queue_ptr 0
		.amdhsa_user_sgpr_kernarg_segment_ptr 1
		.amdhsa_user_sgpr_dispatch_id 0
		.amdhsa_user_sgpr_kernarg_preload_length 0
		.amdhsa_user_sgpr_kernarg_preload_offset 0
		.amdhsa_user_sgpr_private_segment_size 0
		.amdhsa_uses_dynamic_stack 0
		.amdhsa_enable_private_segment 0
		.amdhsa_system_sgpr_workgroup_id_x 1
		.amdhsa_system_sgpr_workgroup_id_y 0
		.amdhsa_system_sgpr_workgroup_id_z 0
		.amdhsa_system_sgpr_workgroup_info 0
		.amdhsa_system_vgpr_workitem_id 0
		.amdhsa_next_free_vgpr 1
		.amdhsa_next_free_sgpr 0
		.amdhsa_accum_offset 4
		.amdhsa_reserve_vcc 0
		.amdhsa_float_round_mode_32 0
		.amdhsa_float_round_mode_16_64 0
		.amdhsa_float_denorm_mode_32 3
		.amdhsa_float_denorm_mode_16_64 3
		.amdhsa_dx10_clamp 1
		.amdhsa_ieee_mode 1
		.amdhsa_fp16_overflow 0
		.amdhsa_tg_split 0
		.amdhsa_exception_fp_ieee_invalid_op 0
		.amdhsa_exception_fp_denorm_src 0
		.amdhsa_exception_fp_ieee_div_zero 0
		.amdhsa_exception_fp_ieee_overflow 0
		.amdhsa_exception_fp_ieee_underflow 0
		.amdhsa_exception_fp_ieee_inexact 0
		.amdhsa_exception_int_div_zero 0
	.end_amdhsa_kernel
	.section	.text._ZN7rocprim17ROCPRIM_400000_NS6detail17trampoline_kernelINS0_14default_configENS1_35adjacent_difference_config_selectorILb1EhEEZNS1_24adjacent_difference_implIS3_Lb1ELb0EPhN6thrust23THRUST_200600_302600_NS16discard_iteratorINS9_11use_defaultEEENS9_5minusIhEEEE10hipError_tPvRmT2_T3_mT4_P12ihipStream_tbEUlT_E_NS1_11comp_targetILNS1_3genE9ELNS1_11target_archE1100ELNS1_3gpuE3ELNS1_3repE0EEENS1_30default_config_static_selectorELNS0_4arch9wavefront6targetE1EEEvT1_,"axG",@progbits,_ZN7rocprim17ROCPRIM_400000_NS6detail17trampoline_kernelINS0_14default_configENS1_35adjacent_difference_config_selectorILb1EhEEZNS1_24adjacent_difference_implIS3_Lb1ELb0EPhN6thrust23THRUST_200600_302600_NS16discard_iteratorINS9_11use_defaultEEENS9_5minusIhEEEE10hipError_tPvRmT2_T3_mT4_P12ihipStream_tbEUlT_E_NS1_11comp_targetILNS1_3genE9ELNS1_11target_archE1100ELNS1_3gpuE3ELNS1_3repE0EEENS1_30default_config_static_selectorELNS0_4arch9wavefront6targetE1EEEvT1_,comdat
.Lfunc_end698:
	.size	_ZN7rocprim17ROCPRIM_400000_NS6detail17trampoline_kernelINS0_14default_configENS1_35adjacent_difference_config_selectorILb1EhEEZNS1_24adjacent_difference_implIS3_Lb1ELb0EPhN6thrust23THRUST_200600_302600_NS16discard_iteratorINS9_11use_defaultEEENS9_5minusIhEEEE10hipError_tPvRmT2_T3_mT4_P12ihipStream_tbEUlT_E_NS1_11comp_targetILNS1_3genE9ELNS1_11target_archE1100ELNS1_3gpuE3ELNS1_3repE0EEENS1_30default_config_static_selectorELNS0_4arch9wavefront6targetE1EEEvT1_, .Lfunc_end698-_ZN7rocprim17ROCPRIM_400000_NS6detail17trampoline_kernelINS0_14default_configENS1_35adjacent_difference_config_selectorILb1EhEEZNS1_24adjacent_difference_implIS3_Lb1ELb0EPhN6thrust23THRUST_200600_302600_NS16discard_iteratorINS9_11use_defaultEEENS9_5minusIhEEEE10hipError_tPvRmT2_T3_mT4_P12ihipStream_tbEUlT_E_NS1_11comp_targetILNS1_3genE9ELNS1_11target_archE1100ELNS1_3gpuE3ELNS1_3repE0EEENS1_30default_config_static_selectorELNS0_4arch9wavefront6targetE1EEEvT1_
                                        ; -- End function
	.section	.AMDGPU.csdata,"",@progbits
; Kernel info:
; codeLenInByte = 0
; NumSgprs: 6
; NumVgprs: 0
; NumAgprs: 0
; TotalNumVgprs: 0
; ScratchSize: 0
; MemoryBound: 0
; FloatMode: 240
; IeeeMode: 1
; LDSByteSize: 0 bytes/workgroup (compile time only)
; SGPRBlocks: 0
; VGPRBlocks: 0
; NumSGPRsForWavesPerEU: 6
; NumVGPRsForWavesPerEU: 1
; AccumOffset: 4
; Occupancy: 8
; WaveLimiterHint : 0
; COMPUTE_PGM_RSRC2:SCRATCH_EN: 0
; COMPUTE_PGM_RSRC2:USER_SGPR: 2
; COMPUTE_PGM_RSRC2:TRAP_HANDLER: 0
; COMPUTE_PGM_RSRC2:TGID_X_EN: 1
; COMPUTE_PGM_RSRC2:TGID_Y_EN: 0
; COMPUTE_PGM_RSRC2:TGID_Z_EN: 0
; COMPUTE_PGM_RSRC2:TIDIG_COMP_CNT: 0
; COMPUTE_PGM_RSRC3_GFX90A:ACCUM_OFFSET: 0
; COMPUTE_PGM_RSRC3_GFX90A:TG_SPLIT: 0
	.section	.text._ZN7rocprim17ROCPRIM_400000_NS6detail17trampoline_kernelINS0_14default_configENS1_35adjacent_difference_config_selectorILb1EhEEZNS1_24adjacent_difference_implIS3_Lb1ELb0EPhN6thrust23THRUST_200600_302600_NS16discard_iteratorINS9_11use_defaultEEENS9_5minusIhEEEE10hipError_tPvRmT2_T3_mT4_P12ihipStream_tbEUlT_E_NS1_11comp_targetILNS1_3genE8ELNS1_11target_archE1030ELNS1_3gpuE2ELNS1_3repE0EEENS1_30default_config_static_selectorELNS0_4arch9wavefront6targetE1EEEvT1_,"axG",@progbits,_ZN7rocprim17ROCPRIM_400000_NS6detail17trampoline_kernelINS0_14default_configENS1_35adjacent_difference_config_selectorILb1EhEEZNS1_24adjacent_difference_implIS3_Lb1ELb0EPhN6thrust23THRUST_200600_302600_NS16discard_iteratorINS9_11use_defaultEEENS9_5minusIhEEEE10hipError_tPvRmT2_T3_mT4_P12ihipStream_tbEUlT_E_NS1_11comp_targetILNS1_3genE8ELNS1_11target_archE1030ELNS1_3gpuE2ELNS1_3repE0EEENS1_30default_config_static_selectorELNS0_4arch9wavefront6targetE1EEEvT1_,comdat
	.protected	_ZN7rocprim17ROCPRIM_400000_NS6detail17trampoline_kernelINS0_14default_configENS1_35adjacent_difference_config_selectorILb1EhEEZNS1_24adjacent_difference_implIS3_Lb1ELb0EPhN6thrust23THRUST_200600_302600_NS16discard_iteratorINS9_11use_defaultEEENS9_5minusIhEEEE10hipError_tPvRmT2_T3_mT4_P12ihipStream_tbEUlT_E_NS1_11comp_targetILNS1_3genE8ELNS1_11target_archE1030ELNS1_3gpuE2ELNS1_3repE0EEENS1_30default_config_static_selectorELNS0_4arch9wavefront6targetE1EEEvT1_ ; -- Begin function _ZN7rocprim17ROCPRIM_400000_NS6detail17trampoline_kernelINS0_14default_configENS1_35adjacent_difference_config_selectorILb1EhEEZNS1_24adjacent_difference_implIS3_Lb1ELb0EPhN6thrust23THRUST_200600_302600_NS16discard_iteratorINS9_11use_defaultEEENS9_5minusIhEEEE10hipError_tPvRmT2_T3_mT4_P12ihipStream_tbEUlT_E_NS1_11comp_targetILNS1_3genE8ELNS1_11target_archE1030ELNS1_3gpuE2ELNS1_3repE0EEENS1_30default_config_static_selectorELNS0_4arch9wavefront6targetE1EEEvT1_
	.globl	_ZN7rocprim17ROCPRIM_400000_NS6detail17trampoline_kernelINS0_14default_configENS1_35adjacent_difference_config_selectorILb1EhEEZNS1_24adjacent_difference_implIS3_Lb1ELb0EPhN6thrust23THRUST_200600_302600_NS16discard_iteratorINS9_11use_defaultEEENS9_5minusIhEEEE10hipError_tPvRmT2_T3_mT4_P12ihipStream_tbEUlT_E_NS1_11comp_targetILNS1_3genE8ELNS1_11target_archE1030ELNS1_3gpuE2ELNS1_3repE0EEENS1_30default_config_static_selectorELNS0_4arch9wavefront6targetE1EEEvT1_
	.p2align	8
	.type	_ZN7rocprim17ROCPRIM_400000_NS6detail17trampoline_kernelINS0_14default_configENS1_35adjacent_difference_config_selectorILb1EhEEZNS1_24adjacent_difference_implIS3_Lb1ELb0EPhN6thrust23THRUST_200600_302600_NS16discard_iteratorINS9_11use_defaultEEENS9_5minusIhEEEE10hipError_tPvRmT2_T3_mT4_P12ihipStream_tbEUlT_E_NS1_11comp_targetILNS1_3genE8ELNS1_11target_archE1030ELNS1_3gpuE2ELNS1_3repE0EEENS1_30default_config_static_selectorELNS0_4arch9wavefront6targetE1EEEvT1_,@function
_ZN7rocprim17ROCPRIM_400000_NS6detail17trampoline_kernelINS0_14default_configENS1_35adjacent_difference_config_selectorILb1EhEEZNS1_24adjacent_difference_implIS3_Lb1ELb0EPhN6thrust23THRUST_200600_302600_NS16discard_iteratorINS9_11use_defaultEEENS9_5minusIhEEEE10hipError_tPvRmT2_T3_mT4_P12ihipStream_tbEUlT_E_NS1_11comp_targetILNS1_3genE8ELNS1_11target_archE1030ELNS1_3gpuE2ELNS1_3repE0EEENS1_30default_config_static_selectorELNS0_4arch9wavefront6targetE1EEEvT1_: ; @_ZN7rocprim17ROCPRIM_400000_NS6detail17trampoline_kernelINS0_14default_configENS1_35adjacent_difference_config_selectorILb1EhEEZNS1_24adjacent_difference_implIS3_Lb1ELb0EPhN6thrust23THRUST_200600_302600_NS16discard_iteratorINS9_11use_defaultEEENS9_5minusIhEEEE10hipError_tPvRmT2_T3_mT4_P12ihipStream_tbEUlT_E_NS1_11comp_targetILNS1_3genE8ELNS1_11target_archE1030ELNS1_3gpuE2ELNS1_3repE0EEENS1_30default_config_static_selectorELNS0_4arch9wavefront6targetE1EEEvT1_
; %bb.0:
	.section	.rodata,"a",@progbits
	.p2align	6, 0x0
	.amdhsa_kernel _ZN7rocprim17ROCPRIM_400000_NS6detail17trampoline_kernelINS0_14default_configENS1_35adjacent_difference_config_selectorILb1EhEEZNS1_24adjacent_difference_implIS3_Lb1ELb0EPhN6thrust23THRUST_200600_302600_NS16discard_iteratorINS9_11use_defaultEEENS9_5minusIhEEEE10hipError_tPvRmT2_T3_mT4_P12ihipStream_tbEUlT_E_NS1_11comp_targetILNS1_3genE8ELNS1_11target_archE1030ELNS1_3gpuE2ELNS1_3repE0EEENS1_30default_config_static_selectorELNS0_4arch9wavefront6targetE1EEEvT1_
		.amdhsa_group_segment_fixed_size 0
		.amdhsa_private_segment_fixed_size 0
		.amdhsa_kernarg_size 64
		.amdhsa_user_sgpr_count 2
		.amdhsa_user_sgpr_dispatch_ptr 0
		.amdhsa_user_sgpr_queue_ptr 0
		.amdhsa_user_sgpr_kernarg_segment_ptr 1
		.amdhsa_user_sgpr_dispatch_id 0
		.amdhsa_user_sgpr_kernarg_preload_length 0
		.amdhsa_user_sgpr_kernarg_preload_offset 0
		.amdhsa_user_sgpr_private_segment_size 0
		.amdhsa_uses_dynamic_stack 0
		.amdhsa_enable_private_segment 0
		.amdhsa_system_sgpr_workgroup_id_x 1
		.amdhsa_system_sgpr_workgroup_id_y 0
		.amdhsa_system_sgpr_workgroup_id_z 0
		.amdhsa_system_sgpr_workgroup_info 0
		.amdhsa_system_vgpr_workitem_id 0
		.amdhsa_next_free_vgpr 1
		.amdhsa_next_free_sgpr 0
		.amdhsa_accum_offset 4
		.amdhsa_reserve_vcc 0
		.amdhsa_float_round_mode_32 0
		.amdhsa_float_round_mode_16_64 0
		.amdhsa_float_denorm_mode_32 3
		.amdhsa_float_denorm_mode_16_64 3
		.amdhsa_dx10_clamp 1
		.amdhsa_ieee_mode 1
		.amdhsa_fp16_overflow 0
		.amdhsa_tg_split 0
		.amdhsa_exception_fp_ieee_invalid_op 0
		.amdhsa_exception_fp_denorm_src 0
		.amdhsa_exception_fp_ieee_div_zero 0
		.amdhsa_exception_fp_ieee_overflow 0
		.amdhsa_exception_fp_ieee_underflow 0
		.amdhsa_exception_fp_ieee_inexact 0
		.amdhsa_exception_int_div_zero 0
	.end_amdhsa_kernel
	.section	.text._ZN7rocprim17ROCPRIM_400000_NS6detail17trampoline_kernelINS0_14default_configENS1_35adjacent_difference_config_selectorILb1EhEEZNS1_24adjacent_difference_implIS3_Lb1ELb0EPhN6thrust23THRUST_200600_302600_NS16discard_iteratorINS9_11use_defaultEEENS9_5minusIhEEEE10hipError_tPvRmT2_T3_mT4_P12ihipStream_tbEUlT_E_NS1_11comp_targetILNS1_3genE8ELNS1_11target_archE1030ELNS1_3gpuE2ELNS1_3repE0EEENS1_30default_config_static_selectorELNS0_4arch9wavefront6targetE1EEEvT1_,"axG",@progbits,_ZN7rocprim17ROCPRIM_400000_NS6detail17trampoline_kernelINS0_14default_configENS1_35adjacent_difference_config_selectorILb1EhEEZNS1_24adjacent_difference_implIS3_Lb1ELb0EPhN6thrust23THRUST_200600_302600_NS16discard_iteratorINS9_11use_defaultEEENS9_5minusIhEEEE10hipError_tPvRmT2_T3_mT4_P12ihipStream_tbEUlT_E_NS1_11comp_targetILNS1_3genE8ELNS1_11target_archE1030ELNS1_3gpuE2ELNS1_3repE0EEENS1_30default_config_static_selectorELNS0_4arch9wavefront6targetE1EEEvT1_,comdat
.Lfunc_end699:
	.size	_ZN7rocprim17ROCPRIM_400000_NS6detail17trampoline_kernelINS0_14default_configENS1_35adjacent_difference_config_selectorILb1EhEEZNS1_24adjacent_difference_implIS3_Lb1ELb0EPhN6thrust23THRUST_200600_302600_NS16discard_iteratorINS9_11use_defaultEEENS9_5minusIhEEEE10hipError_tPvRmT2_T3_mT4_P12ihipStream_tbEUlT_E_NS1_11comp_targetILNS1_3genE8ELNS1_11target_archE1030ELNS1_3gpuE2ELNS1_3repE0EEENS1_30default_config_static_selectorELNS0_4arch9wavefront6targetE1EEEvT1_, .Lfunc_end699-_ZN7rocprim17ROCPRIM_400000_NS6detail17trampoline_kernelINS0_14default_configENS1_35adjacent_difference_config_selectorILb1EhEEZNS1_24adjacent_difference_implIS3_Lb1ELb0EPhN6thrust23THRUST_200600_302600_NS16discard_iteratorINS9_11use_defaultEEENS9_5minusIhEEEE10hipError_tPvRmT2_T3_mT4_P12ihipStream_tbEUlT_E_NS1_11comp_targetILNS1_3genE8ELNS1_11target_archE1030ELNS1_3gpuE2ELNS1_3repE0EEENS1_30default_config_static_selectorELNS0_4arch9wavefront6targetE1EEEvT1_
                                        ; -- End function
	.section	.AMDGPU.csdata,"",@progbits
; Kernel info:
; codeLenInByte = 0
; NumSgprs: 6
; NumVgprs: 0
; NumAgprs: 0
; TotalNumVgprs: 0
; ScratchSize: 0
; MemoryBound: 0
; FloatMode: 240
; IeeeMode: 1
; LDSByteSize: 0 bytes/workgroup (compile time only)
; SGPRBlocks: 0
; VGPRBlocks: 0
; NumSGPRsForWavesPerEU: 6
; NumVGPRsForWavesPerEU: 1
; AccumOffset: 4
; Occupancy: 8
; WaveLimiterHint : 0
; COMPUTE_PGM_RSRC2:SCRATCH_EN: 0
; COMPUTE_PGM_RSRC2:USER_SGPR: 2
; COMPUTE_PGM_RSRC2:TRAP_HANDLER: 0
; COMPUTE_PGM_RSRC2:TGID_X_EN: 1
; COMPUTE_PGM_RSRC2:TGID_Y_EN: 0
; COMPUTE_PGM_RSRC2:TGID_Z_EN: 0
; COMPUTE_PGM_RSRC2:TIDIG_COMP_CNT: 0
; COMPUTE_PGM_RSRC3_GFX90A:ACCUM_OFFSET: 0
; COMPUTE_PGM_RSRC3_GFX90A:TG_SPLIT: 0
	.section	.text._ZN7rocprim17ROCPRIM_400000_NS6detail17trampoline_kernelINS0_14default_configENS1_25transform_config_selectorIsLb0EEEZNS1_14transform_implILb0ES3_S5_NS0_18transform_iteratorINS0_17counting_iteratorImlEEZNS1_24adjacent_difference_implIS3_Lb1ELb0EPsN6thrust23THRUST_200600_302600_NS16discard_iteratorINSD_11use_defaultEEENSD_5minusIsEEEE10hipError_tPvRmT2_T3_mT4_P12ihipStream_tbEUlmE_sEESB_NS0_8identityIvEEEESJ_SM_SN_mSO_SQ_bEUlT_E_NS1_11comp_targetILNS1_3genE0ELNS1_11target_archE4294967295ELNS1_3gpuE0ELNS1_3repE0EEENS1_30default_config_static_selectorELNS0_4arch9wavefront6targetE1EEEvT1_,"axG",@progbits,_ZN7rocprim17ROCPRIM_400000_NS6detail17trampoline_kernelINS0_14default_configENS1_25transform_config_selectorIsLb0EEEZNS1_14transform_implILb0ES3_S5_NS0_18transform_iteratorINS0_17counting_iteratorImlEEZNS1_24adjacent_difference_implIS3_Lb1ELb0EPsN6thrust23THRUST_200600_302600_NS16discard_iteratorINSD_11use_defaultEEENSD_5minusIsEEEE10hipError_tPvRmT2_T3_mT4_P12ihipStream_tbEUlmE_sEESB_NS0_8identityIvEEEESJ_SM_SN_mSO_SQ_bEUlT_E_NS1_11comp_targetILNS1_3genE0ELNS1_11target_archE4294967295ELNS1_3gpuE0ELNS1_3repE0EEENS1_30default_config_static_selectorELNS0_4arch9wavefront6targetE1EEEvT1_,comdat
	.protected	_ZN7rocprim17ROCPRIM_400000_NS6detail17trampoline_kernelINS0_14default_configENS1_25transform_config_selectorIsLb0EEEZNS1_14transform_implILb0ES3_S5_NS0_18transform_iteratorINS0_17counting_iteratorImlEEZNS1_24adjacent_difference_implIS3_Lb1ELb0EPsN6thrust23THRUST_200600_302600_NS16discard_iteratorINSD_11use_defaultEEENSD_5minusIsEEEE10hipError_tPvRmT2_T3_mT4_P12ihipStream_tbEUlmE_sEESB_NS0_8identityIvEEEESJ_SM_SN_mSO_SQ_bEUlT_E_NS1_11comp_targetILNS1_3genE0ELNS1_11target_archE4294967295ELNS1_3gpuE0ELNS1_3repE0EEENS1_30default_config_static_selectorELNS0_4arch9wavefront6targetE1EEEvT1_ ; -- Begin function _ZN7rocprim17ROCPRIM_400000_NS6detail17trampoline_kernelINS0_14default_configENS1_25transform_config_selectorIsLb0EEEZNS1_14transform_implILb0ES3_S5_NS0_18transform_iteratorINS0_17counting_iteratorImlEEZNS1_24adjacent_difference_implIS3_Lb1ELb0EPsN6thrust23THRUST_200600_302600_NS16discard_iteratorINSD_11use_defaultEEENSD_5minusIsEEEE10hipError_tPvRmT2_T3_mT4_P12ihipStream_tbEUlmE_sEESB_NS0_8identityIvEEEESJ_SM_SN_mSO_SQ_bEUlT_E_NS1_11comp_targetILNS1_3genE0ELNS1_11target_archE4294967295ELNS1_3gpuE0ELNS1_3repE0EEENS1_30default_config_static_selectorELNS0_4arch9wavefront6targetE1EEEvT1_
	.globl	_ZN7rocprim17ROCPRIM_400000_NS6detail17trampoline_kernelINS0_14default_configENS1_25transform_config_selectorIsLb0EEEZNS1_14transform_implILb0ES3_S5_NS0_18transform_iteratorINS0_17counting_iteratorImlEEZNS1_24adjacent_difference_implIS3_Lb1ELb0EPsN6thrust23THRUST_200600_302600_NS16discard_iteratorINSD_11use_defaultEEENSD_5minusIsEEEE10hipError_tPvRmT2_T3_mT4_P12ihipStream_tbEUlmE_sEESB_NS0_8identityIvEEEESJ_SM_SN_mSO_SQ_bEUlT_E_NS1_11comp_targetILNS1_3genE0ELNS1_11target_archE4294967295ELNS1_3gpuE0ELNS1_3repE0EEENS1_30default_config_static_selectorELNS0_4arch9wavefront6targetE1EEEvT1_
	.p2align	8
	.type	_ZN7rocprim17ROCPRIM_400000_NS6detail17trampoline_kernelINS0_14default_configENS1_25transform_config_selectorIsLb0EEEZNS1_14transform_implILb0ES3_S5_NS0_18transform_iteratorINS0_17counting_iteratorImlEEZNS1_24adjacent_difference_implIS3_Lb1ELb0EPsN6thrust23THRUST_200600_302600_NS16discard_iteratorINSD_11use_defaultEEENSD_5minusIsEEEE10hipError_tPvRmT2_T3_mT4_P12ihipStream_tbEUlmE_sEESB_NS0_8identityIvEEEESJ_SM_SN_mSO_SQ_bEUlT_E_NS1_11comp_targetILNS1_3genE0ELNS1_11target_archE4294967295ELNS1_3gpuE0ELNS1_3repE0EEENS1_30default_config_static_selectorELNS0_4arch9wavefront6targetE1EEEvT1_,@function
_ZN7rocprim17ROCPRIM_400000_NS6detail17trampoline_kernelINS0_14default_configENS1_25transform_config_selectorIsLb0EEEZNS1_14transform_implILb0ES3_S5_NS0_18transform_iteratorINS0_17counting_iteratorImlEEZNS1_24adjacent_difference_implIS3_Lb1ELb0EPsN6thrust23THRUST_200600_302600_NS16discard_iteratorINSD_11use_defaultEEENSD_5minusIsEEEE10hipError_tPvRmT2_T3_mT4_P12ihipStream_tbEUlmE_sEESB_NS0_8identityIvEEEESJ_SM_SN_mSO_SQ_bEUlT_E_NS1_11comp_targetILNS1_3genE0ELNS1_11target_archE4294967295ELNS1_3gpuE0ELNS1_3repE0EEENS1_30default_config_static_selectorELNS0_4arch9wavefront6targetE1EEEvT1_: ; @_ZN7rocprim17ROCPRIM_400000_NS6detail17trampoline_kernelINS0_14default_configENS1_25transform_config_selectorIsLb0EEEZNS1_14transform_implILb0ES3_S5_NS0_18transform_iteratorINS0_17counting_iteratorImlEEZNS1_24adjacent_difference_implIS3_Lb1ELb0EPsN6thrust23THRUST_200600_302600_NS16discard_iteratorINSD_11use_defaultEEENSD_5minusIsEEEE10hipError_tPvRmT2_T3_mT4_P12ihipStream_tbEUlmE_sEESB_NS0_8identityIvEEEESJ_SM_SN_mSO_SQ_bEUlT_E_NS1_11comp_targetILNS1_3genE0ELNS1_11target_archE4294967295ELNS1_3gpuE0ELNS1_3repE0EEENS1_30default_config_static_selectorELNS0_4arch9wavefront6targetE1EEEvT1_
; %bb.0:
	.section	.rodata,"a",@progbits
	.p2align	6, 0x0
	.amdhsa_kernel _ZN7rocprim17ROCPRIM_400000_NS6detail17trampoline_kernelINS0_14default_configENS1_25transform_config_selectorIsLb0EEEZNS1_14transform_implILb0ES3_S5_NS0_18transform_iteratorINS0_17counting_iteratorImlEEZNS1_24adjacent_difference_implIS3_Lb1ELb0EPsN6thrust23THRUST_200600_302600_NS16discard_iteratorINSD_11use_defaultEEENSD_5minusIsEEEE10hipError_tPvRmT2_T3_mT4_P12ihipStream_tbEUlmE_sEESB_NS0_8identityIvEEEESJ_SM_SN_mSO_SQ_bEUlT_E_NS1_11comp_targetILNS1_3genE0ELNS1_11target_archE4294967295ELNS1_3gpuE0ELNS1_3repE0EEENS1_30default_config_static_selectorELNS0_4arch9wavefront6targetE1EEEvT1_
		.amdhsa_group_segment_fixed_size 0
		.amdhsa_private_segment_fixed_size 0
		.amdhsa_kernarg_size 56
		.amdhsa_user_sgpr_count 2
		.amdhsa_user_sgpr_dispatch_ptr 0
		.amdhsa_user_sgpr_queue_ptr 0
		.amdhsa_user_sgpr_kernarg_segment_ptr 1
		.amdhsa_user_sgpr_dispatch_id 0
		.amdhsa_user_sgpr_kernarg_preload_length 0
		.amdhsa_user_sgpr_kernarg_preload_offset 0
		.amdhsa_user_sgpr_private_segment_size 0
		.amdhsa_uses_dynamic_stack 0
		.amdhsa_enable_private_segment 0
		.amdhsa_system_sgpr_workgroup_id_x 1
		.amdhsa_system_sgpr_workgroup_id_y 0
		.amdhsa_system_sgpr_workgroup_id_z 0
		.amdhsa_system_sgpr_workgroup_info 0
		.amdhsa_system_vgpr_workitem_id 0
		.amdhsa_next_free_vgpr 1
		.amdhsa_next_free_sgpr 0
		.amdhsa_accum_offset 4
		.amdhsa_reserve_vcc 0
		.amdhsa_float_round_mode_32 0
		.amdhsa_float_round_mode_16_64 0
		.amdhsa_float_denorm_mode_32 3
		.amdhsa_float_denorm_mode_16_64 3
		.amdhsa_dx10_clamp 1
		.amdhsa_ieee_mode 1
		.amdhsa_fp16_overflow 0
		.amdhsa_tg_split 0
		.amdhsa_exception_fp_ieee_invalid_op 0
		.amdhsa_exception_fp_denorm_src 0
		.amdhsa_exception_fp_ieee_div_zero 0
		.amdhsa_exception_fp_ieee_overflow 0
		.amdhsa_exception_fp_ieee_underflow 0
		.amdhsa_exception_fp_ieee_inexact 0
		.amdhsa_exception_int_div_zero 0
	.end_amdhsa_kernel
	.section	.text._ZN7rocprim17ROCPRIM_400000_NS6detail17trampoline_kernelINS0_14default_configENS1_25transform_config_selectorIsLb0EEEZNS1_14transform_implILb0ES3_S5_NS0_18transform_iteratorINS0_17counting_iteratorImlEEZNS1_24adjacent_difference_implIS3_Lb1ELb0EPsN6thrust23THRUST_200600_302600_NS16discard_iteratorINSD_11use_defaultEEENSD_5minusIsEEEE10hipError_tPvRmT2_T3_mT4_P12ihipStream_tbEUlmE_sEESB_NS0_8identityIvEEEESJ_SM_SN_mSO_SQ_bEUlT_E_NS1_11comp_targetILNS1_3genE0ELNS1_11target_archE4294967295ELNS1_3gpuE0ELNS1_3repE0EEENS1_30default_config_static_selectorELNS0_4arch9wavefront6targetE1EEEvT1_,"axG",@progbits,_ZN7rocprim17ROCPRIM_400000_NS6detail17trampoline_kernelINS0_14default_configENS1_25transform_config_selectorIsLb0EEEZNS1_14transform_implILb0ES3_S5_NS0_18transform_iteratorINS0_17counting_iteratorImlEEZNS1_24adjacent_difference_implIS3_Lb1ELb0EPsN6thrust23THRUST_200600_302600_NS16discard_iteratorINSD_11use_defaultEEENSD_5minusIsEEEE10hipError_tPvRmT2_T3_mT4_P12ihipStream_tbEUlmE_sEESB_NS0_8identityIvEEEESJ_SM_SN_mSO_SQ_bEUlT_E_NS1_11comp_targetILNS1_3genE0ELNS1_11target_archE4294967295ELNS1_3gpuE0ELNS1_3repE0EEENS1_30default_config_static_selectorELNS0_4arch9wavefront6targetE1EEEvT1_,comdat
.Lfunc_end700:
	.size	_ZN7rocprim17ROCPRIM_400000_NS6detail17trampoline_kernelINS0_14default_configENS1_25transform_config_selectorIsLb0EEEZNS1_14transform_implILb0ES3_S5_NS0_18transform_iteratorINS0_17counting_iteratorImlEEZNS1_24adjacent_difference_implIS3_Lb1ELb0EPsN6thrust23THRUST_200600_302600_NS16discard_iteratorINSD_11use_defaultEEENSD_5minusIsEEEE10hipError_tPvRmT2_T3_mT4_P12ihipStream_tbEUlmE_sEESB_NS0_8identityIvEEEESJ_SM_SN_mSO_SQ_bEUlT_E_NS1_11comp_targetILNS1_3genE0ELNS1_11target_archE4294967295ELNS1_3gpuE0ELNS1_3repE0EEENS1_30default_config_static_selectorELNS0_4arch9wavefront6targetE1EEEvT1_, .Lfunc_end700-_ZN7rocprim17ROCPRIM_400000_NS6detail17trampoline_kernelINS0_14default_configENS1_25transform_config_selectorIsLb0EEEZNS1_14transform_implILb0ES3_S5_NS0_18transform_iteratorINS0_17counting_iteratorImlEEZNS1_24adjacent_difference_implIS3_Lb1ELb0EPsN6thrust23THRUST_200600_302600_NS16discard_iteratorINSD_11use_defaultEEENSD_5minusIsEEEE10hipError_tPvRmT2_T3_mT4_P12ihipStream_tbEUlmE_sEESB_NS0_8identityIvEEEESJ_SM_SN_mSO_SQ_bEUlT_E_NS1_11comp_targetILNS1_3genE0ELNS1_11target_archE4294967295ELNS1_3gpuE0ELNS1_3repE0EEENS1_30default_config_static_selectorELNS0_4arch9wavefront6targetE1EEEvT1_
                                        ; -- End function
	.section	.AMDGPU.csdata,"",@progbits
; Kernel info:
; codeLenInByte = 0
; NumSgprs: 6
; NumVgprs: 0
; NumAgprs: 0
; TotalNumVgprs: 0
; ScratchSize: 0
; MemoryBound: 0
; FloatMode: 240
; IeeeMode: 1
; LDSByteSize: 0 bytes/workgroup (compile time only)
; SGPRBlocks: 0
; VGPRBlocks: 0
; NumSGPRsForWavesPerEU: 6
; NumVGPRsForWavesPerEU: 1
; AccumOffset: 4
; Occupancy: 8
; WaveLimiterHint : 0
; COMPUTE_PGM_RSRC2:SCRATCH_EN: 0
; COMPUTE_PGM_RSRC2:USER_SGPR: 2
; COMPUTE_PGM_RSRC2:TRAP_HANDLER: 0
; COMPUTE_PGM_RSRC2:TGID_X_EN: 1
; COMPUTE_PGM_RSRC2:TGID_Y_EN: 0
; COMPUTE_PGM_RSRC2:TGID_Z_EN: 0
; COMPUTE_PGM_RSRC2:TIDIG_COMP_CNT: 0
; COMPUTE_PGM_RSRC3_GFX90A:ACCUM_OFFSET: 0
; COMPUTE_PGM_RSRC3_GFX90A:TG_SPLIT: 0
	.section	.text._ZN7rocprim17ROCPRIM_400000_NS6detail17trampoline_kernelINS0_14default_configENS1_25transform_config_selectorIsLb0EEEZNS1_14transform_implILb0ES3_S5_NS0_18transform_iteratorINS0_17counting_iteratorImlEEZNS1_24adjacent_difference_implIS3_Lb1ELb0EPsN6thrust23THRUST_200600_302600_NS16discard_iteratorINSD_11use_defaultEEENSD_5minusIsEEEE10hipError_tPvRmT2_T3_mT4_P12ihipStream_tbEUlmE_sEESB_NS0_8identityIvEEEESJ_SM_SN_mSO_SQ_bEUlT_E_NS1_11comp_targetILNS1_3genE5ELNS1_11target_archE942ELNS1_3gpuE9ELNS1_3repE0EEENS1_30default_config_static_selectorELNS0_4arch9wavefront6targetE1EEEvT1_,"axG",@progbits,_ZN7rocprim17ROCPRIM_400000_NS6detail17trampoline_kernelINS0_14default_configENS1_25transform_config_selectorIsLb0EEEZNS1_14transform_implILb0ES3_S5_NS0_18transform_iteratorINS0_17counting_iteratorImlEEZNS1_24adjacent_difference_implIS3_Lb1ELb0EPsN6thrust23THRUST_200600_302600_NS16discard_iteratorINSD_11use_defaultEEENSD_5minusIsEEEE10hipError_tPvRmT2_T3_mT4_P12ihipStream_tbEUlmE_sEESB_NS0_8identityIvEEEESJ_SM_SN_mSO_SQ_bEUlT_E_NS1_11comp_targetILNS1_3genE5ELNS1_11target_archE942ELNS1_3gpuE9ELNS1_3repE0EEENS1_30default_config_static_selectorELNS0_4arch9wavefront6targetE1EEEvT1_,comdat
	.protected	_ZN7rocprim17ROCPRIM_400000_NS6detail17trampoline_kernelINS0_14default_configENS1_25transform_config_selectorIsLb0EEEZNS1_14transform_implILb0ES3_S5_NS0_18transform_iteratorINS0_17counting_iteratorImlEEZNS1_24adjacent_difference_implIS3_Lb1ELb0EPsN6thrust23THRUST_200600_302600_NS16discard_iteratorINSD_11use_defaultEEENSD_5minusIsEEEE10hipError_tPvRmT2_T3_mT4_P12ihipStream_tbEUlmE_sEESB_NS0_8identityIvEEEESJ_SM_SN_mSO_SQ_bEUlT_E_NS1_11comp_targetILNS1_3genE5ELNS1_11target_archE942ELNS1_3gpuE9ELNS1_3repE0EEENS1_30default_config_static_selectorELNS0_4arch9wavefront6targetE1EEEvT1_ ; -- Begin function _ZN7rocprim17ROCPRIM_400000_NS6detail17trampoline_kernelINS0_14default_configENS1_25transform_config_selectorIsLb0EEEZNS1_14transform_implILb0ES3_S5_NS0_18transform_iteratorINS0_17counting_iteratorImlEEZNS1_24adjacent_difference_implIS3_Lb1ELb0EPsN6thrust23THRUST_200600_302600_NS16discard_iteratorINSD_11use_defaultEEENSD_5minusIsEEEE10hipError_tPvRmT2_T3_mT4_P12ihipStream_tbEUlmE_sEESB_NS0_8identityIvEEEESJ_SM_SN_mSO_SQ_bEUlT_E_NS1_11comp_targetILNS1_3genE5ELNS1_11target_archE942ELNS1_3gpuE9ELNS1_3repE0EEENS1_30default_config_static_selectorELNS0_4arch9wavefront6targetE1EEEvT1_
	.globl	_ZN7rocprim17ROCPRIM_400000_NS6detail17trampoline_kernelINS0_14default_configENS1_25transform_config_selectorIsLb0EEEZNS1_14transform_implILb0ES3_S5_NS0_18transform_iteratorINS0_17counting_iteratorImlEEZNS1_24adjacent_difference_implIS3_Lb1ELb0EPsN6thrust23THRUST_200600_302600_NS16discard_iteratorINSD_11use_defaultEEENSD_5minusIsEEEE10hipError_tPvRmT2_T3_mT4_P12ihipStream_tbEUlmE_sEESB_NS0_8identityIvEEEESJ_SM_SN_mSO_SQ_bEUlT_E_NS1_11comp_targetILNS1_3genE5ELNS1_11target_archE942ELNS1_3gpuE9ELNS1_3repE0EEENS1_30default_config_static_selectorELNS0_4arch9wavefront6targetE1EEEvT1_
	.p2align	8
	.type	_ZN7rocprim17ROCPRIM_400000_NS6detail17trampoline_kernelINS0_14default_configENS1_25transform_config_selectorIsLb0EEEZNS1_14transform_implILb0ES3_S5_NS0_18transform_iteratorINS0_17counting_iteratorImlEEZNS1_24adjacent_difference_implIS3_Lb1ELb0EPsN6thrust23THRUST_200600_302600_NS16discard_iteratorINSD_11use_defaultEEENSD_5minusIsEEEE10hipError_tPvRmT2_T3_mT4_P12ihipStream_tbEUlmE_sEESB_NS0_8identityIvEEEESJ_SM_SN_mSO_SQ_bEUlT_E_NS1_11comp_targetILNS1_3genE5ELNS1_11target_archE942ELNS1_3gpuE9ELNS1_3repE0EEENS1_30default_config_static_selectorELNS0_4arch9wavefront6targetE1EEEvT1_,@function
_ZN7rocprim17ROCPRIM_400000_NS6detail17trampoline_kernelINS0_14default_configENS1_25transform_config_selectorIsLb0EEEZNS1_14transform_implILb0ES3_S5_NS0_18transform_iteratorINS0_17counting_iteratorImlEEZNS1_24adjacent_difference_implIS3_Lb1ELb0EPsN6thrust23THRUST_200600_302600_NS16discard_iteratorINSD_11use_defaultEEENSD_5minusIsEEEE10hipError_tPvRmT2_T3_mT4_P12ihipStream_tbEUlmE_sEESB_NS0_8identityIvEEEESJ_SM_SN_mSO_SQ_bEUlT_E_NS1_11comp_targetILNS1_3genE5ELNS1_11target_archE942ELNS1_3gpuE9ELNS1_3repE0EEENS1_30default_config_static_selectorELNS0_4arch9wavefront6targetE1EEEvT1_: ; @_ZN7rocprim17ROCPRIM_400000_NS6detail17trampoline_kernelINS0_14default_configENS1_25transform_config_selectorIsLb0EEEZNS1_14transform_implILb0ES3_S5_NS0_18transform_iteratorINS0_17counting_iteratorImlEEZNS1_24adjacent_difference_implIS3_Lb1ELb0EPsN6thrust23THRUST_200600_302600_NS16discard_iteratorINSD_11use_defaultEEENSD_5minusIsEEEE10hipError_tPvRmT2_T3_mT4_P12ihipStream_tbEUlmE_sEESB_NS0_8identityIvEEEESJ_SM_SN_mSO_SQ_bEUlT_E_NS1_11comp_targetILNS1_3genE5ELNS1_11target_archE942ELNS1_3gpuE9ELNS1_3repE0EEENS1_30default_config_static_selectorELNS0_4arch9wavefront6targetE1EEEvT1_
; %bb.0:
	s_load_dwordx4 s[4:7], s[0:1], 0x18
	s_load_dwordx2 s[8:9], s[0:1], 0x28
	s_load_dwordx4 s[12:15], s[0:1], 0x0
	s_load_dword s20, s[0:1], 0x10
	s_load_dword s3, s[0:1], 0x38
	s_waitcnt lgkmcnt(0)
	s_lshl_b64 s[0:1], s[4:5], 1
	s_add_u32 s26, s8, s0
	s_addc_u32 s27, s9, s1
	s_lshl_b32 s18, s2, 11
	s_add_i32 s3, s3, -1
	s_add_u32 s0, s12, s18
	s_addc_u32 s1, s13, 0
	s_add_u32 s22, s0, s4
	s_addc_u32 s23, s1, s5
	s_mov_b32 s19, 0
	s_cmp_lg_u32 s2, s3
	v_lshlrev_b32_e32 v6, 1, v0
	s_cbranch_scc0 .LBB701_2
; %bb.1:
	v_mov_b32_e32 v1, 0
	v_lshl_add_u64 v[2:3], s[22:23], 0, v[0:1]
	v_mad_u64_u32 v[4:5], s[0:1], v2, s20, 0
	v_mov_b32_e32 v2, v5
	v_mad_u64_u32 v[2:3], s[0:1], v3, s20, v[2:3]
	s_mov_b32 s21, s19
	v_mov_b32_e32 v5, v2
	v_lshl_add_u64 v[2:3], v[4:5], 1, s[14:15]
	s_lshl_b64 s[0:1], s[20:21], 9
	v_lshl_add_u64 v[4:5], v[2:3], 0, s[0:1]
	v_lshl_add_u64 v[8:9], v[4:5], 0, s[0:1]
	;; [unrolled: 1-line block ×4, first 2 shown]
	global_load_ushort v14, v[2:3], off
	global_load_ushort v15, v[4:5], off
	;; [unrolled: 1-line block ×5, first 2 shown]
	v_lshl_add_u64 v[2:3], v[12:13], 0, s[0:1]
	global_load_ushort v4, v[2:3], off
	v_lshl_add_u64 v[2:3], v[2:3], 0, s[0:1]
	global_load_ushort v5, v[2:3], off
	;; [unrolled: 2-line block ×3, first 2 shown]
	s_lshl_b64 s[2:3], s[18:19], 1
	s_add_u32 s2, s26, s2
	v_mov_b32_e32 v7, v1
	s_addc_u32 s3, s27, s3
	v_lshl_add_u64 v[8:9], s[2:3], 0, v[6:7]
	s_mov_b64 s[16:17], -1
	s_waitcnt vmcnt(7)
	global_store_short v6, v14, s[2:3]
	s_waitcnt vmcnt(7)
	global_store_short v6, v15, s[2:3] offset:512
	s_waitcnt vmcnt(7)
	global_store_short v6, v16, s[2:3] offset:1024
	s_waitcnt vmcnt(7)
	global_store_short v6, v17, s[2:3] offset:1536
	s_waitcnt vmcnt(7)
	global_store_short v6, v18, s[2:3] offset:2048
	s_waitcnt vmcnt(7)
	global_store_short v6, v4, s[2:3] offset:2560
	s_waitcnt vmcnt(7)
	global_store_short v6, v5, s[2:3] offset:3072
	s_cbranch_execz .LBB701_3
	s_branch .LBB701_32
.LBB701_2:
	s_mov_b64 s[16:17], 0
                                        ; implicit-def: $vgpr2
                                        ; implicit-def: $vgpr8_vgpr9
.LBB701_3:
	s_sub_i32 s21, s6, s18
	v_cmp_gt_u32_e32 vcc, s21, v0
                                        ; implicit-def: $vgpr2_vgpr3_vgpr4_vgpr5
	s_and_saveexec_b64 s[0:1], vcc
	s_cbranch_execz .LBB701_5
; %bb.4:
	v_mov_b32_e32 v1, 0
	s_waitcnt vmcnt(7)
	v_lshl_add_u64 v[2:3], s[22:23], 0, v[0:1]
	v_mad_u64_u32 v[4:5], s[2:3], v2, s20, 0
	v_mov_b32_e32 v2, v5
	v_mad_u64_u32 v[2:3], s[2:3], v3, s20, v[2:3]
	v_mov_b32_e32 v5, v2
	v_lshl_add_u64 v[2:3], v[4:5], 1, s[14:15]
	global_load_ushort v2, v[2:3], off
.LBB701_5:
	s_or_b64 exec, exec, s[0:1]
	v_or_b32_e32 v8, 0x100, v0
	v_cmp_gt_u32_e64 s[0:1], s21, v8
	s_and_saveexec_b64 s[2:3], s[0:1]
	s_cbranch_execz .LBB701_7
; %bb.6:
	v_mov_b32_e32 v9, 0
	v_lshl_add_u64 v[8:9], s[22:23], 0, v[8:9]
	v_mad_u64_u32 v[10:11], s[4:5], v8, s20, 0
	v_mov_b32_e32 v8, v11
	v_mad_u64_u32 v[8:9], s[4:5], v9, s20, v[8:9]
	v_mov_b32_e32 v11, v8
	v_lshl_add_u64 v[8:9], v[10:11], 1, s[14:15]
	global_load_ushort v1, v[8:9], off
	s_mov_b32 s4, 0x5040100
	s_waitcnt vmcnt(0)
	v_perm_b32 v2, v1, v2, s4
.LBB701_7:
	s_or_b64 exec, exec, s[2:3]
	v_or_b32_e32 v8, 0x200, v0
	v_cmp_gt_u32_e64 s[2:3], s21, v8
	s_and_saveexec_b64 s[4:5], s[2:3]
	s_cbranch_execz .LBB701_9
; %bb.8:
	v_mov_b32_e32 v9, 0
	v_lshl_add_u64 v[8:9], s[22:23], 0, v[8:9]
	v_mad_u64_u32 v[10:11], s[6:7], v8, s20, 0
	v_mov_b32_e32 v8, v11
	v_mad_u64_u32 v[8:9], s[6:7], v9, s20, v[8:9]
	v_mov_b32_e32 v11, v8
	v_lshl_add_u64 v[8:9], v[10:11], 1, s[14:15]
	global_load_ushort v1, v[8:9], off
	s_mov_b32 s6, 0xffff
	s_waitcnt vmcnt(0)
	v_bfi_b32 v3, s6, v1, v3
.LBB701_9:
	s_or_b64 exec, exec, s[4:5]
	v_or_b32_e32 v8, 0x300, v0
	v_cmp_gt_u32_e64 s[4:5], s21, v8
	s_and_saveexec_b64 s[6:7], s[4:5]
	s_cbranch_execz .LBB701_11
; %bb.10:
	v_mov_b32_e32 v9, 0
	v_lshl_add_u64 v[8:9], s[22:23], 0, v[8:9]
	v_mad_u64_u32 v[10:11], s[8:9], v8, s20, 0
	v_mov_b32_e32 v8, v11
	v_mad_u64_u32 v[8:9], s[8:9], v9, s20, v[8:9]
	v_mov_b32_e32 v11, v8
	v_lshl_add_u64 v[8:9], v[10:11], 1, s[14:15]
	global_load_ushort v1, v[8:9], off
	s_mov_b32 s8, 0x5040100
	s_waitcnt vmcnt(0)
	v_perm_b32 v3, v1, v3, s8
.LBB701_11:
	s_or_b64 exec, exec, s[6:7]
	v_or_b32_e32 v8, 0x400, v0
	v_cmp_gt_u32_e64 s[6:7], s21, v8
	s_and_saveexec_b64 s[8:9], s[6:7]
	s_cbranch_execz .LBB701_13
; %bb.12:
	v_mov_b32_e32 v9, 0
	v_lshl_add_u64 v[8:9], s[22:23], 0, v[8:9]
	v_mad_u64_u32 v[10:11], s[10:11], v8, s20, 0
	v_mov_b32_e32 v8, v11
	v_mad_u64_u32 v[8:9], s[10:11], v9, s20, v[8:9]
	v_mov_b32_e32 v11, v8
	v_lshl_add_u64 v[8:9], v[10:11], 1, s[14:15]
	global_load_ushort v1, v[8:9], off
	s_mov_b32 s10, 0xffff
	s_waitcnt vmcnt(0)
	v_bfi_b32 v4, s10, v1, v4
.LBB701_13:
	;; [unrolled: 36-line block ×3, first 2 shown]
	s_or_b64 exec, exec, s[12:13]
	v_or_b32_e32 v0, 0x700, v0
	v_cmp_gt_u32_e64 s[12:13], s21, v0
	s_and_saveexec_b64 s[24:25], s[12:13]
	s_cbranch_execz .LBB701_19
; %bb.18:
	v_mov_b32_e32 v1, 0
	v_lshl_add_u64 v[0:1], s[22:23], 0, v[0:1]
	v_mad_u64_u32 v[8:9], s[22:23], v0, s20, 0
	v_mov_b32_e32 v0, v9
	v_mad_u64_u32 v[0:1], s[20:21], v1, s20, v[0:1]
	v_mov_b32_e32 v9, v0
	v_lshl_add_u64 v[0:1], v[8:9], 1, s[14:15]
	global_load_ushort v0, v[0:1], off
	s_mov_b32 s14, 0x5040100
	s_waitcnt vmcnt(0)
	v_perm_b32 v5, v0, v5, s14
.LBB701_19:
	s_or_b64 exec, exec, s[24:25]
	s_lshl_b64 s[14:15], s[18:19], 1
	s_add_u32 s14, s26, s14
	s_addc_u32 s15, s27, s15
	v_mov_b32_e32 v7, 0
	v_lshl_add_u64 v[8:9], s[14:15], 0, v[6:7]
	s_and_saveexec_b64 s[14:15], vcc
	s_cbranch_execnz .LBB701_35
; %bb.20:
	s_or_b64 exec, exec, s[14:15]
	s_and_saveexec_b64 s[14:15], s[0:1]
	s_cbranch_execnz .LBB701_36
.LBB701_21:
	s_or_b64 exec, exec, s[14:15]
	s_mov_b32 s14, 0xffff
	s_and_saveexec_b64 s[0:1], s[2:3]
	s_cbranch_execz .LBB701_23
.LBB701_22:
	global_store_short v[8:9], v3, off offset:1024
.LBB701_23:
	s_or_b64 exec, exec, s[0:1]
	v_bfi_b32 v0, s14, v3, v3
	v_cndmask_b32_e64 v0, v0, v3, s[4:5]
	s_and_saveexec_b64 s[0:1], s[4:5]
	s_cbranch_execz .LBB701_25
; %bb.24:
	global_store_short_d16_hi v[8:9], v0, off offset:1536
.LBB701_25:
	s_or_b64 exec, exec, s[0:1]
	s_mov_b32 s2, 0xffff
	v_cndmask_b32_e64 v0, v4, v4, s[6:7]
	s_and_saveexec_b64 s[0:1], s[6:7]
	s_cbranch_execz .LBB701_27
; %bb.26:
	global_store_short v[8:9], v0, off offset:2048
.LBB701_27:
	s_or_b64 exec, exec, s[0:1]
	v_bfi_b32 v0, s2, v0, v4
	v_cndmask_b32_e64 v0, v0, v4, s[8:9]
	s_and_saveexec_b64 s[0:1], s[8:9]
	s_cbranch_execnz .LBB701_37
; %bb.28:
	s_or_b64 exec, exec, s[0:1]
	s_and_saveexec_b64 s[0:1], s[10:11]
	s_cbranch_execnz .LBB701_38
.LBB701_29:
	s_or_b64 exec, exec, s[0:1]
                                        ; implicit-def: $vgpr2
	s_and_saveexec_b64 s[0:1], s[12:13]
	s_cbranch_execz .LBB701_31
.LBB701_30:
	v_cndmask_b32_e64 v0, v5, v5, s[12:13]
	s_waitcnt vmcnt(0)
	v_lshrrev_b32_e32 v2, 16, v0
	s_or_b64 s[16:17], s[16:17], exec
.LBB701_31:
	s_or_b64 exec, exec, s[0:1]
.LBB701_32:
	s_and_saveexec_b64 s[0:1], s[16:17]
	s_cbranch_execnz .LBB701_34
; %bb.33:
	s_endpgm
.LBB701_34:
	s_waitcnt vmcnt(0)
	global_store_short v[8:9], v2, off offset:3584
	s_endpgm
.LBB701_35:
	s_waitcnt vmcnt(0)
	global_store_short v[8:9], v2, off
	s_or_b64 exec, exec, s[14:15]
	s_and_saveexec_b64 s[14:15], s[0:1]
	s_cbranch_execz .LBB701_21
.LBB701_36:
	s_waitcnt vmcnt(0)
	global_store_short_d16_hi v[8:9], v2, off offset:512
	s_or_b64 exec, exec, s[14:15]
	s_mov_b32 s14, 0xffff
	s_and_saveexec_b64 s[0:1], s[2:3]
	s_cbranch_execnz .LBB701_22
	s_branch .LBB701_23
.LBB701_37:
	global_store_short_d16_hi v[8:9], v0, off offset:2560
	s_or_b64 exec, exec, s[0:1]
	s_and_saveexec_b64 s[0:1], s[10:11]
	s_cbranch_execz .LBB701_29
.LBB701_38:
	v_cndmask_b32_e64 v0, v5, v5, s[10:11]
	global_store_short v[8:9], v0, off offset:3072
	s_or_b64 exec, exec, s[0:1]
                                        ; implicit-def: $vgpr2
	s_and_saveexec_b64 s[0:1], s[12:13]
	s_cbranch_execnz .LBB701_30
	s_branch .LBB701_31
	.section	.rodata,"a",@progbits
	.p2align	6, 0x0
	.amdhsa_kernel _ZN7rocprim17ROCPRIM_400000_NS6detail17trampoline_kernelINS0_14default_configENS1_25transform_config_selectorIsLb0EEEZNS1_14transform_implILb0ES3_S5_NS0_18transform_iteratorINS0_17counting_iteratorImlEEZNS1_24adjacent_difference_implIS3_Lb1ELb0EPsN6thrust23THRUST_200600_302600_NS16discard_iteratorINSD_11use_defaultEEENSD_5minusIsEEEE10hipError_tPvRmT2_T3_mT4_P12ihipStream_tbEUlmE_sEESB_NS0_8identityIvEEEESJ_SM_SN_mSO_SQ_bEUlT_E_NS1_11comp_targetILNS1_3genE5ELNS1_11target_archE942ELNS1_3gpuE9ELNS1_3repE0EEENS1_30default_config_static_selectorELNS0_4arch9wavefront6targetE1EEEvT1_
		.amdhsa_group_segment_fixed_size 0
		.amdhsa_private_segment_fixed_size 0
		.amdhsa_kernarg_size 312
		.amdhsa_user_sgpr_count 2
		.amdhsa_user_sgpr_dispatch_ptr 0
		.amdhsa_user_sgpr_queue_ptr 0
		.amdhsa_user_sgpr_kernarg_segment_ptr 1
		.amdhsa_user_sgpr_dispatch_id 0
		.amdhsa_user_sgpr_kernarg_preload_length 0
		.amdhsa_user_sgpr_kernarg_preload_offset 0
		.amdhsa_user_sgpr_private_segment_size 0
		.amdhsa_uses_dynamic_stack 0
		.amdhsa_enable_private_segment 0
		.amdhsa_system_sgpr_workgroup_id_x 1
		.amdhsa_system_sgpr_workgroup_id_y 0
		.amdhsa_system_sgpr_workgroup_id_z 0
		.amdhsa_system_sgpr_workgroup_info 0
		.amdhsa_system_vgpr_workitem_id 0
		.amdhsa_next_free_vgpr 19
		.amdhsa_next_free_sgpr 28
		.amdhsa_accum_offset 20
		.amdhsa_reserve_vcc 1
		.amdhsa_float_round_mode_32 0
		.amdhsa_float_round_mode_16_64 0
		.amdhsa_float_denorm_mode_32 3
		.amdhsa_float_denorm_mode_16_64 3
		.amdhsa_dx10_clamp 1
		.amdhsa_ieee_mode 1
		.amdhsa_fp16_overflow 0
		.amdhsa_tg_split 0
		.amdhsa_exception_fp_ieee_invalid_op 0
		.amdhsa_exception_fp_denorm_src 0
		.amdhsa_exception_fp_ieee_div_zero 0
		.amdhsa_exception_fp_ieee_overflow 0
		.amdhsa_exception_fp_ieee_underflow 0
		.amdhsa_exception_fp_ieee_inexact 0
		.amdhsa_exception_int_div_zero 0
	.end_amdhsa_kernel
	.section	.text._ZN7rocprim17ROCPRIM_400000_NS6detail17trampoline_kernelINS0_14default_configENS1_25transform_config_selectorIsLb0EEEZNS1_14transform_implILb0ES3_S5_NS0_18transform_iteratorINS0_17counting_iteratorImlEEZNS1_24adjacent_difference_implIS3_Lb1ELb0EPsN6thrust23THRUST_200600_302600_NS16discard_iteratorINSD_11use_defaultEEENSD_5minusIsEEEE10hipError_tPvRmT2_T3_mT4_P12ihipStream_tbEUlmE_sEESB_NS0_8identityIvEEEESJ_SM_SN_mSO_SQ_bEUlT_E_NS1_11comp_targetILNS1_3genE5ELNS1_11target_archE942ELNS1_3gpuE9ELNS1_3repE0EEENS1_30default_config_static_selectorELNS0_4arch9wavefront6targetE1EEEvT1_,"axG",@progbits,_ZN7rocprim17ROCPRIM_400000_NS6detail17trampoline_kernelINS0_14default_configENS1_25transform_config_selectorIsLb0EEEZNS1_14transform_implILb0ES3_S5_NS0_18transform_iteratorINS0_17counting_iteratorImlEEZNS1_24adjacent_difference_implIS3_Lb1ELb0EPsN6thrust23THRUST_200600_302600_NS16discard_iteratorINSD_11use_defaultEEENSD_5minusIsEEEE10hipError_tPvRmT2_T3_mT4_P12ihipStream_tbEUlmE_sEESB_NS0_8identityIvEEEESJ_SM_SN_mSO_SQ_bEUlT_E_NS1_11comp_targetILNS1_3genE5ELNS1_11target_archE942ELNS1_3gpuE9ELNS1_3repE0EEENS1_30default_config_static_selectorELNS0_4arch9wavefront6targetE1EEEvT1_,comdat
.Lfunc_end701:
	.size	_ZN7rocprim17ROCPRIM_400000_NS6detail17trampoline_kernelINS0_14default_configENS1_25transform_config_selectorIsLb0EEEZNS1_14transform_implILb0ES3_S5_NS0_18transform_iteratorINS0_17counting_iteratorImlEEZNS1_24adjacent_difference_implIS3_Lb1ELb0EPsN6thrust23THRUST_200600_302600_NS16discard_iteratorINSD_11use_defaultEEENSD_5minusIsEEEE10hipError_tPvRmT2_T3_mT4_P12ihipStream_tbEUlmE_sEESB_NS0_8identityIvEEEESJ_SM_SN_mSO_SQ_bEUlT_E_NS1_11comp_targetILNS1_3genE5ELNS1_11target_archE942ELNS1_3gpuE9ELNS1_3repE0EEENS1_30default_config_static_selectorELNS0_4arch9wavefront6targetE1EEEvT1_, .Lfunc_end701-_ZN7rocprim17ROCPRIM_400000_NS6detail17trampoline_kernelINS0_14default_configENS1_25transform_config_selectorIsLb0EEEZNS1_14transform_implILb0ES3_S5_NS0_18transform_iteratorINS0_17counting_iteratorImlEEZNS1_24adjacent_difference_implIS3_Lb1ELb0EPsN6thrust23THRUST_200600_302600_NS16discard_iteratorINSD_11use_defaultEEENSD_5minusIsEEEE10hipError_tPvRmT2_T3_mT4_P12ihipStream_tbEUlmE_sEESB_NS0_8identityIvEEEESJ_SM_SN_mSO_SQ_bEUlT_E_NS1_11comp_targetILNS1_3genE5ELNS1_11target_archE942ELNS1_3gpuE9ELNS1_3repE0EEENS1_30default_config_static_selectorELNS0_4arch9wavefront6targetE1EEEvT1_
                                        ; -- End function
	.section	.AMDGPU.csdata,"",@progbits
; Kernel info:
; codeLenInByte = 1528
; NumSgprs: 34
; NumVgprs: 19
; NumAgprs: 0
; TotalNumVgprs: 19
; ScratchSize: 0
; MemoryBound: 0
; FloatMode: 240
; IeeeMode: 1
; LDSByteSize: 0 bytes/workgroup (compile time only)
; SGPRBlocks: 4
; VGPRBlocks: 2
; NumSGPRsForWavesPerEU: 34
; NumVGPRsForWavesPerEU: 19
; AccumOffset: 20
; Occupancy: 8
; WaveLimiterHint : 1
; COMPUTE_PGM_RSRC2:SCRATCH_EN: 0
; COMPUTE_PGM_RSRC2:USER_SGPR: 2
; COMPUTE_PGM_RSRC2:TRAP_HANDLER: 0
; COMPUTE_PGM_RSRC2:TGID_X_EN: 1
; COMPUTE_PGM_RSRC2:TGID_Y_EN: 0
; COMPUTE_PGM_RSRC2:TGID_Z_EN: 0
; COMPUTE_PGM_RSRC2:TIDIG_COMP_CNT: 0
; COMPUTE_PGM_RSRC3_GFX90A:ACCUM_OFFSET: 4
; COMPUTE_PGM_RSRC3_GFX90A:TG_SPLIT: 0
	.section	.text._ZN7rocprim17ROCPRIM_400000_NS6detail17trampoline_kernelINS0_14default_configENS1_25transform_config_selectorIsLb0EEEZNS1_14transform_implILb0ES3_S5_NS0_18transform_iteratorINS0_17counting_iteratorImlEEZNS1_24adjacent_difference_implIS3_Lb1ELb0EPsN6thrust23THRUST_200600_302600_NS16discard_iteratorINSD_11use_defaultEEENSD_5minusIsEEEE10hipError_tPvRmT2_T3_mT4_P12ihipStream_tbEUlmE_sEESB_NS0_8identityIvEEEESJ_SM_SN_mSO_SQ_bEUlT_E_NS1_11comp_targetILNS1_3genE4ELNS1_11target_archE910ELNS1_3gpuE8ELNS1_3repE0EEENS1_30default_config_static_selectorELNS0_4arch9wavefront6targetE1EEEvT1_,"axG",@progbits,_ZN7rocprim17ROCPRIM_400000_NS6detail17trampoline_kernelINS0_14default_configENS1_25transform_config_selectorIsLb0EEEZNS1_14transform_implILb0ES3_S5_NS0_18transform_iteratorINS0_17counting_iteratorImlEEZNS1_24adjacent_difference_implIS3_Lb1ELb0EPsN6thrust23THRUST_200600_302600_NS16discard_iteratorINSD_11use_defaultEEENSD_5minusIsEEEE10hipError_tPvRmT2_T3_mT4_P12ihipStream_tbEUlmE_sEESB_NS0_8identityIvEEEESJ_SM_SN_mSO_SQ_bEUlT_E_NS1_11comp_targetILNS1_3genE4ELNS1_11target_archE910ELNS1_3gpuE8ELNS1_3repE0EEENS1_30default_config_static_selectorELNS0_4arch9wavefront6targetE1EEEvT1_,comdat
	.protected	_ZN7rocprim17ROCPRIM_400000_NS6detail17trampoline_kernelINS0_14default_configENS1_25transform_config_selectorIsLb0EEEZNS1_14transform_implILb0ES3_S5_NS0_18transform_iteratorINS0_17counting_iteratorImlEEZNS1_24adjacent_difference_implIS3_Lb1ELb0EPsN6thrust23THRUST_200600_302600_NS16discard_iteratorINSD_11use_defaultEEENSD_5minusIsEEEE10hipError_tPvRmT2_T3_mT4_P12ihipStream_tbEUlmE_sEESB_NS0_8identityIvEEEESJ_SM_SN_mSO_SQ_bEUlT_E_NS1_11comp_targetILNS1_3genE4ELNS1_11target_archE910ELNS1_3gpuE8ELNS1_3repE0EEENS1_30default_config_static_selectorELNS0_4arch9wavefront6targetE1EEEvT1_ ; -- Begin function _ZN7rocprim17ROCPRIM_400000_NS6detail17trampoline_kernelINS0_14default_configENS1_25transform_config_selectorIsLb0EEEZNS1_14transform_implILb0ES3_S5_NS0_18transform_iteratorINS0_17counting_iteratorImlEEZNS1_24adjacent_difference_implIS3_Lb1ELb0EPsN6thrust23THRUST_200600_302600_NS16discard_iteratorINSD_11use_defaultEEENSD_5minusIsEEEE10hipError_tPvRmT2_T3_mT4_P12ihipStream_tbEUlmE_sEESB_NS0_8identityIvEEEESJ_SM_SN_mSO_SQ_bEUlT_E_NS1_11comp_targetILNS1_3genE4ELNS1_11target_archE910ELNS1_3gpuE8ELNS1_3repE0EEENS1_30default_config_static_selectorELNS0_4arch9wavefront6targetE1EEEvT1_
	.globl	_ZN7rocprim17ROCPRIM_400000_NS6detail17trampoline_kernelINS0_14default_configENS1_25transform_config_selectorIsLb0EEEZNS1_14transform_implILb0ES3_S5_NS0_18transform_iteratorINS0_17counting_iteratorImlEEZNS1_24adjacent_difference_implIS3_Lb1ELb0EPsN6thrust23THRUST_200600_302600_NS16discard_iteratorINSD_11use_defaultEEENSD_5minusIsEEEE10hipError_tPvRmT2_T3_mT4_P12ihipStream_tbEUlmE_sEESB_NS0_8identityIvEEEESJ_SM_SN_mSO_SQ_bEUlT_E_NS1_11comp_targetILNS1_3genE4ELNS1_11target_archE910ELNS1_3gpuE8ELNS1_3repE0EEENS1_30default_config_static_selectorELNS0_4arch9wavefront6targetE1EEEvT1_
	.p2align	8
	.type	_ZN7rocprim17ROCPRIM_400000_NS6detail17trampoline_kernelINS0_14default_configENS1_25transform_config_selectorIsLb0EEEZNS1_14transform_implILb0ES3_S5_NS0_18transform_iteratorINS0_17counting_iteratorImlEEZNS1_24adjacent_difference_implIS3_Lb1ELb0EPsN6thrust23THRUST_200600_302600_NS16discard_iteratorINSD_11use_defaultEEENSD_5minusIsEEEE10hipError_tPvRmT2_T3_mT4_P12ihipStream_tbEUlmE_sEESB_NS0_8identityIvEEEESJ_SM_SN_mSO_SQ_bEUlT_E_NS1_11comp_targetILNS1_3genE4ELNS1_11target_archE910ELNS1_3gpuE8ELNS1_3repE0EEENS1_30default_config_static_selectorELNS0_4arch9wavefront6targetE1EEEvT1_,@function
_ZN7rocprim17ROCPRIM_400000_NS6detail17trampoline_kernelINS0_14default_configENS1_25transform_config_selectorIsLb0EEEZNS1_14transform_implILb0ES3_S5_NS0_18transform_iteratorINS0_17counting_iteratorImlEEZNS1_24adjacent_difference_implIS3_Lb1ELb0EPsN6thrust23THRUST_200600_302600_NS16discard_iteratorINSD_11use_defaultEEENSD_5minusIsEEEE10hipError_tPvRmT2_T3_mT4_P12ihipStream_tbEUlmE_sEESB_NS0_8identityIvEEEESJ_SM_SN_mSO_SQ_bEUlT_E_NS1_11comp_targetILNS1_3genE4ELNS1_11target_archE910ELNS1_3gpuE8ELNS1_3repE0EEENS1_30default_config_static_selectorELNS0_4arch9wavefront6targetE1EEEvT1_: ; @_ZN7rocprim17ROCPRIM_400000_NS6detail17trampoline_kernelINS0_14default_configENS1_25transform_config_selectorIsLb0EEEZNS1_14transform_implILb0ES3_S5_NS0_18transform_iteratorINS0_17counting_iteratorImlEEZNS1_24adjacent_difference_implIS3_Lb1ELb0EPsN6thrust23THRUST_200600_302600_NS16discard_iteratorINSD_11use_defaultEEENSD_5minusIsEEEE10hipError_tPvRmT2_T3_mT4_P12ihipStream_tbEUlmE_sEESB_NS0_8identityIvEEEESJ_SM_SN_mSO_SQ_bEUlT_E_NS1_11comp_targetILNS1_3genE4ELNS1_11target_archE910ELNS1_3gpuE8ELNS1_3repE0EEENS1_30default_config_static_selectorELNS0_4arch9wavefront6targetE1EEEvT1_
; %bb.0:
	.section	.rodata,"a",@progbits
	.p2align	6, 0x0
	.amdhsa_kernel _ZN7rocprim17ROCPRIM_400000_NS6detail17trampoline_kernelINS0_14default_configENS1_25transform_config_selectorIsLb0EEEZNS1_14transform_implILb0ES3_S5_NS0_18transform_iteratorINS0_17counting_iteratorImlEEZNS1_24adjacent_difference_implIS3_Lb1ELb0EPsN6thrust23THRUST_200600_302600_NS16discard_iteratorINSD_11use_defaultEEENSD_5minusIsEEEE10hipError_tPvRmT2_T3_mT4_P12ihipStream_tbEUlmE_sEESB_NS0_8identityIvEEEESJ_SM_SN_mSO_SQ_bEUlT_E_NS1_11comp_targetILNS1_3genE4ELNS1_11target_archE910ELNS1_3gpuE8ELNS1_3repE0EEENS1_30default_config_static_selectorELNS0_4arch9wavefront6targetE1EEEvT1_
		.amdhsa_group_segment_fixed_size 0
		.amdhsa_private_segment_fixed_size 0
		.amdhsa_kernarg_size 56
		.amdhsa_user_sgpr_count 2
		.amdhsa_user_sgpr_dispatch_ptr 0
		.amdhsa_user_sgpr_queue_ptr 0
		.amdhsa_user_sgpr_kernarg_segment_ptr 1
		.amdhsa_user_sgpr_dispatch_id 0
		.amdhsa_user_sgpr_kernarg_preload_length 0
		.amdhsa_user_sgpr_kernarg_preload_offset 0
		.amdhsa_user_sgpr_private_segment_size 0
		.amdhsa_uses_dynamic_stack 0
		.amdhsa_enable_private_segment 0
		.amdhsa_system_sgpr_workgroup_id_x 1
		.amdhsa_system_sgpr_workgroup_id_y 0
		.amdhsa_system_sgpr_workgroup_id_z 0
		.amdhsa_system_sgpr_workgroup_info 0
		.amdhsa_system_vgpr_workitem_id 0
		.amdhsa_next_free_vgpr 1
		.amdhsa_next_free_sgpr 0
		.amdhsa_accum_offset 4
		.amdhsa_reserve_vcc 0
		.amdhsa_float_round_mode_32 0
		.amdhsa_float_round_mode_16_64 0
		.amdhsa_float_denorm_mode_32 3
		.amdhsa_float_denorm_mode_16_64 3
		.amdhsa_dx10_clamp 1
		.amdhsa_ieee_mode 1
		.amdhsa_fp16_overflow 0
		.amdhsa_tg_split 0
		.amdhsa_exception_fp_ieee_invalid_op 0
		.amdhsa_exception_fp_denorm_src 0
		.amdhsa_exception_fp_ieee_div_zero 0
		.amdhsa_exception_fp_ieee_overflow 0
		.amdhsa_exception_fp_ieee_underflow 0
		.amdhsa_exception_fp_ieee_inexact 0
		.amdhsa_exception_int_div_zero 0
	.end_amdhsa_kernel
	.section	.text._ZN7rocprim17ROCPRIM_400000_NS6detail17trampoline_kernelINS0_14default_configENS1_25transform_config_selectorIsLb0EEEZNS1_14transform_implILb0ES3_S5_NS0_18transform_iteratorINS0_17counting_iteratorImlEEZNS1_24adjacent_difference_implIS3_Lb1ELb0EPsN6thrust23THRUST_200600_302600_NS16discard_iteratorINSD_11use_defaultEEENSD_5minusIsEEEE10hipError_tPvRmT2_T3_mT4_P12ihipStream_tbEUlmE_sEESB_NS0_8identityIvEEEESJ_SM_SN_mSO_SQ_bEUlT_E_NS1_11comp_targetILNS1_3genE4ELNS1_11target_archE910ELNS1_3gpuE8ELNS1_3repE0EEENS1_30default_config_static_selectorELNS0_4arch9wavefront6targetE1EEEvT1_,"axG",@progbits,_ZN7rocprim17ROCPRIM_400000_NS6detail17trampoline_kernelINS0_14default_configENS1_25transform_config_selectorIsLb0EEEZNS1_14transform_implILb0ES3_S5_NS0_18transform_iteratorINS0_17counting_iteratorImlEEZNS1_24adjacent_difference_implIS3_Lb1ELb0EPsN6thrust23THRUST_200600_302600_NS16discard_iteratorINSD_11use_defaultEEENSD_5minusIsEEEE10hipError_tPvRmT2_T3_mT4_P12ihipStream_tbEUlmE_sEESB_NS0_8identityIvEEEESJ_SM_SN_mSO_SQ_bEUlT_E_NS1_11comp_targetILNS1_3genE4ELNS1_11target_archE910ELNS1_3gpuE8ELNS1_3repE0EEENS1_30default_config_static_selectorELNS0_4arch9wavefront6targetE1EEEvT1_,comdat
.Lfunc_end702:
	.size	_ZN7rocprim17ROCPRIM_400000_NS6detail17trampoline_kernelINS0_14default_configENS1_25transform_config_selectorIsLb0EEEZNS1_14transform_implILb0ES3_S5_NS0_18transform_iteratorINS0_17counting_iteratorImlEEZNS1_24adjacent_difference_implIS3_Lb1ELb0EPsN6thrust23THRUST_200600_302600_NS16discard_iteratorINSD_11use_defaultEEENSD_5minusIsEEEE10hipError_tPvRmT2_T3_mT4_P12ihipStream_tbEUlmE_sEESB_NS0_8identityIvEEEESJ_SM_SN_mSO_SQ_bEUlT_E_NS1_11comp_targetILNS1_3genE4ELNS1_11target_archE910ELNS1_3gpuE8ELNS1_3repE0EEENS1_30default_config_static_selectorELNS0_4arch9wavefront6targetE1EEEvT1_, .Lfunc_end702-_ZN7rocprim17ROCPRIM_400000_NS6detail17trampoline_kernelINS0_14default_configENS1_25transform_config_selectorIsLb0EEEZNS1_14transform_implILb0ES3_S5_NS0_18transform_iteratorINS0_17counting_iteratorImlEEZNS1_24adjacent_difference_implIS3_Lb1ELb0EPsN6thrust23THRUST_200600_302600_NS16discard_iteratorINSD_11use_defaultEEENSD_5minusIsEEEE10hipError_tPvRmT2_T3_mT4_P12ihipStream_tbEUlmE_sEESB_NS0_8identityIvEEEESJ_SM_SN_mSO_SQ_bEUlT_E_NS1_11comp_targetILNS1_3genE4ELNS1_11target_archE910ELNS1_3gpuE8ELNS1_3repE0EEENS1_30default_config_static_selectorELNS0_4arch9wavefront6targetE1EEEvT1_
                                        ; -- End function
	.section	.AMDGPU.csdata,"",@progbits
; Kernel info:
; codeLenInByte = 0
; NumSgprs: 6
; NumVgprs: 0
; NumAgprs: 0
; TotalNumVgprs: 0
; ScratchSize: 0
; MemoryBound: 0
; FloatMode: 240
; IeeeMode: 1
; LDSByteSize: 0 bytes/workgroup (compile time only)
; SGPRBlocks: 0
; VGPRBlocks: 0
; NumSGPRsForWavesPerEU: 6
; NumVGPRsForWavesPerEU: 1
; AccumOffset: 4
; Occupancy: 8
; WaveLimiterHint : 0
; COMPUTE_PGM_RSRC2:SCRATCH_EN: 0
; COMPUTE_PGM_RSRC2:USER_SGPR: 2
; COMPUTE_PGM_RSRC2:TRAP_HANDLER: 0
; COMPUTE_PGM_RSRC2:TGID_X_EN: 1
; COMPUTE_PGM_RSRC2:TGID_Y_EN: 0
; COMPUTE_PGM_RSRC2:TGID_Z_EN: 0
; COMPUTE_PGM_RSRC2:TIDIG_COMP_CNT: 0
; COMPUTE_PGM_RSRC3_GFX90A:ACCUM_OFFSET: 0
; COMPUTE_PGM_RSRC3_GFX90A:TG_SPLIT: 0
	.section	.text._ZN7rocprim17ROCPRIM_400000_NS6detail17trampoline_kernelINS0_14default_configENS1_25transform_config_selectorIsLb0EEEZNS1_14transform_implILb0ES3_S5_NS0_18transform_iteratorINS0_17counting_iteratorImlEEZNS1_24adjacent_difference_implIS3_Lb1ELb0EPsN6thrust23THRUST_200600_302600_NS16discard_iteratorINSD_11use_defaultEEENSD_5minusIsEEEE10hipError_tPvRmT2_T3_mT4_P12ihipStream_tbEUlmE_sEESB_NS0_8identityIvEEEESJ_SM_SN_mSO_SQ_bEUlT_E_NS1_11comp_targetILNS1_3genE3ELNS1_11target_archE908ELNS1_3gpuE7ELNS1_3repE0EEENS1_30default_config_static_selectorELNS0_4arch9wavefront6targetE1EEEvT1_,"axG",@progbits,_ZN7rocprim17ROCPRIM_400000_NS6detail17trampoline_kernelINS0_14default_configENS1_25transform_config_selectorIsLb0EEEZNS1_14transform_implILb0ES3_S5_NS0_18transform_iteratorINS0_17counting_iteratorImlEEZNS1_24adjacent_difference_implIS3_Lb1ELb0EPsN6thrust23THRUST_200600_302600_NS16discard_iteratorINSD_11use_defaultEEENSD_5minusIsEEEE10hipError_tPvRmT2_T3_mT4_P12ihipStream_tbEUlmE_sEESB_NS0_8identityIvEEEESJ_SM_SN_mSO_SQ_bEUlT_E_NS1_11comp_targetILNS1_3genE3ELNS1_11target_archE908ELNS1_3gpuE7ELNS1_3repE0EEENS1_30default_config_static_selectorELNS0_4arch9wavefront6targetE1EEEvT1_,comdat
	.protected	_ZN7rocprim17ROCPRIM_400000_NS6detail17trampoline_kernelINS0_14default_configENS1_25transform_config_selectorIsLb0EEEZNS1_14transform_implILb0ES3_S5_NS0_18transform_iteratorINS0_17counting_iteratorImlEEZNS1_24adjacent_difference_implIS3_Lb1ELb0EPsN6thrust23THRUST_200600_302600_NS16discard_iteratorINSD_11use_defaultEEENSD_5minusIsEEEE10hipError_tPvRmT2_T3_mT4_P12ihipStream_tbEUlmE_sEESB_NS0_8identityIvEEEESJ_SM_SN_mSO_SQ_bEUlT_E_NS1_11comp_targetILNS1_3genE3ELNS1_11target_archE908ELNS1_3gpuE7ELNS1_3repE0EEENS1_30default_config_static_selectorELNS0_4arch9wavefront6targetE1EEEvT1_ ; -- Begin function _ZN7rocprim17ROCPRIM_400000_NS6detail17trampoline_kernelINS0_14default_configENS1_25transform_config_selectorIsLb0EEEZNS1_14transform_implILb0ES3_S5_NS0_18transform_iteratorINS0_17counting_iteratorImlEEZNS1_24adjacent_difference_implIS3_Lb1ELb0EPsN6thrust23THRUST_200600_302600_NS16discard_iteratorINSD_11use_defaultEEENSD_5minusIsEEEE10hipError_tPvRmT2_T3_mT4_P12ihipStream_tbEUlmE_sEESB_NS0_8identityIvEEEESJ_SM_SN_mSO_SQ_bEUlT_E_NS1_11comp_targetILNS1_3genE3ELNS1_11target_archE908ELNS1_3gpuE7ELNS1_3repE0EEENS1_30default_config_static_selectorELNS0_4arch9wavefront6targetE1EEEvT1_
	.globl	_ZN7rocprim17ROCPRIM_400000_NS6detail17trampoline_kernelINS0_14default_configENS1_25transform_config_selectorIsLb0EEEZNS1_14transform_implILb0ES3_S5_NS0_18transform_iteratorINS0_17counting_iteratorImlEEZNS1_24adjacent_difference_implIS3_Lb1ELb0EPsN6thrust23THRUST_200600_302600_NS16discard_iteratorINSD_11use_defaultEEENSD_5minusIsEEEE10hipError_tPvRmT2_T3_mT4_P12ihipStream_tbEUlmE_sEESB_NS0_8identityIvEEEESJ_SM_SN_mSO_SQ_bEUlT_E_NS1_11comp_targetILNS1_3genE3ELNS1_11target_archE908ELNS1_3gpuE7ELNS1_3repE0EEENS1_30default_config_static_selectorELNS0_4arch9wavefront6targetE1EEEvT1_
	.p2align	8
	.type	_ZN7rocprim17ROCPRIM_400000_NS6detail17trampoline_kernelINS0_14default_configENS1_25transform_config_selectorIsLb0EEEZNS1_14transform_implILb0ES3_S5_NS0_18transform_iteratorINS0_17counting_iteratorImlEEZNS1_24adjacent_difference_implIS3_Lb1ELb0EPsN6thrust23THRUST_200600_302600_NS16discard_iteratorINSD_11use_defaultEEENSD_5minusIsEEEE10hipError_tPvRmT2_T3_mT4_P12ihipStream_tbEUlmE_sEESB_NS0_8identityIvEEEESJ_SM_SN_mSO_SQ_bEUlT_E_NS1_11comp_targetILNS1_3genE3ELNS1_11target_archE908ELNS1_3gpuE7ELNS1_3repE0EEENS1_30default_config_static_selectorELNS0_4arch9wavefront6targetE1EEEvT1_,@function
_ZN7rocprim17ROCPRIM_400000_NS6detail17trampoline_kernelINS0_14default_configENS1_25transform_config_selectorIsLb0EEEZNS1_14transform_implILb0ES3_S5_NS0_18transform_iteratorINS0_17counting_iteratorImlEEZNS1_24adjacent_difference_implIS3_Lb1ELb0EPsN6thrust23THRUST_200600_302600_NS16discard_iteratorINSD_11use_defaultEEENSD_5minusIsEEEE10hipError_tPvRmT2_T3_mT4_P12ihipStream_tbEUlmE_sEESB_NS0_8identityIvEEEESJ_SM_SN_mSO_SQ_bEUlT_E_NS1_11comp_targetILNS1_3genE3ELNS1_11target_archE908ELNS1_3gpuE7ELNS1_3repE0EEENS1_30default_config_static_selectorELNS0_4arch9wavefront6targetE1EEEvT1_: ; @_ZN7rocprim17ROCPRIM_400000_NS6detail17trampoline_kernelINS0_14default_configENS1_25transform_config_selectorIsLb0EEEZNS1_14transform_implILb0ES3_S5_NS0_18transform_iteratorINS0_17counting_iteratorImlEEZNS1_24adjacent_difference_implIS3_Lb1ELb0EPsN6thrust23THRUST_200600_302600_NS16discard_iteratorINSD_11use_defaultEEENSD_5minusIsEEEE10hipError_tPvRmT2_T3_mT4_P12ihipStream_tbEUlmE_sEESB_NS0_8identityIvEEEESJ_SM_SN_mSO_SQ_bEUlT_E_NS1_11comp_targetILNS1_3genE3ELNS1_11target_archE908ELNS1_3gpuE7ELNS1_3repE0EEENS1_30default_config_static_selectorELNS0_4arch9wavefront6targetE1EEEvT1_
; %bb.0:
	.section	.rodata,"a",@progbits
	.p2align	6, 0x0
	.amdhsa_kernel _ZN7rocprim17ROCPRIM_400000_NS6detail17trampoline_kernelINS0_14default_configENS1_25transform_config_selectorIsLb0EEEZNS1_14transform_implILb0ES3_S5_NS0_18transform_iteratorINS0_17counting_iteratorImlEEZNS1_24adjacent_difference_implIS3_Lb1ELb0EPsN6thrust23THRUST_200600_302600_NS16discard_iteratorINSD_11use_defaultEEENSD_5minusIsEEEE10hipError_tPvRmT2_T3_mT4_P12ihipStream_tbEUlmE_sEESB_NS0_8identityIvEEEESJ_SM_SN_mSO_SQ_bEUlT_E_NS1_11comp_targetILNS1_3genE3ELNS1_11target_archE908ELNS1_3gpuE7ELNS1_3repE0EEENS1_30default_config_static_selectorELNS0_4arch9wavefront6targetE1EEEvT1_
		.amdhsa_group_segment_fixed_size 0
		.amdhsa_private_segment_fixed_size 0
		.amdhsa_kernarg_size 56
		.amdhsa_user_sgpr_count 2
		.amdhsa_user_sgpr_dispatch_ptr 0
		.amdhsa_user_sgpr_queue_ptr 0
		.amdhsa_user_sgpr_kernarg_segment_ptr 1
		.amdhsa_user_sgpr_dispatch_id 0
		.amdhsa_user_sgpr_kernarg_preload_length 0
		.amdhsa_user_sgpr_kernarg_preload_offset 0
		.amdhsa_user_sgpr_private_segment_size 0
		.amdhsa_uses_dynamic_stack 0
		.amdhsa_enable_private_segment 0
		.amdhsa_system_sgpr_workgroup_id_x 1
		.amdhsa_system_sgpr_workgroup_id_y 0
		.amdhsa_system_sgpr_workgroup_id_z 0
		.amdhsa_system_sgpr_workgroup_info 0
		.amdhsa_system_vgpr_workitem_id 0
		.amdhsa_next_free_vgpr 1
		.amdhsa_next_free_sgpr 0
		.amdhsa_accum_offset 4
		.amdhsa_reserve_vcc 0
		.amdhsa_float_round_mode_32 0
		.amdhsa_float_round_mode_16_64 0
		.amdhsa_float_denorm_mode_32 3
		.amdhsa_float_denorm_mode_16_64 3
		.amdhsa_dx10_clamp 1
		.amdhsa_ieee_mode 1
		.amdhsa_fp16_overflow 0
		.amdhsa_tg_split 0
		.amdhsa_exception_fp_ieee_invalid_op 0
		.amdhsa_exception_fp_denorm_src 0
		.amdhsa_exception_fp_ieee_div_zero 0
		.amdhsa_exception_fp_ieee_overflow 0
		.amdhsa_exception_fp_ieee_underflow 0
		.amdhsa_exception_fp_ieee_inexact 0
		.amdhsa_exception_int_div_zero 0
	.end_amdhsa_kernel
	.section	.text._ZN7rocprim17ROCPRIM_400000_NS6detail17trampoline_kernelINS0_14default_configENS1_25transform_config_selectorIsLb0EEEZNS1_14transform_implILb0ES3_S5_NS0_18transform_iteratorINS0_17counting_iteratorImlEEZNS1_24adjacent_difference_implIS3_Lb1ELb0EPsN6thrust23THRUST_200600_302600_NS16discard_iteratorINSD_11use_defaultEEENSD_5minusIsEEEE10hipError_tPvRmT2_T3_mT4_P12ihipStream_tbEUlmE_sEESB_NS0_8identityIvEEEESJ_SM_SN_mSO_SQ_bEUlT_E_NS1_11comp_targetILNS1_3genE3ELNS1_11target_archE908ELNS1_3gpuE7ELNS1_3repE0EEENS1_30default_config_static_selectorELNS0_4arch9wavefront6targetE1EEEvT1_,"axG",@progbits,_ZN7rocprim17ROCPRIM_400000_NS6detail17trampoline_kernelINS0_14default_configENS1_25transform_config_selectorIsLb0EEEZNS1_14transform_implILb0ES3_S5_NS0_18transform_iteratorINS0_17counting_iteratorImlEEZNS1_24adjacent_difference_implIS3_Lb1ELb0EPsN6thrust23THRUST_200600_302600_NS16discard_iteratorINSD_11use_defaultEEENSD_5minusIsEEEE10hipError_tPvRmT2_T3_mT4_P12ihipStream_tbEUlmE_sEESB_NS0_8identityIvEEEESJ_SM_SN_mSO_SQ_bEUlT_E_NS1_11comp_targetILNS1_3genE3ELNS1_11target_archE908ELNS1_3gpuE7ELNS1_3repE0EEENS1_30default_config_static_selectorELNS0_4arch9wavefront6targetE1EEEvT1_,comdat
.Lfunc_end703:
	.size	_ZN7rocprim17ROCPRIM_400000_NS6detail17trampoline_kernelINS0_14default_configENS1_25transform_config_selectorIsLb0EEEZNS1_14transform_implILb0ES3_S5_NS0_18transform_iteratorINS0_17counting_iteratorImlEEZNS1_24adjacent_difference_implIS3_Lb1ELb0EPsN6thrust23THRUST_200600_302600_NS16discard_iteratorINSD_11use_defaultEEENSD_5minusIsEEEE10hipError_tPvRmT2_T3_mT4_P12ihipStream_tbEUlmE_sEESB_NS0_8identityIvEEEESJ_SM_SN_mSO_SQ_bEUlT_E_NS1_11comp_targetILNS1_3genE3ELNS1_11target_archE908ELNS1_3gpuE7ELNS1_3repE0EEENS1_30default_config_static_selectorELNS0_4arch9wavefront6targetE1EEEvT1_, .Lfunc_end703-_ZN7rocprim17ROCPRIM_400000_NS6detail17trampoline_kernelINS0_14default_configENS1_25transform_config_selectorIsLb0EEEZNS1_14transform_implILb0ES3_S5_NS0_18transform_iteratorINS0_17counting_iteratorImlEEZNS1_24adjacent_difference_implIS3_Lb1ELb0EPsN6thrust23THRUST_200600_302600_NS16discard_iteratorINSD_11use_defaultEEENSD_5minusIsEEEE10hipError_tPvRmT2_T3_mT4_P12ihipStream_tbEUlmE_sEESB_NS0_8identityIvEEEESJ_SM_SN_mSO_SQ_bEUlT_E_NS1_11comp_targetILNS1_3genE3ELNS1_11target_archE908ELNS1_3gpuE7ELNS1_3repE0EEENS1_30default_config_static_selectorELNS0_4arch9wavefront6targetE1EEEvT1_
                                        ; -- End function
	.section	.AMDGPU.csdata,"",@progbits
; Kernel info:
; codeLenInByte = 0
; NumSgprs: 6
; NumVgprs: 0
; NumAgprs: 0
; TotalNumVgprs: 0
; ScratchSize: 0
; MemoryBound: 0
; FloatMode: 240
; IeeeMode: 1
; LDSByteSize: 0 bytes/workgroup (compile time only)
; SGPRBlocks: 0
; VGPRBlocks: 0
; NumSGPRsForWavesPerEU: 6
; NumVGPRsForWavesPerEU: 1
; AccumOffset: 4
; Occupancy: 8
; WaveLimiterHint : 0
; COMPUTE_PGM_RSRC2:SCRATCH_EN: 0
; COMPUTE_PGM_RSRC2:USER_SGPR: 2
; COMPUTE_PGM_RSRC2:TRAP_HANDLER: 0
; COMPUTE_PGM_RSRC2:TGID_X_EN: 1
; COMPUTE_PGM_RSRC2:TGID_Y_EN: 0
; COMPUTE_PGM_RSRC2:TGID_Z_EN: 0
; COMPUTE_PGM_RSRC2:TIDIG_COMP_CNT: 0
; COMPUTE_PGM_RSRC3_GFX90A:ACCUM_OFFSET: 0
; COMPUTE_PGM_RSRC3_GFX90A:TG_SPLIT: 0
	.section	.text._ZN7rocprim17ROCPRIM_400000_NS6detail17trampoline_kernelINS0_14default_configENS1_25transform_config_selectorIsLb0EEEZNS1_14transform_implILb0ES3_S5_NS0_18transform_iteratorINS0_17counting_iteratorImlEEZNS1_24adjacent_difference_implIS3_Lb1ELb0EPsN6thrust23THRUST_200600_302600_NS16discard_iteratorINSD_11use_defaultEEENSD_5minusIsEEEE10hipError_tPvRmT2_T3_mT4_P12ihipStream_tbEUlmE_sEESB_NS0_8identityIvEEEESJ_SM_SN_mSO_SQ_bEUlT_E_NS1_11comp_targetILNS1_3genE2ELNS1_11target_archE906ELNS1_3gpuE6ELNS1_3repE0EEENS1_30default_config_static_selectorELNS0_4arch9wavefront6targetE1EEEvT1_,"axG",@progbits,_ZN7rocprim17ROCPRIM_400000_NS6detail17trampoline_kernelINS0_14default_configENS1_25transform_config_selectorIsLb0EEEZNS1_14transform_implILb0ES3_S5_NS0_18transform_iteratorINS0_17counting_iteratorImlEEZNS1_24adjacent_difference_implIS3_Lb1ELb0EPsN6thrust23THRUST_200600_302600_NS16discard_iteratorINSD_11use_defaultEEENSD_5minusIsEEEE10hipError_tPvRmT2_T3_mT4_P12ihipStream_tbEUlmE_sEESB_NS0_8identityIvEEEESJ_SM_SN_mSO_SQ_bEUlT_E_NS1_11comp_targetILNS1_3genE2ELNS1_11target_archE906ELNS1_3gpuE6ELNS1_3repE0EEENS1_30default_config_static_selectorELNS0_4arch9wavefront6targetE1EEEvT1_,comdat
	.protected	_ZN7rocprim17ROCPRIM_400000_NS6detail17trampoline_kernelINS0_14default_configENS1_25transform_config_selectorIsLb0EEEZNS1_14transform_implILb0ES3_S5_NS0_18transform_iteratorINS0_17counting_iteratorImlEEZNS1_24adjacent_difference_implIS3_Lb1ELb0EPsN6thrust23THRUST_200600_302600_NS16discard_iteratorINSD_11use_defaultEEENSD_5minusIsEEEE10hipError_tPvRmT2_T3_mT4_P12ihipStream_tbEUlmE_sEESB_NS0_8identityIvEEEESJ_SM_SN_mSO_SQ_bEUlT_E_NS1_11comp_targetILNS1_3genE2ELNS1_11target_archE906ELNS1_3gpuE6ELNS1_3repE0EEENS1_30default_config_static_selectorELNS0_4arch9wavefront6targetE1EEEvT1_ ; -- Begin function _ZN7rocprim17ROCPRIM_400000_NS6detail17trampoline_kernelINS0_14default_configENS1_25transform_config_selectorIsLb0EEEZNS1_14transform_implILb0ES3_S5_NS0_18transform_iteratorINS0_17counting_iteratorImlEEZNS1_24adjacent_difference_implIS3_Lb1ELb0EPsN6thrust23THRUST_200600_302600_NS16discard_iteratorINSD_11use_defaultEEENSD_5minusIsEEEE10hipError_tPvRmT2_T3_mT4_P12ihipStream_tbEUlmE_sEESB_NS0_8identityIvEEEESJ_SM_SN_mSO_SQ_bEUlT_E_NS1_11comp_targetILNS1_3genE2ELNS1_11target_archE906ELNS1_3gpuE6ELNS1_3repE0EEENS1_30default_config_static_selectorELNS0_4arch9wavefront6targetE1EEEvT1_
	.globl	_ZN7rocprim17ROCPRIM_400000_NS6detail17trampoline_kernelINS0_14default_configENS1_25transform_config_selectorIsLb0EEEZNS1_14transform_implILb0ES3_S5_NS0_18transform_iteratorINS0_17counting_iteratorImlEEZNS1_24adjacent_difference_implIS3_Lb1ELb0EPsN6thrust23THRUST_200600_302600_NS16discard_iteratorINSD_11use_defaultEEENSD_5minusIsEEEE10hipError_tPvRmT2_T3_mT4_P12ihipStream_tbEUlmE_sEESB_NS0_8identityIvEEEESJ_SM_SN_mSO_SQ_bEUlT_E_NS1_11comp_targetILNS1_3genE2ELNS1_11target_archE906ELNS1_3gpuE6ELNS1_3repE0EEENS1_30default_config_static_selectorELNS0_4arch9wavefront6targetE1EEEvT1_
	.p2align	8
	.type	_ZN7rocprim17ROCPRIM_400000_NS6detail17trampoline_kernelINS0_14default_configENS1_25transform_config_selectorIsLb0EEEZNS1_14transform_implILb0ES3_S5_NS0_18transform_iteratorINS0_17counting_iteratorImlEEZNS1_24adjacent_difference_implIS3_Lb1ELb0EPsN6thrust23THRUST_200600_302600_NS16discard_iteratorINSD_11use_defaultEEENSD_5minusIsEEEE10hipError_tPvRmT2_T3_mT4_P12ihipStream_tbEUlmE_sEESB_NS0_8identityIvEEEESJ_SM_SN_mSO_SQ_bEUlT_E_NS1_11comp_targetILNS1_3genE2ELNS1_11target_archE906ELNS1_3gpuE6ELNS1_3repE0EEENS1_30default_config_static_selectorELNS0_4arch9wavefront6targetE1EEEvT1_,@function
_ZN7rocprim17ROCPRIM_400000_NS6detail17trampoline_kernelINS0_14default_configENS1_25transform_config_selectorIsLb0EEEZNS1_14transform_implILb0ES3_S5_NS0_18transform_iteratorINS0_17counting_iteratorImlEEZNS1_24adjacent_difference_implIS3_Lb1ELb0EPsN6thrust23THRUST_200600_302600_NS16discard_iteratorINSD_11use_defaultEEENSD_5minusIsEEEE10hipError_tPvRmT2_T3_mT4_P12ihipStream_tbEUlmE_sEESB_NS0_8identityIvEEEESJ_SM_SN_mSO_SQ_bEUlT_E_NS1_11comp_targetILNS1_3genE2ELNS1_11target_archE906ELNS1_3gpuE6ELNS1_3repE0EEENS1_30default_config_static_selectorELNS0_4arch9wavefront6targetE1EEEvT1_: ; @_ZN7rocprim17ROCPRIM_400000_NS6detail17trampoline_kernelINS0_14default_configENS1_25transform_config_selectorIsLb0EEEZNS1_14transform_implILb0ES3_S5_NS0_18transform_iteratorINS0_17counting_iteratorImlEEZNS1_24adjacent_difference_implIS3_Lb1ELb0EPsN6thrust23THRUST_200600_302600_NS16discard_iteratorINSD_11use_defaultEEENSD_5minusIsEEEE10hipError_tPvRmT2_T3_mT4_P12ihipStream_tbEUlmE_sEESB_NS0_8identityIvEEEESJ_SM_SN_mSO_SQ_bEUlT_E_NS1_11comp_targetILNS1_3genE2ELNS1_11target_archE906ELNS1_3gpuE6ELNS1_3repE0EEENS1_30default_config_static_selectorELNS0_4arch9wavefront6targetE1EEEvT1_
; %bb.0:
	.section	.rodata,"a",@progbits
	.p2align	6, 0x0
	.amdhsa_kernel _ZN7rocprim17ROCPRIM_400000_NS6detail17trampoline_kernelINS0_14default_configENS1_25transform_config_selectorIsLb0EEEZNS1_14transform_implILb0ES3_S5_NS0_18transform_iteratorINS0_17counting_iteratorImlEEZNS1_24adjacent_difference_implIS3_Lb1ELb0EPsN6thrust23THRUST_200600_302600_NS16discard_iteratorINSD_11use_defaultEEENSD_5minusIsEEEE10hipError_tPvRmT2_T3_mT4_P12ihipStream_tbEUlmE_sEESB_NS0_8identityIvEEEESJ_SM_SN_mSO_SQ_bEUlT_E_NS1_11comp_targetILNS1_3genE2ELNS1_11target_archE906ELNS1_3gpuE6ELNS1_3repE0EEENS1_30default_config_static_selectorELNS0_4arch9wavefront6targetE1EEEvT1_
		.amdhsa_group_segment_fixed_size 0
		.amdhsa_private_segment_fixed_size 0
		.amdhsa_kernarg_size 56
		.amdhsa_user_sgpr_count 2
		.amdhsa_user_sgpr_dispatch_ptr 0
		.amdhsa_user_sgpr_queue_ptr 0
		.amdhsa_user_sgpr_kernarg_segment_ptr 1
		.amdhsa_user_sgpr_dispatch_id 0
		.amdhsa_user_sgpr_kernarg_preload_length 0
		.amdhsa_user_sgpr_kernarg_preload_offset 0
		.amdhsa_user_sgpr_private_segment_size 0
		.amdhsa_uses_dynamic_stack 0
		.amdhsa_enable_private_segment 0
		.amdhsa_system_sgpr_workgroup_id_x 1
		.amdhsa_system_sgpr_workgroup_id_y 0
		.amdhsa_system_sgpr_workgroup_id_z 0
		.amdhsa_system_sgpr_workgroup_info 0
		.amdhsa_system_vgpr_workitem_id 0
		.amdhsa_next_free_vgpr 1
		.amdhsa_next_free_sgpr 0
		.amdhsa_accum_offset 4
		.amdhsa_reserve_vcc 0
		.amdhsa_float_round_mode_32 0
		.amdhsa_float_round_mode_16_64 0
		.amdhsa_float_denorm_mode_32 3
		.amdhsa_float_denorm_mode_16_64 3
		.amdhsa_dx10_clamp 1
		.amdhsa_ieee_mode 1
		.amdhsa_fp16_overflow 0
		.amdhsa_tg_split 0
		.amdhsa_exception_fp_ieee_invalid_op 0
		.amdhsa_exception_fp_denorm_src 0
		.amdhsa_exception_fp_ieee_div_zero 0
		.amdhsa_exception_fp_ieee_overflow 0
		.amdhsa_exception_fp_ieee_underflow 0
		.amdhsa_exception_fp_ieee_inexact 0
		.amdhsa_exception_int_div_zero 0
	.end_amdhsa_kernel
	.section	.text._ZN7rocprim17ROCPRIM_400000_NS6detail17trampoline_kernelINS0_14default_configENS1_25transform_config_selectorIsLb0EEEZNS1_14transform_implILb0ES3_S5_NS0_18transform_iteratorINS0_17counting_iteratorImlEEZNS1_24adjacent_difference_implIS3_Lb1ELb0EPsN6thrust23THRUST_200600_302600_NS16discard_iteratorINSD_11use_defaultEEENSD_5minusIsEEEE10hipError_tPvRmT2_T3_mT4_P12ihipStream_tbEUlmE_sEESB_NS0_8identityIvEEEESJ_SM_SN_mSO_SQ_bEUlT_E_NS1_11comp_targetILNS1_3genE2ELNS1_11target_archE906ELNS1_3gpuE6ELNS1_3repE0EEENS1_30default_config_static_selectorELNS0_4arch9wavefront6targetE1EEEvT1_,"axG",@progbits,_ZN7rocprim17ROCPRIM_400000_NS6detail17trampoline_kernelINS0_14default_configENS1_25transform_config_selectorIsLb0EEEZNS1_14transform_implILb0ES3_S5_NS0_18transform_iteratorINS0_17counting_iteratorImlEEZNS1_24adjacent_difference_implIS3_Lb1ELb0EPsN6thrust23THRUST_200600_302600_NS16discard_iteratorINSD_11use_defaultEEENSD_5minusIsEEEE10hipError_tPvRmT2_T3_mT4_P12ihipStream_tbEUlmE_sEESB_NS0_8identityIvEEEESJ_SM_SN_mSO_SQ_bEUlT_E_NS1_11comp_targetILNS1_3genE2ELNS1_11target_archE906ELNS1_3gpuE6ELNS1_3repE0EEENS1_30default_config_static_selectorELNS0_4arch9wavefront6targetE1EEEvT1_,comdat
.Lfunc_end704:
	.size	_ZN7rocprim17ROCPRIM_400000_NS6detail17trampoline_kernelINS0_14default_configENS1_25transform_config_selectorIsLb0EEEZNS1_14transform_implILb0ES3_S5_NS0_18transform_iteratorINS0_17counting_iteratorImlEEZNS1_24adjacent_difference_implIS3_Lb1ELb0EPsN6thrust23THRUST_200600_302600_NS16discard_iteratorINSD_11use_defaultEEENSD_5minusIsEEEE10hipError_tPvRmT2_T3_mT4_P12ihipStream_tbEUlmE_sEESB_NS0_8identityIvEEEESJ_SM_SN_mSO_SQ_bEUlT_E_NS1_11comp_targetILNS1_3genE2ELNS1_11target_archE906ELNS1_3gpuE6ELNS1_3repE0EEENS1_30default_config_static_selectorELNS0_4arch9wavefront6targetE1EEEvT1_, .Lfunc_end704-_ZN7rocprim17ROCPRIM_400000_NS6detail17trampoline_kernelINS0_14default_configENS1_25transform_config_selectorIsLb0EEEZNS1_14transform_implILb0ES3_S5_NS0_18transform_iteratorINS0_17counting_iteratorImlEEZNS1_24adjacent_difference_implIS3_Lb1ELb0EPsN6thrust23THRUST_200600_302600_NS16discard_iteratorINSD_11use_defaultEEENSD_5minusIsEEEE10hipError_tPvRmT2_T3_mT4_P12ihipStream_tbEUlmE_sEESB_NS0_8identityIvEEEESJ_SM_SN_mSO_SQ_bEUlT_E_NS1_11comp_targetILNS1_3genE2ELNS1_11target_archE906ELNS1_3gpuE6ELNS1_3repE0EEENS1_30default_config_static_selectorELNS0_4arch9wavefront6targetE1EEEvT1_
                                        ; -- End function
	.section	.AMDGPU.csdata,"",@progbits
; Kernel info:
; codeLenInByte = 0
; NumSgprs: 6
; NumVgprs: 0
; NumAgprs: 0
; TotalNumVgprs: 0
; ScratchSize: 0
; MemoryBound: 0
; FloatMode: 240
; IeeeMode: 1
; LDSByteSize: 0 bytes/workgroup (compile time only)
; SGPRBlocks: 0
; VGPRBlocks: 0
; NumSGPRsForWavesPerEU: 6
; NumVGPRsForWavesPerEU: 1
; AccumOffset: 4
; Occupancy: 8
; WaveLimiterHint : 0
; COMPUTE_PGM_RSRC2:SCRATCH_EN: 0
; COMPUTE_PGM_RSRC2:USER_SGPR: 2
; COMPUTE_PGM_RSRC2:TRAP_HANDLER: 0
; COMPUTE_PGM_RSRC2:TGID_X_EN: 1
; COMPUTE_PGM_RSRC2:TGID_Y_EN: 0
; COMPUTE_PGM_RSRC2:TGID_Z_EN: 0
; COMPUTE_PGM_RSRC2:TIDIG_COMP_CNT: 0
; COMPUTE_PGM_RSRC3_GFX90A:ACCUM_OFFSET: 0
; COMPUTE_PGM_RSRC3_GFX90A:TG_SPLIT: 0
	.section	.text._ZN7rocprim17ROCPRIM_400000_NS6detail17trampoline_kernelINS0_14default_configENS1_25transform_config_selectorIsLb0EEEZNS1_14transform_implILb0ES3_S5_NS0_18transform_iteratorINS0_17counting_iteratorImlEEZNS1_24adjacent_difference_implIS3_Lb1ELb0EPsN6thrust23THRUST_200600_302600_NS16discard_iteratorINSD_11use_defaultEEENSD_5minusIsEEEE10hipError_tPvRmT2_T3_mT4_P12ihipStream_tbEUlmE_sEESB_NS0_8identityIvEEEESJ_SM_SN_mSO_SQ_bEUlT_E_NS1_11comp_targetILNS1_3genE10ELNS1_11target_archE1201ELNS1_3gpuE5ELNS1_3repE0EEENS1_30default_config_static_selectorELNS0_4arch9wavefront6targetE1EEEvT1_,"axG",@progbits,_ZN7rocprim17ROCPRIM_400000_NS6detail17trampoline_kernelINS0_14default_configENS1_25transform_config_selectorIsLb0EEEZNS1_14transform_implILb0ES3_S5_NS0_18transform_iteratorINS0_17counting_iteratorImlEEZNS1_24adjacent_difference_implIS3_Lb1ELb0EPsN6thrust23THRUST_200600_302600_NS16discard_iteratorINSD_11use_defaultEEENSD_5minusIsEEEE10hipError_tPvRmT2_T3_mT4_P12ihipStream_tbEUlmE_sEESB_NS0_8identityIvEEEESJ_SM_SN_mSO_SQ_bEUlT_E_NS1_11comp_targetILNS1_3genE10ELNS1_11target_archE1201ELNS1_3gpuE5ELNS1_3repE0EEENS1_30default_config_static_selectorELNS0_4arch9wavefront6targetE1EEEvT1_,comdat
	.protected	_ZN7rocprim17ROCPRIM_400000_NS6detail17trampoline_kernelINS0_14default_configENS1_25transform_config_selectorIsLb0EEEZNS1_14transform_implILb0ES3_S5_NS0_18transform_iteratorINS0_17counting_iteratorImlEEZNS1_24adjacent_difference_implIS3_Lb1ELb0EPsN6thrust23THRUST_200600_302600_NS16discard_iteratorINSD_11use_defaultEEENSD_5minusIsEEEE10hipError_tPvRmT2_T3_mT4_P12ihipStream_tbEUlmE_sEESB_NS0_8identityIvEEEESJ_SM_SN_mSO_SQ_bEUlT_E_NS1_11comp_targetILNS1_3genE10ELNS1_11target_archE1201ELNS1_3gpuE5ELNS1_3repE0EEENS1_30default_config_static_selectorELNS0_4arch9wavefront6targetE1EEEvT1_ ; -- Begin function _ZN7rocprim17ROCPRIM_400000_NS6detail17trampoline_kernelINS0_14default_configENS1_25transform_config_selectorIsLb0EEEZNS1_14transform_implILb0ES3_S5_NS0_18transform_iteratorINS0_17counting_iteratorImlEEZNS1_24adjacent_difference_implIS3_Lb1ELb0EPsN6thrust23THRUST_200600_302600_NS16discard_iteratorINSD_11use_defaultEEENSD_5minusIsEEEE10hipError_tPvRmT2_T3_mT4_P12ihipStream_tbEUlmE_sEESB_NS0_8identityIvEEEESJ_SM_SN_mSO_SQ_bEUlT_E_NS1_11comp_targetILNS1_3genE10ELNS1_11target_archE1201ELNS1_3gpuE5ELNS1_3repE0EEENS1_30default_config_static_selectorELNS0_4arch9wavefront6targetE1EEEvT1_
	.globl	_ZN7rocprim17ROCPRIM_400000_NS6detail17trampoline_kernelINS0_14default_configENS1_25transform_config_selectorIsLb0EEEZNS1_14transform_implILb0ES3_S5_NS0_18transform_iteratorINS0_17counting_iteratorImlEEZNS1_24adjacent_difference_implIS3_Lb1ELb0EPsN6thrust23THRUST_200600_302600_NS16discard_iteratorINSD_11use_defaultEEENSD_5minusIsEEEE10hipError_tPvRmT2_T3_mT4_P12ihipStream_tbEUlmE_sEESB_NS0_8identityIvEEEESJ_SM_SN_mSO_SQ_bEUlT_E_NS1_11comp_targetILNS1_3genE10ELNS1_11target_archE1201ELNS1_3gpuE5ELNS1_3repE0EEENS1_30default_config_static_selectorELNS0_4arch9wavefront6targetE1EEEvT1_
	.p2align	8
	.type	_ZN7rocprim17ROCPRIM_400000_NS6detail17trampoline_kernelINS0_14default_configENS1_25transform_config_selectorIsLb0EEEZNS1_14transform_implILb0ES3_S5_NS0_18transform_iteratorINS0_17counting_iteratorImlEEZNS1_24adjacent_difference_implIS3_Lb1ELb0EPsN6thrust23THRUST_200600_302600_NS16discard_iteratorINSD_11use_defaultEEENSD_5minusIsEEEE10hipError_tPvRmT2_T3_mT4_P12ihipStream_tbEUlmE_sEESB_NS0_8identityIvEEEESJ_SM_SN_mSO_SQ_bEUlT_E_NS1_11comp_targetILNS1_3genE10ELNS1_11target_archE1201ELNS1_3gpuE5ELNS1_3repE0EEENS1_30default_config_static_selectorELNS0_4arch9wavefront6targetE1EEEvT1_,@function
_ZN7rocprim17ROCPRIM_400000_NS6detail17trampoline_kernelINS0_14default_configENS1_25transform_config_selectorIsLb0EEEZNS1_14transform_implILb0ES3_S5_NS0_18transform_iteratorINS0_17counting_iteratorImlEEZNS1_24adjacent_difference_implIS3_Lb1ELb0EPsN6thrust23THRUST_200600_302600_NS16discard_iteratorINSD_11use_defaultEEENSD_5minusIsEEEE10hipError_tPvRmT2_T3_mT4_P12ihipStream_tbEUlmE_sEESB_NS0_8identityIvEEEESJ_SM_SN_mSO_SQ_bEUlT_E_NS1_11comp_targetILNS1_3genE10ELNS1_11target_archE1201ELNS1_3gpuE5ELNS1_3repE0EEENS1_30default_config_static_selectorELNS0_4arch9wavefront6targetE1EEEvT1_: ; @_ZN7rocprim17ROCPRIM_400000_NS6detail17trampoline_kernelINS0_14default_configENS1_25transform_config_selectorIsLb0EEEZNS1_14transform_implILb0ES3_S5_NS0_18transform_iteratorINS0_17counting_iteratorImlEEZNS1_24adjacent_difference_implIS3_Lb1ELb0EPsN6thrust23THRUST_200600_302600_NS16discard_iteratorINSD_11use_defaultEEENSD_5minusIsEEEE10hipError_tPvRmT2_T3_mT4_P12ihipStream_tbEUlmE_sEESB_NS0_8identityIvEEEESJ_SM_SN_mSO_SQ_bEUlT_E_NS1_11comp_targetILNS1_3genE10ELNS1_11target_archE1201ELNS1_3gpuE5ELNS1_3repE0EEENS1_30default_config_static_selectorELNS0_4arch9wavefront6targetE1EEEvT1_
; %bb.0:
	.section	.rodata,"a",@progbits
	.p2align	6, 0x0
	.amdhsa_kernel _ZN7rocprim17ROCPRIM_400000_NS6detail17trampoline_kernelINS0_14default_configENS1_25transform_config_selectorIsLb0EEEZNS1_14transform_implILb0ES3_S5_NS0_18transform_iteratorINS0_17counting_iteratorImlEEZNS1_24adjacent_difference_implIS3_Lb1ELb0EPsN6thrust23THRUST_200600_302600_NS16discard_iteratorINSD_11use_defaultEEENSD_5minusIsEEEE10hipError_tPvRmT2_T3_mT4_P12ihipStream_tbEUlmE_sEESB_NS0_8identityIvEEEESJ_SM_SN_mSO_SQ_bEUlT_E_NS1_11comp_targetILNS1_3genE10ELNS1_11target_archE1201ELNS1_3gpuE5ELNS1_3repE0EEENS1_30default_config_static_selectorELNS0_4arch9wavefront6targetE1EEEvT1_
		.amdhsa_group_segment_fixed_size 0
		.amdhsa_private_segment_fixed_size 0
		.amdhsa_kernarg_size 56
		.amdhsa_user_sgpr_count 2
		.amdhsa_user_sgpr_dispatch_ptr 0
		.amdhsa_user_sgpr_queue_ptr 0
		.amdhsa_user_sgpr_kernarg_segment_ptr 1
		.amdhsa_user_sgpr_dispatch_id 0
		.amdhsa_user_sgpr_kernarg_preload_length 0
		.amdhsa_user_sgpr_kernarg_preload_offset 0
		.amdhsa_user_sgpr_private_segment_size 0
		.amdhsa_uses_dynamic_stack 0
		.amdhsa_enable_private_segment 0
		.amdhsa_system_sgpr_workgroup_id_x 1
		.amdhsa_system_sgpr_workgroup_id_y 0
		.amdhsa_system_sgpr_workgroup_id_z 0
		.amdhsa_system_sgpr_workgroup_info 0
		.amdhsa_system_vgpr_workitem_id 0
		.amdhsa_next_free_vgpr 1
		.amdhsa_next_free_sgpr 0
		.amdhsa_accum_offset 4
		.amdhsa_reserve_vcc 0
		.amdhsa_float_round_mode_32 0
		.amdhsa_float_round_mode_16_64 0
		.amdhsa_float_denorm_mode_32 3
		.amdhsa_float_denorm_mode_16_64 3
		.amdhsa_dx10_clamp 1
		.amdhsa_ieee_mode 1
		.amdhsa_fp16_overflow 0
		.amdhsa_tg_split 0
		.amdhsa_exception_fp_ieee_invalid_op 0
		.amdhsa_exception_fp_denorm_src 0
		.amdhsa_exception_fp_ieee_div_zero 0
		.amdhsa_exception_fp_ieee_overflow 0
		.amdhsa_exception_fp_ieee_underflow 0
		.amdhsa_exception_fp_ieee_inexact 0
		.amdhsa_exception_int_div_zero 0
	.end_amdhsa_kernel
	.section	.text._ZN7rocprim17ROCPRIM_400000_NS6detail17trampoline_kernelINS0_14default_configENS1_25transform_config_selectorIsLb0EEEZNS1_14transform_implILb0ES3_S5_NS0_18transform_iteratorINS0_17counting_iteratorImlEEZNS1_24adjacent_difference_implIS3_Lb1ELb0EPsN6thrust23THRUST_200600_302600_NS16discard_iteratorINSD_11use_defaultEEENSD_5minusIsEEEE10hipError_tPvRmT2_T3_mT4_P12ihipStream_tbEUlmE_sEESB_NS0_8identityIvEEEESJ_SM_SN_mSO_SQ_bEUlT_E_NS1_11comp_targetILNS1_3genE10ELNS1_11target_archE1201ELNS1_3gpuE5ELNS1_3repE0EEENS1_30default_config_static_selectorELNS0_4arch9wavefront6targetE1EEEvT1_,"axG",@progbits,_ZN7rocprim17ROCPRIM_400000_NS6detail17trampoline_kernelINS0_14default_configENS1_25transform_config_selectorIsLb0EEEZNS1_14transform_implILb0ES3_S5_NS0_18transform_iteratorINS0_17counting_iteratorImlEEZNS1_24adjacent_difference_implIS3_Lb1ELb0EPsN6thrust23THRUST_200600_302600_NS16discard_iteratorINSD_11use_defaultEEENSD_5minusIsEEEE10hipError_tPvRmT2_T3_mT4_P12ihipStream_tbEUlmE_sEESB_NS0_8identityIvEEEESJ_SM_SN_mSO_SQ_bEUlT_E_NS1_11comp_targetILNS1_3genE10ELNS1_11target_archE1201ELNS1_3gpuE5ELNS1_3repE0EEENS1_30default_config_static_selectorELNS0_4arch9wavefront6targetE1EEEvT1_,comdat
.Lfunc_end705:
	.size	_ZN7rocprim17ROCPRIM_400000_NS6detail17trampoline_kernelINS0_14default_configENS1_25transform_config_selectorIsLb0EEEZNS1_14transform_implILb0ES3_S5_NS0_18transform_iteratorINS0_17counting_iteratorImlEEZNS1_24adjacent_difference_implIS3_Lb1ELb0EPsN6thrust23THRUST_200600_302600_NS16discard_iteratorINSD_11use_defaultEEENSD_5minusIsEEEE10hipError_tPvRmT2_T3_mT4_P12ihipStream_tbEUlmE_sEESB_NS0_8identityIvEEEESJ_SM_SN_mSO_SQ_bEUlT_E_NS1_11comp_targetILNS1_3genE10ELNS1_11target_archE1201ELNS1_3gpuE5ELNS1_3repE0EEENS1_30default_config_static_selectorELNS0_4arch9wavefront6targetE1EEEvT1_, .Lfunc_end705-_ZN7rocprim17ROCPRIM_400000_NS6detail17trampoline_kernelINS0_14default_configENS1_25transform_config_selectorIsLb0EEEZNS1_14transform_implILb0ES3_S5_NS0_18transform_iteratorINS0_17counting_iteratorImlEEZNS1_24adjacent_difference_implIS3_Lb1ELb0EPsN6thrust23THRUST_200600_302600_NS16discard_iteratorINSD_11use_defaultEEENSD_5minusIsEEEE10hipError_tPvRmT2_T3_mT4_P12ihipStream_tbEUlmE_sEESB_NS0_8identityIvEEEESJ_SM_SN_mSO_SQ_bEUlT_E_NS1_11comp_targetILNS1_3genE10ELNS1_11target_archE1201ELNS1_3gpuE5ELNS1_3repE0EEENS1_30default_config_static_selectorELNS0_4arch9wavefront6targetE1EEEvT1_
                                        ; -- End function
	.section	.AMDGPU.csdata,"",@progbits
; Kernel info:
; codeLenInByte = 0
; NumSgprs: 6
; NumVgprs: 0
; NumAgprs: 0
; TotalNumVgprs: 0
; ScratchSize: 0
; MemoryBound: 0
; FloatMode: 240
; IeeeMode: 1
; LDSByteSize: 0 bytes/workgroup (compile time only)
; SGPRBlocks: 0
; VGPRBlocks: 0
; NumSGPRsForWavesPerEU: 6
; NumVGPRsForWavesPerEU: 1
; AccumOffset: 4
; Occupancy: 8
; WaveLimiterHint : 0
; COMPUTE_PGM_RSRC2:SCRATCH_EN: 0
; COMPUTE_PGM_RSRC2:USER_SGPR: 2
; COMPUTE_PGM_RSRC2:TRAP_HANDLER: 0
; COMPUTE_PGM_RSRC2:TGID_X_EN: 1
; COMPUTE_PGM_RSRC2:TGID_Y_EN: 0
; COMPUTE_PGM_RSRC2:TGID_Z_EN: 0
; COMPUTE_PGM_RSRC2:TIDIG_COMP_CNT: 0
; COMPUTE_PGM_RSRC3_GFX90A:ACCUM_OFFSET: 0
; COMPUTE_PGM_RSRC3_GFX90A:TG_SPLIT: 0
	.section	.text._ZN7rocprim17ROCPRIM_400000_NS6detail17trampoline_kernelINS0_14default_configENS1_25transform_config_selectorIsLb0EEEZNS1_14transform_implILb0ES3_S5_NS0_18transform_iteratorINS0_17counting_iteratorImlEEZNS1_24adjacent_difference_implIS3_Lb1ELb0EPsN6thrust23THRUST_200600_302600_NS16discard_iteratorINSD_11use_defaultEEENSD_5minusIsEEEE10hipError_tPvRmT2_T3_mT4_P12ihipStream_tbEUlmE_sEESB_NS0_8identityIvEEEESJ_SM_SN_mSO_SQ_bEUlT_E_NS1_11comp_targetILNS1_3genE10ELNS1_11target_archE1200ELNS1_3gpuE4ELNS1_3repE0EEENS1_30default_config_static_selectorELNS0_4arch9wavefront6targetE1EEEvT1_,"axG",@progbits,_ZN7rocprim17ROCPRIM_400000_NS6detail17trampoline_kernelINS0_14default_configENS1_25transform_config_selectorIsLb0EEEZNS1_14transform_implILb0ES3_S5_NS0_18transform_iteratorINS0_17counting_iteratorImlEEZNS1_24adjacent_difference_implIS3_Lb1ELb0EPsN6thrust23THRUST_200600_302600_NS16discard_iteratorINSD_11use_defaultEEENSD_5minusIsEEEE10hipError_tPvRmT2_T3_mT4_P12ihipStream_tbEUlmE_sEESB_NS0_8identityIvEEEESJ_SM_SN_mSO_SQ_bEUlT_E_NS1_11comp_targetILNS1_3genE10ELNS1_11target_archE1200ELNS1_3gpuE4ELNS1_3repE0EEENS1_30default_config_static_selectorELNS0_4arch9wavefront6targetE1EEEvT1_,comdat
	.protected	_ZN7rocprim17ROCPRIM_400000_NS6detail17trampoline_kernelINS0_14default_configENS1_25transform_config_selectorIsLb0EEEZNS1_14transform_implILb0ES3_S5_NS0_18transform_iteratorINS0_17counting_iteratorImlEEZNS1_24adjacent_difference_implIS3_Lb1ELb0EPsN6thrust23THRUST_200600_302600_NS16discard_iteratorINSD_11use_defaultEEENSD_5minusIsEEEE10hipError_tPvRmT2_T3_mT4_P12ihipStream_tbEUlmE_sEESB_NS0_8identityIvEEEESJ_SM_SN_mSO_SQ_bEUlT_E_NS1_11comp_targetILNS1_3genE10ELNS1_11target_archE1200ELNS1_3gpuE4ELNS1_3repE0EEENS1_30default_config_static_selectorELNS0_4arch9wavefront6targetE1EEEvT1_ ; -- Begin function _ZN7rocprim17ROCPRIM_400000_NS6detail17trampoline_kernelINS0_14default_configENS1_25transform_config_selectorIsLb0EEEZNS1_14transform_implILb0ES3_S5_NS0_18transform_iteratorINS0_17counting_iteratorImlEEZNS1_24adjacent_difference_implIS3_Lb1ELb0EPsN6thrust23THRUST_200600_302600_NS16discard_iteratorINSD_11use_defaultEEENSD_5minusIsEEEE10hipError_tPvRmT2_T3_mT4_P12ihipStream_tbEUlmE_sEESB_NS0_8identityIvEEEESJ_SM_SN_mSO_SQ_bEUlT_E_NS1_11comp_targetILNS1_3genE10ELNS1_11target_archE1200ELNS1_3gpuE4ELNS1_3repE0EEENS1_30default_config_static_selectorELNS0_4arch9wavefront6targetE1EEEvT1_
	.globl	_ZN7rocprim17ROCPRIM_400000_NS6detail17trampoline_kernelINS0_14default_configENS1_25transform_config_selectorIsLb0EEEZNS1_14transform_implILb0ES3_S5_NS0_18transform_iteratorINS0_17counting_iteratorImlEEZNS1_24adjacent_difference_implIS3_Lb1ELb0EPsN6thrust23THRUST_200600_302600_NS16discard_iteratorINSD_11use_defaultEEENSD_5minusIsEEEE10hipError_tPvRmT2_T3_mT4_P12ihipStream_tbEUlmE_sEESB_NS0_8identityIvEEEESJ_SM_SN_mSO_SQ_bEUlT_E_NS1_11comp_targetILNS1_3genE10ELNS1_11target_archE1200ELNS1_3gpuE4ELNS1_3repE0EEENS1_30default_config_static_selectorELNS0_4arch9wavefront6targetE1EEEvT1_
	.p2align	8
	.type	_ZN7rocprim17ROCPRIM_400000_NS6detail17trampoline_kernelINS0_14default_configENS1_25transform_config_selectorIsLb0EEEZNS1_14transform_implILb0ES3_S5_NS0_18transform_iteratorINS0_17counting_iteratorImlEEZNS1_24adjacent_difference_implIS3_Lb1ELb0EPsN6thrust23THRUST_200600_302600_NS16discard_iteratorINSD_11use_defaultEEENSD_5minusIsEEEE10hipError_tPvRmT2_T3_mT4_P12ihipStream_tbEUlmE_sEESB_NS0_8identityIvEEEESJ_SM_SN_mSO_SQ_bEUlT_E_NS1_11comp_targetILNS1_3genE10ELNS1_11target_archE1200ELNS1_3gpuE4ELNS1_3repE0EEENS1_30default_config_static_selectorELNS0_4arch9wavefront6targetE1EEEvT1_,@function
_ZN7rocprim17ROCPRIM_400000_NS6detail17trampoline_kernelINS0_14default_configENS1_25transform_config_selectorIsLb0EEEZNS1_14transform_implILb0ES3_S5_NS0_18transform_iteratorINS0_17counting_iteratorImlEEZNS1_24adjacent_difference_implIS3_Lb1ELb0EPsN6thrust23THRUST_200600_302600_NS16discard_iteratorINSD_11use_defaultEEENSD_5minusIsEEEE10hipError_tPvRmT2_T3_mT4_P12ihipStream_tbEUlmE_sEESB_NS0_8identityIvEEEESJ_SM_SN_mSO_SQ_bEUlT_E_NS1_11comp_targetILNS1_3genE10ELNS1_11target_archE1200ELNS1_3gpuE4ELNS1_3repE0EEENS1_30default_config_static_selectorELNS0_4arch9wavefront6targetE1EEEvT1_: ; @_ZN7rocprim17ROCPRIM_400000_NS6detail17trampoline_kernelINS0_14default_configENS1_25transform_config_selectorIsLb0EEEZNS1_14transform_implILb0ES3_S5_NS0_18transform_iteratorINS0_17counting_iteratorImlEEZNS1_24adjacent_difference_implIS3_Lb1ELb0EPsN6thrust23THRUST_200600_302600_NS16discard_iteratorINSD_11use_defaultEEENSD_5minusIsEEEE10hipError_tPvRmT2_T3_mT4_P12ihipStream_tbEUlmE_sEESB_NS0_8identityIvEEEESJ_SM_SN_mSO_SQ_bEUlT_E_NS1_11comp_targetILNS1_3genE10ELNS1_11target_archE1200ELNS1_3gpuE4ELNS1_3repE0EEENS1_30default_config_static_selectorELNS0_4arch9wavefront6targetE1EEEvT1_
; %bb.0:
	.section	.rodata,"a",@progbits
	.p2align	6, 0x0
	.amdhsa_kernel _ZN7rocprim17ROCPRIM_400000_NS6detail17trampoline_kernelINS0_14default_configENS1_25transform_config_selectorIsLb0EEEZNS1_14transform_implILb0ES3_S5_NS0_18transform_iteratorINS0_17counting_iteratorImlEEZNS1_24adjacent_difference_implIS3_Lb1ELb0EPsN6thrust23THRUST_200600_302600_NS16discard_iteratorINSD_11use_defaultEEENSD_5minusIsEEEE10hipError_tPvRmT2_T3_mT4_P12ihipStream_tbEUlmE_sEESB_NS0_8identityIvEEEESJ_SM_SN_mSO_SQ_bEUlT_E_NS1_11comp_targetILNS1_3genE10ELNS1_11target_archE1200ELNS1_3gpuE4ELNS1_3repE0EEENS1_30default_config_static_selectorELNS0_4arch9wavefront6targetE1EEEvT1_
		.amdhsa_group_segment_fixed_size 0
		.amdhsa_private_segment_fixed_size 0
		.amdhsa_kernarg_size 56
		.amdhsa_user_sgpr_count 2
		.amdhsa_user_sgpr_dispatch_ptr 0
		.amdhsa_user_sgpr_queue_ptr 0
		.amdhsa_user_sgpr_kernarg_segment_ptr 1
		.amdhsa_user_sgpr_dispatch_id 0
		.amdhsa_user_sgpr_kernarg_preload_length 0
		.amdhsa_user_sgpr_kernarg_preload_offset 0
		.amdhsa_user_sgpr_private_segment_size 0
		.amdhsa_uses_dynamic_stack 0
		.amdhsa_enable_private_segment 0
		.amdhsa_system_sgpr_workgroup_id_x 1
		.amdhsa_system_sgpr_workgroup_id_y 0
		.amdhsa_system_sgpr_workgroup_id_z 0
		.amdhsa_system_sgpr_workgroup_info 0
		.amdhsa_system_vgpr_workitem_id 0
		.amdhsa_next_free_vgpr 1
		.amdhsa_next_free_sgpr 0
		.amdhsa_accum_offset 4
		.amdhsa_reserve_vcc 0
		.amdhsa_float_round_mode_32 0
		.amdhsa_float_round_mode_16_64 0
		.amdhsa_float_denorm_mode_32 3
		.amdhsa_float_denorm_mode_16_64 3
		.amdhsa_dx10_clamp 1
		.amdhsa_ieee_mode 1
		.amdhsa_fp16_overflow 0
		.amdhsa_tg_split 0
		.amdhsa_exception_fp_ieee_invalid_op 0
		.amdhsa_exception_fp_denorm_src 0
		.amdhsa_exception_fp_ieee_div_zero 0
		.amdhsa_exception_fp_ieee_overflow 0
		.amdhsa_exception_fp_ieee_underflow 0
		.amdhsa_exception_fp_ieee_inexact 0
		.amdhsa_exception_int_div_zero 0
	.end_amdhsa_kernel
	.section	.text._ZN7rocprim17ROCPRIM_400000_NS6detail17trampoline_kernelINS0_14default_configENS1_25transform_config_selectorIsLb0EEEZNS1_14transform_implILb0ES3_S5_NS0_18transform_iteratorINS0_17counting_iteratorImlEEZNS1_24adjacent_difference_implIS3_Lb1ELb0EPsN6thrust23THRUST_200600_302600_NS16discard_iteratorINSD_11use_defaultEEENSD_5minusIsEEEE10hipError_tPvRmT2_T3_mT4_P12ihipStream_tbEUlmE_sEESB_NS0_8identityIvEEEESJ_SM_SN_mSO_SQ_bEUlT_E_NS1_11comp_targetILNS1_3genE10ELNS1_11target_archE1200ELNS1_3gpuE4ELNS1_3repE0EEENS1_30default_config_static_selectorELNS0_4arch9wavefront6targetE1EEEvT1_,"axG",@progbits,_ZN7rocprim17ROCPRIM_400000_NS6detail17trampoline_kernelINS0_14default_configENS1_25transform_config_selectorIsLb0EEEZNS1_14transform_implILb0ES3_S5_NS0_18transform_iteratorINS0_17counting_iteratorImlEEZNS1_24adjacent_difference_implIS3_Lb1ELb0EPsN6thrust23THRUST_200600_302600_NS16discard_iteratorINSD_11use_defaultEEENSD_5minusIsEEEE10hipError_tPvRmT2_T3_mT4_P12ihipStream_tbEUlmE_sEESB_NS0_8identityIvEEEESJ_SM_SN_mSO_SQ_bEUlT_E_NS1_11comp_targetILNS1_3genE10ELNS1_11target_archE1200ELNS1_3gpuE4ELNS1_3repE0EEENS1_30default_config_static_selectorELNS0_4arch9wavefront6targetE1EEEvT1_,comdat
.Lfunc_end706:
	.size	_ZN7rocprim17ROCPRIM_400000_NS6detail17trampoline_kernelINS0_14default_configENS1_25transform_config_selectorIsLb0EEEZNS1_14transform_implILb0ES3_S5_NS0_18transform_iteratorINS0_17counting_iteratorImlEEZNS1_24adjacent_difference_implIS3_Lb1ELb0EPsN6thrust23THRUST_200600_302600_NS16discard_iteratorINSD_11use_defaultEEENSD_5minusIsEEEE10hipError_tPvRmT2_T3_mT4_P12ihipStream_tbEUlmE_sEESB_NS0_8identityIvEEEESJ_SM_SN_mSO_SQ_bEUlT_E_NS1_11comp_targetILNS1_3genE10ELNS1_11target_archE1200ELNS1_3gpuE4ELNS1_3repE0EEENS1_30default_config_static_selectorELNS0_4arch9wavefront6targetE1EEEvT1_, .Lfunc_end706-_ZN7rocprim17ROCPRIM_400000_NS6detail17trampoline_kernelINS0_14default_configENS1_25transform_config_selectorIsLb0EEEZNS1_14transform_implILb0ES3_S5_NS0_18transform_iteratorINS0_17counting_iteratorImlEEZNS1_24adjacent_difference_implIS3_Lb1ELb0EPsN6thrust23THRUST_200600_302600_NS16discard_iteratorINSD_11use_defaultEEENSD_5minusIsEEEE10hipError_tPvRmT2_T3_mT4_P12ihipStream_tbEUlmE_sEESB_NS0_8identityIvEEEESJ_SM_SN_mSO_SQ_bEUlT_E_NS1_11comp_targetILNS1_3genE10ELNS1_11target_archE1200ELNS1_3gpuE4ELNS1_3repE0EEENS1_30default_config_static_selectorELNS0_4arch9wavefront6targetE1EEEvT1_
                                        ; -- End function
	.section	.AMDGPU.csdata,"",@progbits
; Kernel info:
; codeLenInByte = 0
; NumSgprs: 6
; NumVgprs: 0
; NumAgprs: 0
; TotalNumVgprs: 0
; ScratchSize: 0
; MemoryBound: 0
; FloatMode: 240
; IeeeMode: 1
; LDSByteSize: 0 bytes/workgroup (compile time only)
; SGPRBlocks: 0
; VGPRBlocks: 0
; NumSGPRsForWavesPerEU: 6
; NumVGPRsForWavesPerEU: 1
; AccumOffset: 4
; Occupancy: 8
; WaveLimiterHint : 0
; COMPUTE_PGM_RSRC2:SCRATCH_EN: 0
; COMPUTE_PGM_RSRC2:USER_SGPR: 2
; COMPUTE_PGM_RSRC2:TRAP_HANDLER: 0
; COMPUTE_PGM_RSRC2:TGID_X_EN: 1
; COMPUTE_PGM_RSRC2:TGID_Y_EN: 0
; COMPUTE_PGM_RSRC2:TGID_Z_EN: 0
; COMPUTE_PGM_RSRC2:TIDIG_COMP_CNT: 0
; COMPUTE_PGM_RSRC3_GFX90A:ACCUM_OFFSET: 0
; COMPUTE_PGM_RSRC3_GFX90A:TG_SPLIT: 0
	.section	.text._ZN7rocprim17ROCPRIM_400000_NS6detail17trampoline_kernelINS0_14default_configENS1_25transform_config_selectorIsLb0EEEZNS1_14transform_implILb0ES3_S5_NS0_18transform_iteratorINS0_17counting_iteratorImlEEZNS1_24adjacent_difference_implIS3_Lb1ELb0EPsN6thrust23THRUST_200600_302600_NS16discard_iteratorINSD_11use_defaultEEENSD_5minusIsEEEE10hipError_tPvRmT2_T3_mT4_P12ihipStream_tbEUlmE_sEESB_NS0_8identityIvEEEESJ_SM_SN_mSO_SQ_bEUlT_E_NS1_11comp_targetILNS1_3genE9ELNS1_11target_archE1100ELNS1_3gpuE3ELNS1_3repE0EEENS1_30default_config_static_selectorELNS0_4arch9wavefront6targetE1EEEvT1_,"axG",@progbits,_ZN7rocprim17ROCPRIM_400000_NS6detail17trampoline_kernelINS0_14default_configENS1_25transform_config_selectorIsLb0EEEZNS1_14transform_implILb0ES3_S5_NS0_18transform_iteratorINS0_17counting_iteratorImlEEZNS1_24adjacent_difference_implIS3_Lb1ELb0EPsN6thrust23THRUST_200600_302600_NS16discard_iteratorINSD_11use_defaultEEENSD_5minusIsEEEE10hipError_tPvRmT2_T3_mT4_P12ihipStream_tbEUlmE_sEESB_NS0_8identityIvEEEESJ_SM_SN_mSO_SQ_bEUlT_E_NS1_11comp_targetILNS1_3genE9ELNS1_11target_archE1100ELNS1_3gpuE3ELNS1_3repE0EEENS1_30default_config_static_selectorELNS0_4arch9wavefront6targetE1EEEvT1_,comdat
	.protected	_ZN7rocprim17ROCPRIM_400000_NS6detail17trampoline_kernelINS0_14default_configENS1_25transform_config_selectorIsLb0EEEZNS1_14transform_implILb0ES3_S5_NS0_18transform_iteratorINS0_17counting_iteratorImlEEZNS1_24adjacent_difference_implIS3_Lb1ELb0EPsN6thrust23THRUST_200600_302600_NS16discard_iteratorINSD_11use_defaultEEENSD_5minusIsEEEE10hipError_tPvRmT2_T3_mT4_P12ihipStream_tbEUlmE_sEESB_NS0_8identityIvEEEESJ_SM_SN_mSO_SQ_bEUlT_E_NS1_11comp_targetILNS1_3genE9ELNS1_11target_archE1100ELNS1_3gpuE3ELNS1_3repE0EEENS1_30default_config_static_selectorELNS0_4arch9wavefront6targetE1EEEvT1_ ; -- Begin function _ZN7rocprim17ROCPRIM_400000_NS6detail17trampoline_kernelINS0_14default_configENS1_25transform_config_selectorIsLb0EEEZNS1_14transform_implILb0ES3_S5_NS0_18transform_iteratorINS0_17counting_iteratorImlEEZNS1_24adjacent_difference_implIS3_Lb1ELb0EPsN6thrust23THRUST_200600_302600_NS16discard_iteratorINSD_11use_defaultEEENSD_5minusIsEEEE10hipError_tPvRmT2_T3_mT4_P12ihipStream_tbEUlmE_sEESB_NS0_8identityIvEEEESJ_SM_SN_mSO_SQ_bEUlT_E_NS1_11comp_targetILNS1_3genE9ELNS1_11target_archE1100ELNS1_3gpuE3ELNS1_3repE0EEENS1_30default_config_static_selectorELNS0_4arch9wavefront6targetE1EEEvT1_
	.globl	_ZN7rocprim17ROCPRIM_400000_NS6detail17trampoline_kernelINS0_14default_configENS1_25transform_config_selectorIsLb0EEEZNS1_14transform_implILb0ES3_S5_NS0_18transform_iteratorINS0_17counting_iteratorImlEEZNS1_24adjacent_difference_implIS3_Lb1ELb0EPsN6thrust23THRUST_200600_302600_NS16discard_iteratorINSD_11use_defaultEEENSD_5minusIsEEEE10hipError_tPvRmT2_T3_mT4_P12ihipStream_tbEUlmE_sEESB_NS0_8identityIvEEEESJ_SM_SN_mSO_SQ_bEUlT_E_NS1_11comp_targetILNS1_3genE9ELNS1_11target_archE1100ELNS1_3gpuE3ELNS1_3repE0EEENS1_30default_config_static_selectorELNS0_4arch9wavefront6targetE1EEEvT1_
	.p2align	8
	.type	_ZN7rocprim17ROCPRIM_400000_NS6detail17trampoline_kernelINS0_14default_configENS1_25transform_config_selectorIsLb0EEEZNS1_14transform_implILb0ES3_S5_NS0_18transform_iteratorINS0_17counting_iteratorImlEEZNS1_24adjacent_difference_implIS3_Lb1ELb0EPsN6thrust23THRUST_200600_302600_NS16discard_iteratorINSD_11use_defaultEEENSD_5minusIsEEEE10hipError_tPvRmT2_T3_mT4_P12ihipStream_tbEUlmE_sEESB_NS0_8identityIvEEEESJ_SM_SN_mSO_SQ_bEUlT_E_NS1_11comp_targetILNS1_3genE9ELNS1_11target_archE1100ELNS1_3gpuE3ELNS1_3repE0EEENS1_30default_config_static_selectorELNS0_4arch9wavefront6targetE1EEEvT1_,@function
_ZN7rocprim17ROCPRIM_400000_NS6detail17trampoline_kernelINS0_14default_configENS1_25transform_config_selectorIsLb0EEEZNS1_14transform_implILb0ES3_S5_NS0_18transform_iteratorINS0_17counting_iteratorImlEEZNS1_24adjacent_difference_implIS3_Lb1ELb0EPsN6thrust23THRUST_200600_302600_NS16discard_iteratorINSD_11use_defaultEEENSD_5minusIsEEEE10hipError_tPvRmT2_T3_mT4_P12ihipStream_tbEUlmE_sEESB_NS0_8identityIvEEEESJ_SM_SN_mSO_SQ_bEUlT_E_NS1_11comp_targetILNS1_3genE9ELNS1_11target_archE1100ELNS1_3gpuE3ELNS1_3repE0EEENS1_30default_config_static_selectorELNS0_4arch9wavefront6targetE1EEEvT1_: ; @_ZN7rocprim17ROCPRIM_400000_NS6detail17trampoline_kernelINS0_14default_configENS1_25transform_config_selectorIsLb0EEEZNS1_14transform_implILb0ES3_S5_NS0_18transform_iteratorINS0_17counting_iteratorImlEEZNS1_24adjacent_difference_implIS3_Lb1ELb0EPsN6thrust23THRUST_200600_302600_NS16discard_iteratorINSD_11use_defaultEEENSD_5minusIsEEEE10hipError_tPvRmT2_T3_mT4_P12ihipStream_tbEUlmE_sEESB_NS0_8identityIvEEEESJ_SM_SN_mSO_SQ_bEUlT_E_NS1_11comp_targetILNS1_3genE9ELNS1_11target_archE1100ELNS1_3gpuE3ELNS1_3repE0EEENS1_30default_config_static_selectorELNS0_4arch9wavefront6targetE1EEEvT1_
; %bb.0:
	.section	.rodata,"a",@progbits
	.p2align	6, 0x0
	.amdhsa_kernel _ZN7rocprim17ROCPRIM_400000_NS6detail17trampoline_kernelINS0_14default_configENS1_25transform_config_selectorIsLb0EEEZNS1_14transform_implILb0ES3_S5_NS0_18transform_iteratorINS0_17counting_iteratorImlEEZNS1_24adjacent_difference_implIS3_Lb1ELb0EPsN6thrust23THRUST_200600_302600_NS16discard_iteratorINSD_11use_defaultEEENSD_5minusIsEEEE10hipError_tPvRmT2_T3_mT4_P12ihipStream_tbEUlmE_sEESB_NS0_8identityIvEEEESJ_SM_SN_mSO_SQ_bEUlT_E_NS1_11comp_targetILNS1_3genE9ELNS1_11target_archE1100ELNS1_3gpuE3ELNS1_3repE0EEENS1_30default_config_static_selectorELNS0_4arch9wavefront6targetE1EEEvT1_
		.amdhsa_group_segment_fixed_size 0
		.amdhsa_private_segment_fixed_size 0
		.amdhsa_kernarg_size 56
		.amdhsa_user_sgpr_count 2
		.amdhsa_user_sgpr_dispatch_ptr 0
		.amdhsa_user_sgpr_queue_ptr 0
		.amdhsa_user_sgpr_kernarg_segment_ptr 1
		.amdhsa_user_sgpr_dispatch_id 0
		.amdhsa_user_sgpr_kernarg_preload_length 0
		.amdhsa_user_sgpr_kernarg_preload_offset 0
		.amdhsa_user_sgpr_private_segment_size 0
		.amdhsa_uses_dynamic_stack 0
		.amdhsa_enable_private_segment 0
		.amdhsa_system_sgpr_workgroup_id_x 1
		.amdhsa_system_sgpr_workgroup_id_y 0
		.amdhsa_system_sgpr_workgroup_id_z 0
		.amdhsa_system_sgpr_workgroup_info 0
		.amdhsa_system_vgpr_workitem_id 0
		.amdhsa_next_free_vgpr 1
		.amdhsa_next_free_sgpr 0
		.amdhsa_accum_offset 4
		.amdhsa_reserve_vcc 0
		.amdhsa_float_round_mode_32 0
		.amdhsa_float_round_mode_16_64 0
		.amdhsa_float_denorm_mode_32 3
		.amdhsa_float_denorm_mode_16_64 3
		.amdhsa_dx10_clamp 1
		.amdhsa_ieee_mode 1
		.amdhsa_fp16_overflow 0
		.amdhsa_tg_split 0
		.amdhsa_exception_fp_ieee_invalid_op 0
		.amdhsa_exception_fp_denorm_src 0
		.amdhsa_exception_fp_ieee_div_zero 0
		.amdhsa_exception_fp_ieee_overflow 0
		.amdhsa_exception_fp_ieee_underflow 0
		.amdhsa_exception_fp_ieee_inexact 0
		.amdhsa_exception_int_div_zero 0
	.end_amdhsa_kernel
	.section	.text._ZN7rocprim17ROCPRIM_400000_NS6detail17trampoline_kernelINS0_14default_configENS1_25transform_config_selectorIsLb0EEEZNS1_14transform_implILb0ES3_S5_NS0_18transform_iteratorINS0_17counting_iteratorImlEEZNS1_24adjacent_difference_implIS3_Lb1ELb0EPsN6thrust23THRUST_200600_302600_NS16discard_iteratorINSD_11use_defaultEEENSD_5minusIsEEEE10hipError_tPvRmT2_T3_mT4_P12ihipStream_tbEUlmE_sEESB_NS0_8identityIvEEEESJ_SM_SN_mSO_SQ_bEUlT_E_NS1_11comp_targetILNS1_3genE9ELNS1_11target_archE1100ELNS1_3gpuE3ELNS1_3repE0EEENS1_30default_config_static_selectorELNS0_4arch9wavefront6targetE1EEEvT1_,"axG",@progbits,_ZN7rocprim17ROCPRIM_400000_NS6detail17trampoline_kernelINS0_14default_configENS1_25transform_config_selectorIsLb0EEEZNS1_14transform_implILb0ES3_S5_NS0_18transform_iteratorINS0_17counting_iteratorImlEEZNS1_24adjacent_difference_implIS3_Lb1ELb0EPsN6thrust23THRUST_200600_302600_NS16discard_iteratorINSD_11use_defaultEEENSD_5minusIsEEEE10hipError_tPvRmT2_T3_mT4_P12ihipStream_tbEUlmE_sEESB_NS0_8identityIvEEEESJ_SM_SN_mSO_SQ_bEUlT_E_NS1_11comp_targetILNS1_3genE9ELNS1_11target_archE1100ELNS1_3gpuE3ELNS1_3repE0EEENS1_30default_config_static_selectorELNS0_4arch9wavefront6targetE1EEEvT1_,comdat
.Lfunc_end707:
	.size	_ZN7rocprim17ROCPRIM_400000_NS6detail17trampoline_kernelINS0_14default_configENS1_25transform_config_selectorIsLb0EEEZNS1_14transform_implILb0ES3_S5_NS0_18transform_iteratorINS0_17counting_iteratorImlEEZNS1_24adjacent_difference_implIS3_Lb1ELb0EPsN6thrust23THRUST_200600_302600_NS16discard_iteratorINSD_11use_defaultEEENSD_5minusIsEEEE10hipError_tPvRmT2_T3_mT4_P12ihipStream_tbEUlmE_sEESB_NS0_8identityIvEEEESJ_SM_SN_mSO_SQ_bEUlT_E_NS1_11comp_targetILNS1_3genE9ELNS1_11target_archE1100ELNS1_3gpuE3ELNS1_3repE0EEENS1_30default_config_static_selectorELNS0_4arch9wavefront6targetE1EEEvT1_, .Lfunc_end707-_ZN7rocprim17ROCPRIM_400000_NS6detail17trampoline_kernelINS0_14default_configENS1_25transform_config_selectorIsLb0EEEZNS1_14transform_implILb0ES3_S5_NS0_18transform_iteratorINS0_17counting_iteratorImlEEZNS1_24adjacent_difference_implIS3_Lb1ELb0EPsN6thrust23THRUST_200600_302600_NS16discard_iteratorINSD_11use_defaultEEENSD_5minusIsEEEE10hipError_tPvRmT2_T3_mT4_P12ihipStream_tbEUlmE_sEESB_NS0_8identityIvEEEESJ_SM_SN_mSO_SQ_bEUlT_E_NS1_11comp_targetILNS1_3genE9ELNS1_11target_archE1100ELNS1_3gpuE3ELNS1_3repE0EEENS1_30default_config_static_selectorELNS0_4arch9wavefront6targetE1EEEvT1_
                                        ; -- End function
	.section	.AMDGPU.csdata,"",@progbits
; Kernel info:
; codeLenInByte = 0
; NumSgprs: 6
; NumVgprs: 0
; NumAgprs: 0
; TotalNumVgprs: 0
; ScratchSize: 0
; MemoryBound: 0
; FloatMode: 240
; IeeeMode: 1
; LDSByteSize: 0 bytes/workgroup (compile time only)
; SGPRBlocks: 0
; VGPRBlocks: 0
; NumSGPRsForWavesPerEU: 6
; NumVGPRsForWavesPerEU: 1
; AccumOffset: 4
; Occupancy: 8
; WaveLimiterHint : 0
; COMPUTE_PGM_RSRC2:SCRATCH_EN: 0
; COMPUTE_PGM_RSRC2:USER_SGPR: 2
; COMPUTE_PGM_RSRC2:TRAP_HANDLER: 0
; COMPUTE_PGM_RSRC2:TGID_X_EN: 1
; COMPUTE_PGM_RSRC2:TGID_Y_EN: 0
; COMPUTE_PGM_RSRC2:TGID_Z_EN: 0
; COMPUTE_PGM_RSRC2:TIDIG_COMP_CNT: 0
; COMPUTE_PGM_RSRC3_GFX90A:ACCUM_OFFSET: 0
; COMPUTE_PGM_RSRC3_GFX90A:TG_SPLIT: 0
	.section	.text._ZN7rocprim17ROCPRIM_400000_NS6detail17trampoline_kernelINS0_14default_configENS1_25transform_config_selectorIsLb0EEEZNS1_14transform_implILb0ES3_S5_NS0_18transform_iteratorINS0_17counting_iteratorImlEEZNS1_24adjacent_difference_implIS3_Lb1ELb0EPsN6thrust23THRUST_200600_302600_NS16discard_iteratorINSD_11use_defaultEEENSD_5minusIsEEEE10hipError_tPvRmT2_T3_mT4_P12ihipStream_tbEUlmE_sEESB_NS0_8identityIvEEEESJ_SM_SN_mSO_SQ_bEUlT_E_NS1_11comp_targetILNS1_3genE8ELNS1_11target_archE1030ELNS1_3gpuE2ELNS1_3repE0EEENS1_30default_config_static_selectorELNS0_4arch9wavefront6targetE1EEEvT1_,"axG",@progbits,_ZN7rocprim17ROCPRIM_400000_NS6detail17trampoline_kernelINS0_14default_configENS1_25transform_config_selectorIsLb0EEEZNS1_14transform_implILb0ES3_S5_NS0_18transform_iteratorINS0_17counting_iteratorImlEEZNS1_24adjacent_difference_implIS3_Lb1ELb0EPsN6thrust23THRUST_200600_302600_NS16discard_iteratorINSD_11use_defaultEEENSD_5minusIsEEEE10hipError_tPvRmT2_T3_mT4_P12ihipStream_tbEUlmE_sEESB_NS0_8identityIvEEEESJ_SM_SN_mSO_SQ_bEUlT_E_NS1_11comp_targetILNS1_3genE8ELNS1_11target_archE1030ELNS1_3gpuE2ELNS1_3repE0EEENS1_30default_config_static_selectorELNS0_4arch9wavefront6targetE1EEEvT1_,comdat
	.protected	_ZN7rocprim17ROCPRIM_400000_NS6detail17trampoline_kernelINS0_14default_configENS1_25transform_config_selectorIsLb0EEEZNS1_14transform_implILb0ES3_S5_NS0_18transform_iteratorINS0_17counting_iteratorImlEEZNS1_24adjacent_difference_implIS3_Lb1ELb0EPsN6thrust23THRUST_200600_302600_NS16discard_iteratorINSD_11use_defaultEEENSD_5minusIsEEEE10hipError_tPvRmT2_T3_mT4_P12ihipStream_tbEUlmE_sEESB_NS0_8identityIvEEEESJ_SM_SN_mSO_SQ_bEUlT_E_NS1_11comp_targetILNS1_3genE8ELNS1_11target_archE1030ELNS1_3gpuE2ELNS1_3repE0EEENS1_30default_config_static_selectorELNS0_4arch9wavefront6targetE1EEEvT1_ ; -- Begin function _ZN7rocprim17ROCPRIM_400000_NS6detail17trampoline_kernelINS0_14default_configENS1_25transform_config_selectorIsLb0EEEZNS1_14transform_implILb0ES3_S5_NS0_18transform_iteratorINS0_17counting_iteratorImlEEZNS1_24adjacent_difference_implIS3_Lb1ELb0EPsN6thrust23THRUST_200600_302600_NS16discard_iteratorINSD_11use_defaultEEENSD_5minusIsEEEE10hipError_tPvRmT2_T3_mT4_P12ihipStream_tbEUlmE_sEESB_NS0_8identityIvEEEESJ_SM_SN_mSO_SQ_bEUlT_E_NS1_11comp_targetILNS1_3genE8ELNS1_11target_archE1030ELNS1_3gpuE2ELNS1_3repE0EEENS1_30default_config_static_selectorELNS0_4arch9wavefront6targetE1EEEvT1_
	.globl	_ZN7rocprim17ROCPRIM_400000_NS6detail17trampoline_kernelINS0_14default_configENS1_25transform_config_selectorIsLb0EEEZNS1_14transform_implILb0ES3_S5_NS0_18transform_iteratorINS0_17counting_iteratorImlEEZNS1_24adjacent_difference_implIS3_Lb1ELb0EPsN6thrust23THRUST_200600_302600_NS16discard_iteratorINSD_11use_defaultEEENSD_5minusIsEEEE10hipError_tPvRmT2_T3_mT4_P12ihipStream_tbEUlmE_sEESB_NS0_8identityIvEEEESJ_SM_SN_mSO_SQ_bEUlT_E_NS1_11comp_targetILNS1_3genE8ELNS1_11target_archE1030ELNS1_3gpuE2ELNS1_3repE0EEENS1_30default_config_static_selectorELNS0_4arch9wavefront6targetE1EEEvT1_
	.p2align	8
	.type	_ZN7rocprim17ROCPRIM_400000_NS6detail17trampoline_kernelINS0_14default_configENS1_25transform_config_selectorIsLb0EEEZNS1_14transform_implILb0ES3_S5_NS0_18transform_iteratorINS0_17counting_iteratorImlEEZNS1_24adjacent_difference_implIS3_Lb1ELb0EPsN6thrust23THRUST_200600_302600_NS16discard_iteratorINSD_11use_defaultEEENSD_5minusIsEEEE10hipError_tPvRmT2_T3_mT4_P12ihipStream_tbEUlmE_sEESB_NS0_8identityIvEEEESJ_SM_SN_mSO_SQ_bEUlT_E_NS1_11comp_targetILNS1_3genE8ELNS1_11target_archE1030ELNS1_3gpuE2ELNS1_3repE0EEENS1_30default_config_static_selectorELNS0_4arch9wavefront6targetE1EEEvT1_,@function
_ZN7rocprim17ROCPRIM_400000_NS6detail17trampoline_kernelINS0_14default_configENS1_25transform_config_selectorIsLb0EEEZNS1_14transform_implILb0ES3_S5_NS0_18transform_iteratorINS0_17counting_iteratorImlEEZNS1_24adjacent_difference_implIS3_Lb1ELb0EPsN6thrust23THRUST_200600_302600_NS16discard_iteratorINSD_11use_defaultEEENSD_5minusIsEEEE10hipError_tPvRmT2_T3_mT4_P12ihipStream_tbEUlmE_sEESB_NS0_8identityIvEEEESJ_SM_SN_mSO_SQ_bEUlT_E_NS1_11comp_targetILNS1_3genE8ELNS1_11target_archE1030ELNS1_3gpuE2ELNS1_3repE0EEENS1_30default_config_static_selectorELNS0_4arch9wavefront6targetE1EEEvT1_: ; @_ZN7rocprim17ROCPRIM_400000_NS6detail17trampoline_kernelINS0_14default_configENS1_25transform_config_selectorIsLb0EEEZNS1_14transform_implILb0ES3_S5_NS0_18transform_iteratorINS0_17counting_iteratorImlEEZNS1_24adjacent_difference_implIS3_Lb1ELb0EPsN6thrust23THRUST_200600_302600_NS16discard_iteratorINSD_11use_defaultEEENSD_5minusIsEEEE10hipError_tPvRmT2_T3_mT4_P12ihipStream_tbEUlmE_sEESB_NS0_8identityIvEEEESJ_SM_SN_mSO_SQ_bEUlT_E_NS1_11comp_targetILNS1_3genE8ELNS1_11target_archE1030ELNS1_3gpuE2ELNS1_3repE0EEENS1_30default_config_static_selectorELNS0_4arch9wavefront6targetE1EEEvT1_
; %bb.0:
	.section	.rodata,"a",@progbits
	.p2align	6, 0x0
	.amdhsa_kernel _ZN7rocprim17ROCPRIM_400000_NS6detail17trampoline_kernelINS0_14default_configENS1_25transform_config_selectorIsLb0EEEZNS1_14transform_implILb0ES3_S5_NS0_18transform_iteratorINS0_17counting_iteratorImlEEZNS1_24adjacent_difference_implIS3_Lb1ELb0EPsN6thrust23THRUST_200600_302600_NS16discard_iteratorINSD_11use_defaultEEENSD_5minusIsEEEE10hipError_tPvRmT2_T3_mT4_P12ihipStream_tbEUlmE_sEESB_NS0_8identityIvEEEESJ_SM_SN_mSO_SQ_bEUlT_E_NS1_11comp_targetILNS1_3genE8ELNS1_11target_archE1030ELNS1_3gpuE2ELNS1_3repE0EEENS1_30default_config_static_selectorELNS0_4arch9wavefront6targetE1EEEvT1_
		.amdhsa_group_segment_fixed_size 0
		.amdhsa_private_segment_fixed_size 0
		.amdhsa_kernarg_size 56
		.amdhsa_user_sgpr_count 2
		.amdhsa_user_sgpr_dispatch_ptr 0
		.amdhsa_user_sgpr_queue_ptr 0
		.amdhsa_user_sgpr_kernarg_segment_ptr 1
		.amdhsa_user_sgpr_dispatch_id 0
		.amdhsa_user_sgpr_kernarg_preload_length 0
		.amdhsa_user_sgpr_kernarg_preload_offset 0
		.amdhsa_user_sgpr_private_segment_size 0
		.amdhsa_uses_dynamic_stack 0
		.amdhsa_enable_private_segment 0
		.amdhsa_system_sgpr_workgroup_id_x 1
		.amdhsa_system_sgpr_workgroup_id_y 0
		.amdhsa_system_sgpr_workgroup_id_z 0
		.amdhsa_system_sgpr_workgroup_info 0
		.amdhsa_system_vgpr_workitem_id 0
		.amdhsa_next_free_vgpr 1
		.amdhsa_next_free_sgpr 0
		.amdhsa_accum_offset 4
		.amdhsa_reserve_vcc 0
		.amdhsa_float_round_mode_32 0
		.amdhsa_float_round_mode_16_64 0
		.amdhsa_float_denorm_mode_32 3
		.amdhsa_float_denorm_mode_16_64 3
		.amdhsa_dx10_clamp 1
		.amdhsa_ieee_mode 1
		.amdhsa_fp16_overflow 0
		.amdhsa_tg_split 0
		.amdhsa_exception_fp_ieee_invalid_op 0
		.amdhsa_exception_fp_denorm_src 0
		.amdhsa_exception_fp_ieee_div_zero 0
		.amdhsa_exception_fp_ieee_overflow 0
		.amdhsa_exception_fp_ieee_underflow 0
		.amdhsa_exception_fp_ieee_inexact 0
		.amdhsa_exception_int_div_zero 0
	.end_amdhsa_kernel
	.section	.text._ZN7rocprim17ROCPRIM_400000_NS6detail17trampoline_kernelINS0_14default_configENS1_25transform_config_selectorIsLb0EEEZNS1_14transform_implILb0ES3_S5_NS0_18transform_iteratorINS0_17counting_iteratorImlEEZNS1_24adjacent_difference_implIS3_Lb1ELb0EPsN6thrust23THRUST_200600_302600_NS16discard_iteratorINSD_11use_defaultEEENSD_5minusIsEEEE10hipError_tPvRmT2_T3_mT4_P12ihipStream_tbEUlmE_sEESB_NS0_8identityIvEEEESJ_SM_SN_mSO_SQ_bEUlT_E_NS1_11comp_targetILNS1_3genE8ELNS1_11target_archE1030ELNS1_3gpuE2ELNS1_3repE0EEENS1_30default_config_static_selectorELNS0_4arch9wavefront6targetE1EEEvT1_,"axG",@progbits,_ZN7rocprim17ROCPRIM_400000_NS6detail17trampoline_kernelINS0_14default_configENS1_25transform_config_selectorIsLb0EEEZNS1_14transform_implILb0ES3_S5_NS0_18transform_iteratorINS0_17counting_iteratorImlEEZNS1_24adjacent_difference_implIS3_Lb1ELb0EPsN6thrust23THRUST_200600_302600_NS16discard_iteratorINSD_11use_defaultEEENSD_5minusIsEEEE10hipError_tPvRmT2_T3_mT4_P12ihipStream_tbEUlmE_sEESB_NS0_8identityIvEEEESJ_SM_SN_mSO_SQ_bEUlT_E_NS1_11comp_targetILNS1_3genE8ELNS1_11target_archE1030ELNS1_3gpuE2ELNS1_3repE0EEENS1_30default_config_static_selectorELNS0_4arch9wavefront6targetE1EEEvT1_,comdat
.Lfunc_end708:
	.size	_ZN7rocprim17ROCPRIM_400000_NS6detail17trampoline_kernelINS0_14default_configENS1_25transform_config_selectorIsLb0EEEZNS1_14transform_implILb0ES3_S5_NS0_18transform_iteratorINS0_17counting_iteratorImlEEZNS1_24adjacent_difference_implIS3_Lb1ELb0EPsN6thrust23THRUST_200600_302600_NS16discard_iteratorINSD_11use_defaultEEENSD_5minusIsEEEE10hipError_tPvRmT2_T3_mT4_P12ihipStream_tbEUlmE_sEESB_NS0_8identityIvEEEESJ_SM_SN_mSO_SQ_bEUlT_E_NS1_11comp_targetILNS1_3genE8ELNS1_11target_archE1030ELNS1_3gpuE2ELNS1_3repE0EEENS1_30default_config_static_selectorELNS0_4arch9wavefront6targetE1EEEvT1_, .Lfunc_end708-_ZN7rocprim17ROCPRIM_400000_NS6detail17trampoline_kernelINS0_14default_configENS1_25transform_config_selectorIsLb0EEEZNS1_14transform_implILb0ES3_S5_NS0_18transform_iteratorINS0_17counting_iteratorImlEEZNS1_24adjacent_difference_implIS3_Lb1ELb0EPsN6thrust23THRUST_200600_302600_NS16discard_iteratorINSD_11use_defaultEEENSD_5minusIsEEEE10hipError_tPvRmT2_T3_mT4_P12ihipStream_tbEUlmE_sEESB_NS0_8identityIvEEEESJ_SM_SN_mSO_SQ_bEUlT_E_NS1_11comp_targetILNS1_3genE8ELNS1_11target_archE1030ELNS1_3gpuE2ELNS1_3repE0EEENS1_30default_config_static_selectorELNS0_4arch9wavefront6targetE1EEEvT1_
                                        ; -- End function
	.section	.AMDGPU.csdata,"",@progbits
; Kernel info:
; codeLenInByte = 0
; NumSgprs: 6
; NumVgprs: 0
; NumAgprs: 0
; TotalNumVgprs: 0
; ScratchSize: 0
; MemoryBound: 0
; FloatMode: 240
; IeeeMode: 1
; LDSByteSize: 0 bytes/workgroup (compile time only)
; SGPRBlocks: 0
; VGPRBlocks: 0
; NumSGPRsForWavesPerEU: 6
; NumVGPRsForWavesPerEU: 1
; AccumOffset: 4
; Occupancy: 8
; WaveLimiterHint : 0
; COMPUTE_PGM_RSRC2:SCRATCH_EN: 0
; COMPUTE_PGM_RSRC2:USER_SGPR: 2
; COMPUTE_PGM_RSRC2:TRAP_HANDLER: 0
; COMPUTE_PGM_RSRC2:TGID_X_EN: 1
; COMPUTE_PGM_RSRC2:TGID_Y_EN: 0
; COMPUTE_PGM_RSRC2:TGID_Z_EN: 0
; COMPUTE_PGM_RSRC2:TIDIG_COMP_CNT: 0
; COMPUTE_PGM_RSRC3_GFX90A:ACCUM_OFFSET: 0
; COMPUTE_PGM_RSRC3_GFX90A:TG_SPLIT: 0
	.section	.text._ZN7rocprim17ROCPRIM_400000_NS6detail17trampoline_kernelINS0_14default_configENS1_35adjacent_difference_config_selectorILb1EsEEZNS1_24adjacent_difference_implIS3_Lb1ELb0EPsN6thrust23THRUST_200600_302600_NS16discard_iteratorINS9_11use_defaultEEENS9_5minusIsEEEE10hipError_tPvRmT2_T3_mT4_P12ihipStream_tbEUlT_E_NS1_11comp_targetILNS1_3genE0ELNS1_11target_archE4294967295ELNS1_3gpuE0ELNS1_3repE0EEENS1_30default_config_static_selectorELNS0_4arch9wavefront6targetE1EEEvT1_,"axG",@progbits,_ZN7rocprim17ROCPRIM_400000_NS6detail17trampoline_kernelINS0_14default_configENS1_35adjacent_difference_config_selectorILb1EsEEZNS1_24adjacent_difference_implIS3_Lb1ELb0EPsN6thrust23THRUST_200600_302600_NS16discard_iteratorINS9_11use_defaultEEENS9_5minusIsEEEE10hipError_tPvRmT2_T3_mT4_P12ihipStream_tbEUlT_E_NS1_11comp_targetILNS1_3genE0ELNS1_11target_archE4294967295ELNS1_3gpuE0ELNS1_3repE0EEENS1_30default_config_static_selectorELNS0_4arch9wavefront6targetE1EEEvT1_,comdat
	.protected	_ZN7rocprim17ROCPRIM_400000_NS6detail17trampoline_kernelINS0_14default_configENS1_35adjacent_difference_config_selectorILb1EsEEZNS1_24adjacent_difference_implIS3_Lb1ELb0EPsN6thrust23THRUST_200600_302600_NS16discard_iteratorINS9_11use_defaultEEENS9_5minusIsEEEE10hipError_tPvRmT2_T3_mT4_P12ihipStream_tbEUlT_E_NS1_11comp_targetILNS1_3genE0ELNS1_11target_archE4294967295ELNS1_3gpuE0ELNS1_3repE0EEENS1_30default_config_static_selectorELNS0_4arch9wavefront6targetE1EEEvT1_ ; -- Begin function _ZN7rocprim17ROCPRIM_400000_NS6detail17trampoline_kernelINS0_14default_configENS1_35adjacent_difference_config_selectorILb1EsEEZNS1_24adjacent_difference_implIS3_Lb1ELb0EPsN6thrust23THRUST_200600_302600_NS16discard_iteratorINS9_11use_defaultEEENS9_5minusIsEEEE10hipError_tPvRmT2_T3_mT4_P12ihipStream_tbEUlT_E_NS1_11comp_targetILNS1_3genE0ELNS1_11target_archE4294967295ELNS1_3gpuE0ELNS1_3repE0EEENS1_30default_config_static_selectorELNS0_4arch9wavefront6targetE1EEEvT1_
	.globl	_ZN7rocprim17ROCPRIM_400000_NS6detail17trampoline_kernelINS0_14default_configENS1_35adjacent_difference_config_selectorILb1EsEEZNS1_24adjacent_difference_implIS3_Lb1ELb0EPsN6thrust23THRUST_200600_302600_NS16discard_iteratorINS9_11use_defaultEEENS9_5minusIsEEEE10hipError_tPvRmT2_T3_mT4_P12ihipStream_tbEUlT_E_NS1_11comp_targetILNS1_3genE0ELNS1_11target_archE4294967295ELNS1_3gpuE0ELNS1_3repE0EEENS1_30default_config_static_selectorELNS0_4arch9wavefront6targetE1EEEvT1_
	.p2align	8
	.type	_ZN7rocprim17ROCPRIM_400000_NS6detail17trampoline_kernelINS0_14default_configENS1_35adjacent_difference_config_selectorILb1EsEEZNS1_24adjacent_difference_implIS3_Lb1ELb0EPsN6thrust23THRUST_200600_302600_NS16discard_iteratorINS9_11use_defaultEEENS9_5minusIsEEEE10hipError_tPvRmT2_T3_mT4_P12ihipStream_tbEUlT_E_NS1_11comp_targetILNS1_3genE0ELNS1_11target_archE4294967295ELNS1_3gpuE0ELNS1_3repE0EEENS1_30default_config_static_selectorELNS0_4arch9wavefront6targetE1EEEvT1_,@function
_ZN7rocprim17ROCPRIM_400000_NS6detail17trampoline_kernelINS0_14default_configENS1_35adjacent_difference_config_selectorILb1EsEEZNS1_24adjacent_difference_implIS3_Lb1ELb0EPsN6thrust23THRUST_200600_302600_NS16discard_iteratorINS9_11use_defaultEEENS9_5minusIsEEEE10hipError_tPvRmT2_T3_mT4_P12ihipStream_tbEUlT_E_NS1_11comp_targetILNS1_3genE0ELNS1_11target_archE4294967295ELNS1_3gpuE0ELNS1_3repE0EEENS1_30default_config_static_selectorELNS0_4arch9wavefront6targetE1EEEvT1_: ; @_ZN7rocprim17ROCPRIM_400000_NS6detail17trampoline_kernelINS0_14default_configENS1_35adjacent_difference_config_selectorILb1EsEEZNS1_24adjacent_difference_implIS3_Lb1ELb0EPsN6thrust23THRUST_200600_302600_NS16discard_iteratorINS9_11use_defaultEEENS9_5minusIsEEEE10hipError_tPvRmT2_T3_mT4_P12ihipStream_tbEUlT_E_NS1_11comp_targetILNS1_3genE0ELNS1_11target_archE4294967295ELNS1_3gpuE0ELNS1_3repE0EEENS1_30default_config_static_selectorELNS0_4arch9wavefront6targetE1EEEvT1_
; %bb.0:
	.section	.rodata,"a",@progbits
	.p2align	6, 0x0
	.amdhsa_kernel _ZN7rocprim17ROCPRIM_400000_NS6detail17trampoline_kernelINS0_14default_configENS1_35adjacent_difference_config_selectorILb1EsEEZNS1_24adjacent_difference_implIS3_Lb1ELb0EPsN6thrust23THRUST_200600_302600_NS16discard_iteratorINS9_11use_defaultEEENS9_5minusIsEEEE10hipError_tPvRmT2_T3_mT4_P12ihipStream_tbEUlT_E_NS1_11comp_targetILNS1_3genE0ELNS1_11target_archE4294967295ELNS1_3gpuE0ELNS1_3repE0EEENS1_30default_config_static_selectorELNS0_4arch9wavefront6targetE1EEEvT1_
		.amdhsa_group_segment_fixed_size 0
		.amdhsa_private_segment_fixed_size 0
		.amdhsa_kernarg_size 64
		.amdhsa_user_sgpr_count 2
		.amdhsa_user_sgpr_dispatch_ptr 0
		.amdhsa_user_sgpr_queue_ptr 0
		.amdhsa_user_sgpr_kernarg_segment_ptr 1
		.amdhsa_user_sgpr_dispatch_id 0
		.amdhsa_user_sgpr_kernarg_preload_length 0
		.amdhsa_user_sgpr_kernarg_preload_offset 0
		.amdhsa_user_sgpr_private_segment_size 0
		.amdhsa_uses_dynamic_stack 0
		.amdhsa_enable_private_segment 0
		.amdhsa_system_sgpr_workgroup_id_x 1
		.amdhsa_system_sgpr_workgroup_id_y 0
		.amdhsa_system_sgpr_workgroup_id_z 0
		.amdhsa_system_sgpr_workgroup_info 0
		.amdhsa_system_vgpr_workitem_id 0
		.amdhsa_next_free_vgpr 1
		.amdhsa_next_free_sgpr 0
		.amdhsa_accum_offset 4
		.amdhsa_reserve_vcc 0
		.amdhsa_float_round_mode_32 0
		.amdhsa_float_round_mode_16_64 0
		.amdhsa_float_denorm_mode_32 3
		.amdhsa_float_denorm_mode_16_64 3
		.amdhsa_dx10_clamp 1
		.amdhsa_ieee_mode 1
		.amdhsa_fp16_overflow 0
		.amdhsa_tg_split 0
		.amdhsa_exception_fp_ieee_invalid_op 0
		.amdhsa_exception_fp_denorm_src 0
		.amdhsa_exception_fp_ieee_div_zero 0
		.amdhsa_exception_fp_ieee_overflow 0
		.amdhsa_exception_fp_ieee_underflow 0
		.amdhsa_exception_fp_ieee_inexact 0
		.amdhsa_exception_int_div_zero 0
	.end_amdhsa_kernel
	.section	.text._ZN7rocprim17ROCPRIM_400000_NS6detail17trampoline_kernelINS0_14default_configENS1_35adjacent_difference_config_selectorILb1EsEEZNS1_24adjacent_difference_implIS3_Lb1ELb0EPsN6thrust23THRUST_200600_302600_NS16discard_iteratorINS9_11use_defaultEEENS9_5minusIsEEEE10hipError_tPvRmT2_T3_mT4_P12ihipStream_tbEUlT_E_NS1_11comp_targetILNS1_3genE0ELNS1_11target_archE4294967295ELNS1_3gpuE0ELNS1_3repE0EEENS1_30default_config_static_selectorELNS0_4arch9wavefront6targetE1EEEvT1_,"axG",@progbits,_ZN7rocprim17ROCPRIM_400000_NS6detail17trampoline_kernelINS0_14default_configENS1_35adjacent_difference_config_selectorILb1EsEEZNS1_24adjacent_difference_implIS3_Lb1ELb0EPsN6thrust23THRUST_200600_302600_NS16discard_iteratorINS9_11use_defaultEEENS9_5minusIsEEEE10hipError_tPvRmT2_T3_mT4_P12ihipStream_tbEUlT_E_NS1_11comp_targetILNS1_3genE0ELNS1_11target_archE4294967295ELNS1_3gpuE0ELNS1_3repE0EEENS1_30default_config_static_selectorELNS0_4arch9wavefront6targetE1EEEvT1_,comdat
.Lfunc_end709:
	.size	_ZN7rocprim17ROCPRIM_400000_NS6detail17trampoline_kernelINS0_14default_configENS1_35adjacent_difference_config_selectorILb1EsEEZNS1_24adjacent_difference_implIS3_Lb1ELb0EPsN6thrust23THRUST_200600_302600_NS16discard_iteratorINS9_11use_defaultEEENS9_5minusIsEEEE10hipError_tPvRmT2_T3_mT4_P12ihipStream_tbEUlT_E_NS1_11comp_targetILNS1_3genE0ELNS1_11target_archE4294967295ELNS1_3gpuE0ELNS1_3repE0EEENS1_30default_config_static_selectorELNS0_4arch9wavefront6targetE1EEEvT1_, .Lfunc_end709-_ZN7rocprim17ROCPRIM_400000_NS6detail17trampoline_kernelINS0_14default_configENS1_35adjacent_difference_config_selectorILb1EsEEZNS1_24adjacent_difference_implIS3_Lb1ELb0EPsN6thrust23THRUST_200600_302600_NS16discard_iteratorINS9_11use_defaultEEENS9_5minusIsEEEE10hipError_tPvRmT2_T3_mT4_P12ihipStream_tbEUlT_E_NS1_11comp_targetILNS1_3genE0ELNS1_11target_archE4294967295ELNS1_3gpuE0ELNS1_3repE0EEENS1_30default_config_static_selectorELNS0_4arch9wavefront6targetE1EEEvT1_
                                        ; -- End function
	.section	.AMDGPU.csdata,"",@progbits
; Kernel info:
; codeLenInByte = 0
; NumSgprs: 6
; NumVgprs: 0
; NumAgprs: 0
; TotalNumVgprs: 0
; ScratchSize: 0
; MemoryBound: 0
; FloatMode: 240
; IeeeMode: 1
; LDSByteSize: 0 bytes/workgroup (compile time only)
; SGPRBlocks: 0
; VGPRBlocks: 0
; NumSGPRsForWavesPerEU: 6
; NumVGPRsForWavesPerEU: 1
; AccumOffset: 4
; Occupancy: 8
; WaveLimiterHint : 0
; COMPUTE_PGM_RSRC2:SCRATCH_EN: 0
; COMPUTE_PGM_RSRC2:USER_SGPR: 2
; COMPUTE_PGM_RSRC2:TRAP_HANDLER: 0
; COMPUTE_PGM_RSRC2:TGID_X_EN: 1
; COMPUTE_PGM_RSRC2:TGID_Y_EN: 0
; COMPUTE_PGM_RSRC2:TGID_Z_EN: 0
; COMPUTE_PGM_RSRC2:TIDIG_COMP_CNT: 0
; COMPUTE_PGM_RSRC3_GFX90A:ACCUM_OFFSET: 0
; COMPUTE_PGM_RSRC3_GFX90A:TG_SPLIT: 0
	.section	.text._ZN7rocprim17ROCPRIM_400000_NS6detail17trampoline_kernelINS0_14default_configENS1_35adjacent_difference_config_selectorILb1EsEEZNS1_24adjacent_difference_implIS3_Lb1ELb0EPsN6thrust23THRUST_200600_302600_NS16discard_iteratorINS9_11use_defaultEEENS9_5minusIsEEEE10hipError_tPvRmT2_T3_mT4_P12ihipStream_tbEUlT_E_NS1_11comp_targetILNS1_3genE10ELNS1_11target_archE1201ELNS1_3gpuE5ELNS1_3repE0EEENS1_30default_config_static_selectorELNS0_4arch9wavefront6targetE1EEEvT1_,"axG",@progbits,_ZN7rocprim17ROCPRIM_400000_NS6detail17trampoline_kernelINS0_14default_configENS1_35adjacent_difference_config_selectorILb1EsEEZNS1_24adjacent_difference_implIS3_Lb1ELb0EPsN6thrust23THRUST_200600_302600_NS16discard_iteratorINS9_11use_defaultEEENS9_5minusIsEEEE10hipError_tPvRmT2_T3_mT4_P12ihipStream_tbEUlT_E_NS1_11comp_targetILNS1_3genE10ELNS1_11target_archE1201ELNS1_3gpuE5ELNS1_3repE0EEENS1_30default_config_static_selectorELNS0_4arch9wavefront6targetE1EEEvT1_,comdat
	.protected	_ZN7rocprim17ROCPRIM_400000_NS6detail17trampoline_kernelINS0_14default_configENS1_35adjacent_difference_config_selectorILb1EsEEZNS1_24adjacent_difference_implIS3_Lb1ELb0EPsN6thrust23THRUST_200600_302600_NS16discard_iteratorINS9_11use_defaultEEENS9_5minusIsEEEE10hipError_tPvRmT2_T3_mT4_P12ihipStream_tbEUlT_E_NS1_11comp_targetILNS1_3genE10ELNS1_11target_archE1201ELNS1_3gpuE5ELNS1_3repE0EEENS1_30default_config_static_selectorELNS0_4arch9wavefront6targetE1EEEvT1_ ; -- Begin function _ZN7rocprim17ROCPRIM_400000_NS6detail17trampoline_kernelINS0_14default_configENS1_35adjacent_difference_config_selectorILb1EsEEZNS1_24adjacent_difference_implIS3_Lb1ELb0EPsN6thrust23THRUST_200600_302600_NS16discard_iteratorINS9_11use_defaultEEENS9_5minusIsEEEE10hipError_tPvRmT2_T3_mT4_P12ihipStream_tbEUlT_E_NS1_11comp_targetILNS1_3genE10ELNS1_11target_archE1201ELNS1_3gpuE5ELNS1_3repE0EEENS1_30default_config_static_selectorELNS0_4arch9wavefront6targetE1EEEvT1_
	.globl	_ZN7rocprim17ROCPRIM_400000_NS6detail17trampoline_kernelINS0_14default_configENS1_35adjacent_difference_config_selectorILb1EsEEZNS1_24adjacent_difference_implIS3_Lb1ELb0EPsN6thrust23THRUST_200600_302600_NS16discard_iteratorINS9_11use_defaultEEENS9_5minusIsEEEE10hipError_tPvRmT2_T3_mT4_P12ihipStream_tbEUlT_E_NS1_11comp_targetILNS1_3genE10ELNS1_11target_archE1201ELNS1_3gpuE5ELNS1_3repE0EEENS1_30default_config_static_selectorELNS0_4arch9wavefront6targetE1EEEvT1_
	.p2align	8
	.type	_ZN7rocprim17ROCPRIM_400000_NS6detail17trampoline_kernelINS0_14default_configENS1_35adjacent_difference_config_selectorILb1EsEEZNS1_24adjacent_difference_implIS3_Lb1ELb0EPsN6thrust23THRUST_200600_302600_NS16discard_iteratorINS9_11use_defaultEEENS9_5minusIsEEEE10hipError_tPvRmT2_T3_mT4_P12ihipStream_tbEUlT_E_NS1_11comp_targetILNS1_3genE10ELNS1_11target_archE1201ELNS1_3gpuE5ELNS1_3repE0EEENS1_30default_config_static_selectorELNS0_4arch9wavefront6targetE1EEEvT1_,@function
_ZN7rocprim17ROCPRIM_400000_NS6detail17trampoline_kernelINS0_14default_configENS1_35adjacent_difference_config_selectorILb1EsEEZNS1_24adjacent_difference_implIS3_Lb1ELb0EPsN6thrust23THRUST_200600_302600_NS16discard_iteratorINS9_11use_defaultEEENS9_5minusIsEEEE10hipError_tPvRmT2_T3_mT4_P12ihipStream_tbEUlT_E_NS1_11comp_targetILNS1_3genE10ELNS1_11target_archE1201ELNS1_3gpuE5ELNS1_3repE0EEENS1_30default_config_static_selectorELNS0_4arch9wavefront6targetE1EEEvT1_: ; @_ZN7rocprim17ROCPRIM_400000_NS6detail17trampoline_kernelINS0_14default_configENS1_35adjacent_difference_config_selectorILb1EsEEZNS1_24adjacent_difference_implIS3_Lb1ELb0EPsN6thrust23THRUST_200600_302600_NS16discard_iteratorINS9_11use_defaultEEENS9_5minusIsEEEE10hipError_tPvRmT2_T3_mT4_P12ihipStream_tbEUlT_E_NS1_11comp_targetILNS1_3genE10ELNS1_11target_archE1201ELNS1_3gpuE5ELNS1_3repE0EEENS1_30default_config_static_selectorELNS0_4arch9wavefront6targetE1EEEvT1_
; %bb.0:
	.section	.rodata,"a",@progbits
	.p2align	6, 0x0
	.amdhsa_kernel _ZN7rocprim17ROCPRIM_400000_NS6detail17trampoline_kernelINS0_14default_configENS1_35adjacent_difference_config_selectorILb1EsEEZNS1_24adjacent_difference_implIS3_Lb1ELb0EPsN6thrust23THRUST_200600_302600_NS16discard_iteratorINS9_11use_defaultEEENS9_5minusIsEEEE10hipError_tPvRmT2_T3_mT4_P12ihipStream_tbEUlT_E_NS1_11comp_targetILNS1_3genE10ELNS1_11target_archE1201ELNS1_3gpuE5ELNS1_3repE0EEENS1_30default_config_static_selectorELNS0_4arch9wavefront6targetE1EEEvT1_
		.amdhsa_group_segment_fixed_size 0
		.amdhsa_private_segment_fixed_size 0
		.amdhsa_kernarg_size 64
		.amdhsa_user_sgpr_count 2
		.amdhsa_user_sgpr_dispatch_ptr 0
		.amdhsa_user_sgpr_queue_ptr 0
		.amdhsa_user_sgpr_kernarg_segment_ptr 1
		.amdhsa_user_sgpr_dispatch_id 0
		.amdhsa_user_sgpr_kernarg_preload_length 0
		.amdhsa_user_sgpr_kernarg_preload_offset 0
		.amdhsa_user_sgpr_private_segment_size 0
		.amdhsa_uses_dynamic_stack 0
		.amdhsa_enable_private_segment 0
		.amdhsa_system_sgpr_workgroup_id_x 1
		.amdhsa_system_sgpr_workgroup_id_y 0
		.amdhsa_system_sgpr_workgroup_id_z 0
		.amdhsa_system_sgpr_workgroup_info 0
		.amdhsa_system_vgpr_workitem_id 0
		.amdhsa_next_free_vgpr 1
		.amdhsa_next_free_sgpr 0
		.amdhsa_accum_offset 4
		.amdhsa_reserve_vcc 0
		.amdhsa_float_round_mode_32 0
		.amdhsa_float_round_mode_16_64 0
		.amdhsa_float_denorm_mode_32 3
		.amdhsa_float_denorm_mode_16_64 3
		.amdhsa_dx10_clamp 1
		.amdhsa_ieee_mode 1
		.amdhsa_fp16_overflow 0
		.amdhsa_tg_split 0
		.amdhsa_exception_fp_ieee_invalid_op 0
		.amdhsa_exception_fp_denorm_src 0
		.amdhsa_exception_fp_ieee_div_zero 0
		.amdhsa_exception_fp_ieee_overflow 0
		.amdhsa_exception_fp_ieee_underflow 0
		.amdhsa_exception_fp_ieee_inexact 0
		.amdhsa_exception_int_div_zero 0
	.end_amdhsa_kernel
	.section	.text._ZN7rocprim17ROCPRIM_400000_NS6detail17trampoline_kernelINS0_14default_configENS1_35adjacent_difference_config_selectorILb1EsEEZNS1_24adjacent_difference_implIS3_Lb1ELb0EPsN6thrust23THRUST_200600_302600_NS16discard_iteratorINS9_11use_defaultEEENS9_5minusIsEEEE10hipError_tPvRmT2_T3_mT4_P12ihipStream_tbEUlT_E_NS1_11comp_targetILNS1_3genE10ELNS1_11target_archE1201ELNS1_3gpuE5ELNS1_3repE0EEENS1_30default_config_static_selectorELNS0_4arch9wavefront6targetE1EEEvT1_,"axG",@progbits,_ZN7rocprim17ROCPRIM_400000_NS6detail17trampoline_kernelINS0_14default_configENS1_35adjacent_difference_config_selectorILb1EsEEZNS1_24adjacent_difference_implIS3_Lb1ELb0EPsN6thrust23THRUST_200600_302600_NS16discard_iteratorINS9_11use_defaultEEENS9_5minusIsEEEE10hipError_tPvRmT2_T3_mT4_P12ihipStream_tbEUlT_E_NS1_11comp_targetILNS1_3genE10ELNS1_11target_archE1201ELNS1_3gpuE5ELNS1_3repE0EEENS1_30default_config_static_selectorELNS0_4arch9wavefront6targetE1EEEvT1_,comdat
.Lfunc_end710:
	.size	_ZN7rocprim17ROCPRIM_400000_NS6detail17trampoline_kernelINS0_14default_configENS1_35adjacent_difference_config_selectorILb1EsEEZNS1_24adjacent_difference_implIS3_Lb1ELb0EPsN6thrust23THRUST_200600_302600_NS16discard_iteratorINS9_11use_defaultEEENS9_5minusIsEEEE10hipError_tPvRmT2_T3_mT4_P12ihipStream_tbEUlT_E_NS1_11comp_targetILNS1_3genE10ELNS1_11target_archE1201ELNS1_3gpuE5ELNS1_3repE0EEENS1_30default_config_static_selectorELNS0_4arch9wavefront6targetE1EEEvT1_, .Lfunc_end710-_ZN7rocprim17ROCPRIM_400000_NS6detail17trampoline_kernelINS0_14default_configENS1_35adjacent_difference_config_selectorILb1EsEEZNS1_24adjacent_difference_implIS3_Lb1ELb0EPsN6thrust23THRUST_200600_302600_NS16discard_iteratorINS9_11use_defaultEEENS9_5minusIsEEEE10hipError_tPvRmT2_T3_mT4_P12ihipStream_tbEUlT_E_NS1_11comp_targetILNS1_3genE10ELNS1_11target_archE1201ELNS1_3gpuE5ELNS1_3repE0EEENS1_30default_config_static_selectorELNS0_4arch9wavefront6targetE1EEEvT1_
                                        ; -- End function
	.section	.AMDGPU.csdata,"",@progbits
; Kernel info:
; codeLenInByte = 0
; NumSgprs: 6
; NumVgprs: 0
; NumAgprs: 0
; TotalNumVgprs: 0
; ScratchSize: 0
; MemoryBound: 0
; FloatMode: 240
; IeeeMode: 1
; LDSByteSize: 0 bytes/workgroup (compile time only)
; SGPRBlocks: 0
; VGPRBlocks: 0
; NumSGPRsForWavesPerEU: 6
; NumVGPRsForWavesPerEU: 1
; AccumOffset: 4
; Occupancy: 8
; WaveLimiterHint : 0
; COMPUTE_PGM_RSRC2:SCRATCH_EN: 0
; COMPUTE_PGM_RSRC2:USER_SGPR: 2
; COMPUTE_PGM_RSRC2:TRAP_HANDLER: 0
; COMPUTE_PGM_RSRC2:TGID_X_EN: 1
; COMPUTE_PGM_RSRC2:TGID_Y_EN: 0
; COMPUTE_PGM_RSRC2:TGID_Z_EN: 0
; COMPUTE_PGM_RSRC2:TIDIG_COMP_CNT: 0
; COMPUTE_PGM_RSRC3_GFX90A:ACCUM_OFFSET: 0
; COMPUTE_PGM_RSRC3_GFX90A:TG_SPLIT: 0
	.section	.text._ZN7rocprim17ROCPRIM_400000_NS6detail17trampoline_kernelINS0_14default_configENS1_35adjacent_difference_config_selectorILb1EsEEZNS1_24adjacent_difference_implIS3_Lb1ELb0EPsN6thrust23THRUST_200600_302600_NS16discard_iteratorINS9_11use_defaultEEENS9_5minusIsEEEE10hipError_tPvRmT2_T3_mT4_P12ihipStream_tbEUlT_E_NS1_11comp_targetILNS1_3genE5ELNS1_11target_archE942ELNS1_3gpuE9ELNS1_3repE0EEENS1_30default_config_static_selectorELNS0_4arch9wavefront6targetE1EEEvT1_,"axG",@progbits,_ZN7rocprim17ROCPRIM_400000_NS6detail17trampoline_kernelINS0_14default_configENS1_35adjacent_difference_config_selectorILb1EsEEZNS1_24adjacent_difference_implIS3_Lb1ELb0EPsN6thrust23THRUST_200600_302600_NS16discard_iteratorINS9_11use_defaultEEENS9_5minusIsEEEE10hipError_tPvRmT2_T3_mT4_P12ihipStream_tbEUlT_E_NS1_11comp_targetILNS1_3genE5ELNS1_11target_archE942ELNS1_3gpuE9ELNS1_3repE0EEENS1_30default_config_static_selectorELNS0_4arch9wavefront6targetE1EEEvT1_,comdat
	.protected	_ZN7rocprim17ROCPRIM_400000_NS6detail17trampoline_kernelINS0_14default_configENS1_35adjacent_difference_config_selectorILb1EsEEZNS1_24adjacent_difference_implIS3_Lb1ELb0EPsN6thrust23THRUST_200600_302600_NS16discard_iteratorINS9_11use_defaultEEENS9_5minusIsEEEE10hipError_tPvRmT2_T3_mT4_P12ihipStream_tbEUlT_E_NS1_11comp_targetILNS1_3genE5ELNS1_11target_archE942ELNS1_3gpuE9ELNS1_3repE0EEENS1_30default_config_static_selectorELNS0_4arch9wavefront6targetE1EEEvT1_ ; -- Begin function _ZN7rocprim17ROCPRIM_400000_NS6detail17trampoline_kernelINS0_14default_configENS1_35adjacent_difference_config_selectorILb1EsEEZNS1_24adjacent_difference_implIS3_Lb1ELb0EPsN6thrust23THRUST_200600_302600_NS16discard_iteratorINS9_11use_defaultEEENS9_5minusIsEEEE10hipError_tPvRmT2_T3_mT4_P12ihipStream_tbEUlT_E_NS1_11comp_targetILNS1_3genE5ELNS1_11target_archE942ELNS1_3gpuE9ELNS1_3repE0EEENS1_30default_config_static_selectorELNS0_4arch9wavefront6targetE1EEEvT1_
	.globl	_ZN7rocprim17ROCPRIM_400000_NS6detail17trampoline_kernelINS0_14default_configENS1_35adjacent_difference_config_selectorILb1EsEEZNS1_24adjacent_difference_implIS3_Lb1ELb0EPsN6thrust23THRUST_200600_302600_NS16discard_iteratorINS9_11use_defaultEEENS9_5minusIsEEEE10hipError_tPvRmT2_T3_mT4_P12ihipStream_tbEUlT_E_NS1_11comp_targetILNS1_3genE5ELNS1_11target_archE942ELNS1_3gpuE9ELNS1_3repE0EEENS1_30default_config_static_selectorELNS0_4arch9wavefront6targetE1EEEvT1_
	.p2align	8
	.type	_ZN7rocprim17ROCPRIM_400000_NS6detail17trampoline_kernelINS0_14default_configENS1_35adjacent_difference_config_selectorILb1EsEEZNS1_24adjacent_difference_implIS3_Lb1ELb0EPsN6thrust23THRUST_200600_302600_NS16discard_iteratorINS9_11use_defaultEEENS9_5minusIsEEEE10hipError_tPvRmT2_T3_mT4_P12ihipStream_tbEUlT_E_NS1_11comp_targetILNS1_3genE5ELNS1_11target_archE942ELNS1_3gpuE9ELNS1_3repE0EEENS1_30default_config_static_selectorELNS0_4arch9wavefront6targetE1EEEvT1_,@function
_ZN7rocprim17ROCPRIM_400000_NS6detail17trampoline_kernelINS0_14default_configENS1_35adjacent_difference_config_selectorILb1EsEEZNS1_24adjacent_difference_implIS3_Lb1ELb0EPsN6thrust23THRUST_200600_302600_NS16discard_iteratorINS9_11use_defaultEEENS9_5minusIsEEEE10hipError_tPvRmT2_T3_mT4_P12ihipStream_tbEUlT_E_NS1_11comp_targetILNS1_3genE5ELNS1_11target_archE942ELNS1_3gpuE9ELNS1_3repE0EEENS1_30default_config_static_selectorELNS0_4arch9wavefront6targetE1EEEvT1_: ; @_ZN7rocprim17ROCPRIM_400000_NS6detail17trampoline_kernelINS0_14default_configENS1_35adjacent_difference_config_selectorILb1EsEEZNS1_24adjacent_difference_implIS3_Lb1ELb0EPsN6thrust23THRUST_200600_302600_NS16discard_iteratorINS9_11use_defaultEEENS9_5minusIsEEEE10hipError_tPvRmT2_T3_mT4_P12ihipStream_tbEUlT_E_NS1_11comp_targetILNS1_3genE5ELNS1_11target_archE942ELNS1_3gpuE9ELNS1_3repE0EEENS1_30default_config_static_selectorELNS0_4arch9wavefront6targetE1EEEvT1_
; %bb.0:
	s_load_dwordx4 s[8:11], s[0:1], 0x0
	s_load_dwordx2 s[14:15], s[0:1], 0x20
	s_load_dwordx4 s[4:7], s[0:1], 0x30
	v_bfrev_b32_e32 v1, 1
	s_mov_b32 s3, 0
	s_waitcnt lgkmcnt(0)
	s_lshl_b64 s[0:1], s[10:11], 1
	s_add_u32 s18, s8, s0
	s_addc_u32 s19, s9, s1
	s_mov_b32 s1, 0x90841c60
	s_add_u32 s1, 0x230, s1
	s_addc_u32 s8, 0, 0
	v_add_co_u32_e32 v1, vcc, s1, v1
	s_cmp_lg_u64 vcc, 0
	v_readfirstlane_b32 s9, v1
	s_addc_u32 s1, s8, 0x210841
	s_mul_hi_u32 s12, s9, 0xfffff840
	s_mul_i32 s8, s1, 0xfffff840
	s_sub_i32 s12, s12, s9
	s_add_i32 s12, s12, s8
	s_mul_i32 s16, s9, 0xfffff840
	s_mul_hi_u32 s8, s9, s12
	s_mul_i32 s13, s9, s12
	s_mul_hi_u32 s9, s9, s16
	s_add_u32 s9, s9, s13
	s_addc_u32 s8, 0, s8
	s_mul_hi_u32 s17, s1, s16
	s_mul_i32 s16, s1, s16
	s_add_u32 s9, s9, s16
	s_mul_hi_u32 s13, s1, s12
	s_addc_u32 s8, s8, s17
	s_addc_u32 s9, s13, 0
	s_mul_i32 s12, s1, s12
	s_add_u32 s8, s8, s12
	s_addc_u32 s9, 0, s9
	v_add_co_u32_e32 v1, vcc, s8, v1
	s_cmp_lg_u64 vcc, 0
	s_addc_u32 s1, s1, s9
	v_readfirstlane_b32 s12, v1
	s_mul_i32 s9, s14, s1
	s_mul_hi_u32 s13, s14, s12
	s_mul_hi_u32 s8, s14, s1
	s_add_u32 s9, s13, s9
	s_addc_u32 s8, 0, s8
	s_mul_hi_u32 s16, s15, s12
	s_mul_i32 s12, s15, s12
	s_add_u32 s9, s9, s12
	s_mul_hi_u32 s13, s15, s1
	s_addc_u32 s8, s8, s16
	s_addc_u32 s9, s13, 0
	s_mul_i32 s1, s15, s1
	s_add_u32 s8, s8, s1
	s_addc_u32 s1, 0, s9
	s_add_u32 s9, s8, 1
	s_addc_u32 s12, s1, 0
	s_add_u32 s13, s8, 2
	s_mul_i32 s17, s1, 0x7c0
	s_mul_hi_u32 s20, s8, 0x7c0
	s_addc_u32 s16, s1, 0
	s_add_i32 s20, s20, s17
	s_mul_i32 s17, s8, 0x7c0
	v_mov_b32_e32 v1, s17
	v_sub_co_u32_e32 v1, vcc, s14, v1
	s_movk_i32 s0, 0x7c0
	s_cmp_lg_u64 vcc, 0
	s_subb_u32 s17, s15, s20
	v_subrev_co_u32_e32 v2, vcc, s0, v1
	s_cmp_lg_u64 vcc, 0
	s_subb_u32 s0, s17, 0
	v_readfirstlane_b32 s20, v2
	s_cmpk_gt_u32 s20, 0x7bf
	s_cselect_b32 s20, -1, 0
	s_cmp_eq_u32 s0, 0
	s_cselect_b32 s0, s20, -1
	s_cmp_lg_u32 s0, 0
	s_cselect_b32 s0, s13, s9
	s_cselect_b32 s9, s16, s12
	v_readfirstlane_b32 s12, v1
	s_cmpk_gt_u32 s12, 0x7bf
	s_cselect_b32 s12, -1, 0
	s_cmp_eq_u32 s17, 0
	s_cselect_b32 s12, s12, -1
	s_cmp_lg_u32 s12, 0
	s_cselect_b32 s1, s9, s1
	s_cselect_b32 s0, s0, s8
	s_mul_i32 s8, s1, 0x7c0
	s_mul_hi_u32 s9, s0, 0x7c0
	s_add_i32 s9, s9, s8
	s_mul_i32 s8, s0, 0x7c0
	s_sub_u32 s8, s14, s8
	s_subb_u32 s9, s15, s9
	s_cmp_lg_u64 s[8:9], 0
	s_cselect_b64 s[8:9], -1, 0
	v_cndmask_b32_e64 v2, 0, 1, s[8:9]
	v_mov_b32_e32 v3, s3
	v_lshl_add_u64 v[14:15], s[0:1], 0, v[2:3]
	s_add_u32 s8, s6, s2
	s_addc_u32 s9, s7, 0
	v_lshl_add_u64 v[22:23], v[14:15], 0, -1
	v_cmp_ge_u64_e64 s[0:1], s[8:9], v[22:23]
	s_mul_i32 s10, s2, 0x7c0
	s_movk_i32 s11, 0xf840
	s_mov_b64 s[12:13], -1
	s_and_b64 vcc, exec, s[0:1]
	s_cbranch_vccz .LBB711_64
; %bb.1:
	v_mul_lo_u32 v1, v22, s11
	s_mov_b32 s11, s3
	s_lshl_b64 s[12:13], s[10:11], 1
	v_add_u32_e32 v2, s14, v1
	s_add_u32 s12, s18, s12
	s_addc_u32 s13, s19, s13
	v_cmp_lt_u32_e32 vcc, v0, v2
                                        ; implicit-def: $vgpr1
	s_and_saveexec_b64 s[16:17], vcc
	s_cbranch_execz .LBB711_3
; %bb.2:
	v_lshlrev_b32_e32 v1, 1, v0
	global_load_ushort v1, v1, s[12:13]
.LBB711_3:
	s_or_b64 exec, exec, s[16:17]
	v_or_b32_e32 v3, 64, v0
	v_cmp_lt_u32_e32 vcc, v3, v2
                                        ; implicit-def: $vgpr3
	s_and_saveexec_b64 s[16:17], vcc
	s_cbranch_execz .LBB711_5
; %bb.4:
	v_lshlrev_b32_e32 v3, 1, v0
	global_load_ushort v3, v3, s[12:13] offset:128
.LBB711_5:
	s_or_b64 exec, exec, s[16:17]
	v_or_b32_e32 v4, 0x80, v0
	v_cmp_lt_u32_e32 vcc, v4, v2
                                        ; implicit-def: $vgpr4
	s_and_saveexec_b64 s[16:17], vcc
	s_cbranch_execz .LBB711_7
; %bb.6:
	v_lshlrev_b32_e32 v4, 1, v0
	global_load_ushort v4, v4, s[12:13] offset:256
.LBB711_7:
	s_or_b64 exec, exec, s[16:17]
	v_or_b32_e32 v5, 0xc0, v0
	v_cmp_lt_u32_e32 vcc, v5, v2
                                        ; implicit-def: $vgpr5
	s_and_saveexec_b64 s[16:17], vcc
	s_cbranch_execz .LBB711_9
; %bb.8:
	v_lshlrev_b32_e32 v5, 1, v0
	global_load_ushort v5, v5, s[12:13] offset:384
.LBB711_9:
	s_or_b64 exec, exec, s[16:17]
	v_or_b32_e32 v6, 0x100, v0
	v_cmp_lt_u32_e32 vcc, v6, v2
                                        ; implicit-def: $vgpr6
	s_and_saveexec_b64 s[16:17], vcc
	s_cbranch_execz .LBB711_11
; %bb.10:
	v_lshlrev_b32_e32 v6, 1, v0
	global_load_ushort v6, v6, s[12:13] offset:512
.LBB711_11:
	s_or_b64 exec, exec, s[16:17]
	v_or_b32_e32 v7, 0x140, v0
	v_cmp_lt_u32_e32 vcc, v7, v2
                                        ; implicit-def: $vgpr7
	s_and_saveexec_b64 s[16:17], vcc
	s_cbranch_execz .LBB711_13
; %bb.12:
	v_lshlrev_b32_e32 v7, 1, v0
	global_load_ushort v7, v7, s[12:13] offset:640
.LBB711_13:
	s_or_b64 exec, exec, s[16:17]
	v_or_b32_e32 v8, 0x180, v0
	v_cmp_lt_u32_e32 vcc, v8, v2
                                        ; implicit-def: $vgpr8
	s_and_saveexec_b64 s[16:17], vcc
	s_cbranch_execz .LBB711_15
; %bb.14:
	v_lshlrev_b32_e32 v8, 1, v0
	global_load_ushort v8, v8, s[12:13] offset:768
.LBB711_15:
	s_or_b64 exec, exec, s[16:17]
	v_or_b32_e32 v9, 0x1c0, v0
	v_cmp_lt_u32_e32 vcc, v9, v2
                                        ; implicit-def: $vgpr9
	s_and_saveexec_b64 s[16:17], vcc
	s_cbranch_execz .LBB711_17
; %bb.16:
	v_lshlrev_b32_e32 v9, 1, v0
	global_load_ushort v9, v9, s[12:13] offset:896
.LBB711_17:
	s_or_b64 exec, exec, s[16:17]
	v_or_b32_e32 v10, 0x200, v0
	v_cmp_lt_u32_e32 vcc, v10, v2
                                        ; implicit-def: $vgpr10
	s_and_saveexec_b64 s[16:17], vcc
	s_cbranch_execz .LBB711_19
; %bb.18:
	v_lshlrev_b32_e32 v10, 1, v0
	global_load_ushort v10, v10, s[12:13] offset:1024
.LBB711_19:
	s_or_b64 exec, exec, s[16:17]
	v_or_b32_e32 v11, 0x240, v0
	v_cmp_lt_u32_e32 vcc, v11, v2
                                        ; implicit-def: $vgpr11
	s_and_saveexec_b64 s[16:17], vcc
	s_cbranch_execz .LBB711_21
; %bb.20:
	v_lshlrev_b32_e32 v11, 1, v0
	global_load_ushort v11, v11, s[12:13] offset:1152
.LBB711_21:
	s_or_b64 exec, exec, s[16:17]
	v_or_b32_e32 v12, 0x280, v0
	v_cmp_lt_u32_e32 vcc, v12, v2
                                        ; implicit-def: $vgpr12
	s_and_saveexec_b64 s[16:17], vcc
	s_cbranch_execz .LBB711_23
; %bb.22:
	v_lshlrev_b32_e32 v12, 1, v0
	global_load_ushort v12, v12, s[12:13] offset:1280
.LBB711_23:
	s_or_b64 exec, exec, s[16:17]
	v_or_b32_e32 v13, 0x2c0, v0
	v_cmp_lt_u32_e32 vcc, v13, v2
                                        ; implicit-def: $vgpr13
	s_and_saveexec_b64 s[16:17], vcc
	s_cbranch_execz .LBB711_25
; %bb.24:
	v_lshlrev_b32_e32 v13, 1, v0
	global_load_ushort v13, v13, s[12:13] offset:1408
.LBB711_25:
	s_or_b64 exec, exec, s[16:17]
	v_or_b32_e32 v16, 0x300, v0
	v_cmp_lt_u32_e32 vcc, v16, v2
                                        ; implicit-def: $vgpr16
	s_and_saveexec_b64 s[16:17], vcc
	s_cbranch_execz .LBB711_27
; %bb.26:
	v_lshlrev_b32_e32 v16, 1, v0
	global_load_ushort v16, v16, s[12:13] offset:1536
.LBB711_27:
	s_or_b64 exec, exec, s[16:17]
	v_or_b32_e32 v17, 0x340, v0
	v_cmp_lt_u32_e32 vcc, v17, v2
                                        ; implicit-def: $vgpr17
	s_and_saveexec_b64 s[16:17], vcc
	s_cbranch_execz .LBB711_29
; %bb.28:
	v_lshlrev_b32_e32 v17, 1, v0
	global_load_ushort v17, v17, s[12:13] offset:1664
.LBB711_29:
	s_or_b64 exec, exec, s[16:17]
	v_or_b32_e32 v18, 0x380, v0
	v_cmp_lt_u32_e32 vcc, v18, v2
                                        ; implicit-def: $vgpr18
	s_and_saveexec_b64 s[16:17], vcc
	s_cbranch_execz .LBB711_31
; %bb.30:
	v_lshlrev_b32_e32 v18, 1, v0
	global_load_ushort v18, v18, s[12:13] offset:1792
.LBB711_31:
	s_or_b64 exec, exec, s[16:17]
	v_or_b32_e32 v19, 0x3c0, v0
	v_cmp_lt_u32_e32 vcc, v19, v2
                                        ; implicit-def: $vgpr19
	s_and_saveexec_b64 s[16:17], vcc
	s_cbranch_execz .LBB711_33
; %bb.32:
	v_lshlrev_b32_e32 v19, 1, v0
	global_load_ushort v19, v19, s[12:13] offset:1920
.LBB711_33:
	s_or_b64 exec, exec, s[16:17]
	v_or_b32_e32 v20, 0x400, v0
	v_cmp_lt_u32_e32 vcc, v20, v2
                                        ; implicit-def: $vgpr20
	s_and_saveexec_b64 s[16:17], vcc
	s_cbranch_execz .LBB711_35
; %bb.34:
	v_lshlrev_b32_e32 v20, 1, v0
	global_load_ushort v20, v20, s[12:13] offset:2048
.LBB711_35:
	s_or_b64 exec, exec, s[16:17]
	v_or_b32_e32 v21, 0x440, v0
	v_cmp_lt_u32_e32 vcc, v21, v2
                                        ; implicit-def: $vgpr21
	s_and_saveexec_b64 s[16:17], vcc
	s_cbranch_execz .LBB711_37
; %bb.36:
	v_lshlrev_b32_e32 v21, 1, v0
	global_load_ushort v21, v21, s[12:13] offset:2176
.LBB711_37:
	s_or_b64 exec, exec, s[16:17]
	v_or_b32_e32 v24, 0x480, v0
	v_cmp_lt_u32_e32 vcc, v24, v2
                                        ; implicit-def: $vgpr24
	s_and_saveexec_b64 s[16:17], vcc
	s_cbranch_execz .LBB711_39
; %bb.38:
	v_lshlrev_b32_e32 v24, 1, v0
	global_load_ushort v24, v24, s[12:13] offset:2304
.LBB711_39:
	s_or_b64 exec, exec, s[16:17]
	v_or_b32_e32 v25, 0x4c0, v0
	v_cmp_lt_u32_e32 vcc, v25, v2
                                        ; implicit-def: $vgpr25
	s_and_saveexec_b64 s[16:17], vcc
	s_cbranch_execz .LBB711_41
; %bb.40:
	v_lshlrev_b32_e32 v25, 1, v0
	global_load_ushort v25, v25, s[12:13] offset:2432
.LBB711_41:
	s_or_b64 exec, exec, s[16:17]
	v_or_b32_e32 v26, 0x500, v0
	v_cmp_lt_u32_e32 vcc, v26, v2
                                        ; implicit-def: $vgpr26
	s_and_saveexec_b64 s[16:17], vcc
	s_cbranch_execz .LBB711_43
; %bb.42:
	v_lshlrev_b32_e32 v26, 1, v0
	global_load_ushort v26, v26, s[12:13] offset:2560
.LBB711_43:
	s_or_b64 exec, exec, s[16:17]
	v_or_b32_e32 v27, 0x540, v0
	v_cmp_lt_u32_e32 vcc, v27, v2
                                        ; implicit-def: $vgpr27
	s_and_saveexec_b64 s[16:17], vcc
	s_cbranch_execz .LBB711_45
; %bb.44:
	v_lshlrev_b32_e32 v27, 1, v0
	global_load_ushort v27, v27, s[12:13] offset:2688
.LBB711_45:
	s_or_b64 exec, exec, s[16:17]
	v_or_b32_e32 v28, 0x580, v0
	v_cmp_lt_u32_e32 vcc, v28, v2
                                        ; implicit-def: $vgpr28
	s_and_saveexec_b64 s[16:17], vcc
	s_cbranch_execz .LBB711_47
; %bb.46:
	v_lshlrev_b32_e32 v28, 1, v0
	global_load_ushort v28, v28, s[12:13] offset:2816
.LBB711_47:
	s_or_b64 exec, exec, s[16:17]
	v_or_b32_e32 v29, 0x5c0, v0
	v_cmp_lt_u32_e32 vcc, v29, v2
                                        ; implicit-def: $vgpr29
	s_and_saveexec_b64 s[16:17], vcc
	s_cbranch_execz .LBB711_49
; %bb.48:
	v_lshlrev_b32_e32 v29, 1, v0
	global_load_ushort v29, v29, s[12:13] offset:2944
.LBB711_49:
	s_or_b64 exec, exec, s[16:17]
	v_or_b32_e32 v30, 0x600, v0
	v_cmp_lt_u32_e32 vcc, v30, v2
                                        ; implicit-def: $vgpr30
	s_and_saveexec_b64 s[16:17], vcc
	s_cbranch_execz .LBB711_51
; %bb.50:
	v_lshlrev_b32_e32 v30, 1, v0
	global_load_ushort v30, v30, s[12:13] offset:3072
.LBB711_51:
	s_or_b64 exec, exec, s[16:17]
	v_or_b32_e32 v31, 0x640, v0
	v_cmp_lt_u32_e32 vcc, v31, v2
                                        ; implicit-def: $vgpr31
	s_and_saveexec_b64 s[16:17], vcc
	s_cbranch_execz .LBB711_53
; %bb.52:
	v_lshlrev_b32_e32 v31, 1, v0
	global_load_ushort v31, v31, s[12:13] offset:3200
.LBB711_53:
	s_or_b64 exec, exec, s[16:17]
	v_or_b32_e32 v32, 0x680, v0
	v_cmp_lt_u32_e32 vcc, v32, v2
                                        ; implicit-def: $vgpr32
	s_and_saveexec_b64 s[16:17], vcc
	s_cbranch_execz .LBB711_55
; %bb.54:
	v_lshlrev_b32_e32 v32, 1, v0
	global_load_ushort v32, v32, s[12:13] offset:3328
.LBB711_55:
	s_or_b64 exec, exec, s[16:17]
	v_or_b32_e32 v33, 0x6c0, v0
	v_cmp_lt_u32_e32 vcc, v33, v2
                                        ; implicit-def: $vgpr33
	s_and_saveexec_b64 s[16:17], vcc
	s_cbranch_execz .LBB711_57
; %bb.56:
	v_lshlrev_b32_e32 v33, 1, v0
	global_load_ushort v33, v33, s[12:13] offset:3456
.LBB711_57:
	s_or_b64 exec, exec, s[16:17]
	v_or_b32_e32 v34, 0x700, v0
	v_cmp_lt_u32_e32 vcc, v34, v2
                                        ; implicit-def: $vgpr34
	s_and_saveexec_b64 s[16:17], vcc
	s_cbranch_execz .LBB711_59
; %bb.58:
	v_lshlrev_b32_e32 v34, 1, v0
	global_load_ushort v34, v34, s[12:13] offset:3584
.LBB711_59:
	s_or_b64 exec, exec, s[16:17]
	v_or_b32_e32 v35, 0x740, v0
	v_cmp_lt_u32_e32 vcc, v35, v2
                                        ; implicit-def: $vgpr35
	s_and_saveexec_b64 s[16:17], vcc
	s_cbranch_execz .LBB711_61
; %bb.60:
	v_lshlrev_b32_e32 v35, 1, v0
	global_load_ushort v35, v35, s[12:13] offset:3712
.LBB711_61:
	s_or_b64 exec, exec, s[16:17]
	v_or_b32_e32 v36, 0x780, v0
	v_cmp_lt_u32_e32 vcc, v36, v2
                                        ; implicit-def: $vgpr2
	s_and_saveexec_b64 s[16:17], vcc
	s_cbranch_execz .LBB711_63
; %bb.62:
	v_lshlrev_b32_e32 v2, 1, v0
	global_load_ushort v2, v2, s[12:13] offset:3840
.LBB711_63:
	s_or_b64 exec, exec, s[16:17]
	v_lshlrev_b32_e32 v36, 1, v0
	s_mov_b64 s[12:13], 0
	s_waitcnt vmcnt(0)
	ds_write_b16 v36, v1
	ds_write_b16 v36, v3 offset:128
	ds_write_b16 v36, v4 offset:256
	;; [unrolled: 1-line block ×30, first 2 shown]
	s_waitcnt lgkmcnt(0)
	; wave barrier
.LBB711_64:
	s_and_b64 vcc, exec, s[12:13]
	v_lshlrev_b32_e32 v24, 1, v0
	s_cbranch_vccz .LBB711_66
; %bb.65:
	s_mov_b32 s11, 0
	s_lshl_b64 s[10:11], s[10:11], 1
	s_add_u32 s10, s18, s10
	s_addc_u32 s11, s19, s11
	global_load_ushort v1, v24, s[10:11]
	global_load_ushort v2, v24, s[10:11] offset:128
	global_load_ushort v3, v24, s[10:11] offset:256
	;; [unrolled: 1-line block ×30, first 2 shown]
	s_waitcnt vmcnt(30)
	ds_write_b16 v24, v1
	s_waitcnt vmcnt(29)
	ds_write_b16 v24, v2 offset:128
	s_waitcnt vmcnt(28)
	ds_write_b16 v24, v3 offset:256
	;; [unrolled: 2-line block ×30, first 2 shown]
	s_waitcnt lgkmcnt(0)
	; wave barrier
.LBB711_66:
	v_mul_u32_u24_e32 v1, 31, v0
	v_lshlrev_b32_e32 v1, 1, v1
	s_waitcnt lgkmcnt(0)
	ds_read_b96 v[10:12], v1
	ds_read_b64 v[20:21], v1 offset:12
	ds_read_b96 v[6:8], v1 offset:20
	ds_read_b64 v[18:19], v1 offset:32
	ds_read_b96 v[2:4], v1 offset:40
	ds_read_b64 v[16:17], v1 offset:52
	ds_read_u16 v1, v1 offset:60
	s_waitcnt lgkmcnt(6)
	v_alignbit_b32 v13, v12, v11, 16
	v_alignbit_b32 v11, v11, v10, 16
	v_lshrrev_b32_e32 v12, 16, v12
	s_waitcnt lgkmcnt(4)
	v_alignbit_b32 v9, v8, v7, 16
	v_alignbit_b32 v7, v7, v6, 16
	v_lshrrev_b32_e32 v8, 16, v8
	;; [unrolled: 4-line block ×3, first 2 shown]
	s_cmp_eq_u64 s[8:9], 0
	s_waitcnt lgkmcnt(0)
	; wave barrier
	s_waitcnt lgkmcnt(0)
	s_cbranch_scc1 .LBB711_71
; %bb.67:
	s_lshl_b64 s[6:7], s[6:7], 1
	s_add_u32 s4, s4, s6
	s_addc_u32 s5, s5, s7
	s_lshl_b64 s[2:3], s[2:3], 1
	s_add_u32 s2, s4, s2
	s_addc_u32 s3, s5, s3
	v_mov_b32_e32 v25, 0
	global_load_ushort v42, v25, s[2:3] offset:-2
	v_cmp_eq_u64_e32 vcc, s[8:9], v[22:23]
	s_cbranch_vccnz .LBB711_72
; %bb.68:
	v_cmp_ne_u32_e32 vcc, 0, v0
	s_waitcnt vmcnt(0)
	v_mov_b32_e32 v22, v42
	ds_write_b16 v24, v1
	s_waitcnt lgkmcnt(0)
	; wave barrier
	s_waitcnt lgkmcnt(0)
	s_and_saveexec_b64 s[2:3], vcc
	s_cbranch_execz .LBB711_70
; %bb.69:
	v_add_u32_e32 v22, -2, v24
	ds_read_u16 v22, v22
.LBB711_70:
	s_or_b64 exec, exec, s[2:3]
	s_mov_b32 s2, 0x5040100
	s_waitcnt lgkmcnt(0)
	v_sub_u16_e32 v28, v10, v22
	v_perm_b32 v30, v11, v10, s2
	v_alignbit_b32 v31, v13, v11, 16
	v_lshrrev_b32_e32 v29, 16, v13
	v_perm_b32 v32, v20, v12, s2
	v_alignbit_b32 v34, v21, v20, 16
	v_lshrrev_b32_e32 v27, 16, v21
	;; [unrolled: 3-line block ×6, first 2 shown]
	s_branch .LBB711_76
.LBB711_71:
                                        ; implicit-def: $vgpr41
                                        ; implicit-def: $vgpr38
                                        ; implicit-def: $vgpr40
                                        ; implicit-def: $vgpr37
                                        ; implicit-def: $vgpr39
                                        ; implicit-def: $vgpr36
                                        ; implicit-def: $vgpr35
                                        ; implicit-def: $vgpr33
                                        ; implicit-def: $vgpr34
                                        ; implicit-def: $vgpr32
                                        ; implicit-def: $vgpr31
                                        ; implicit-def: $vgpr30
                                        ; implicit-def: $vgpr28
                                        ; implicit-def: $vgpr29
                                        ; implicit-def: $vgpr27
                                        ; implicit-def: $vgpr26
                                        ; implicit-def: $vgpr25
                                        ; implicit-def: $vgpr23
                                        ; implicit-def: $vgpr22
	s_branch .LBB711_77
.LBB711_72:
                                        ; implicit-def: $vgpr41
                                        ; implicit-def: $vgpr38
                                        ; implicit-def: $vgpr40
                                        ; implicit-def: $vgpr37
                                        ; implicit-def: $vgpr39
                                        ; implicit-def: $vgpr36
                                        ; implicit-def: $vgpr35
                                        ; implicit-def: $vgpr33
                                        ; implicit-def: $vgpr34
                                        ; implicit-def: $vgpr32
                                        ; implicit-def: $vgpr31
                                        ; implicit-def: $vgpr30
                                        ; implicit-def: $vgpr28
                                        ; implicit-def: $vgpr29
                                        ; implicit-def: $vgpr27
                                        ; implicit-def: $vgpr26
                                        ; implicit-def: $vgpr25
                                        ; implicit-def: $vgpr23
                                        ; implicit-def: $vgpr22
	s_cbranch_execz .LBB711_76
; %bb.73:
	v_mul_u32_u24_e32 v28, 31, v0
	v_cmp_ne_u32_e32 vcc, 0, v0
	ds_write_b16 v24, v1
	s_waitcnt lgkmcnt(0)
	; wave barrier
	s_waitcnt lgkmcnt(0)
	s_and_saveexec_b64 s[2:3], vcc
	s_cbranch_execz .LBB711_75
; %bb.74:
	v_add_u32_e32 v22, -2, v24
	s_waitcnt vmcnt(0)
	ds_read_u16 v42, v22
.LBB711_75:
	s_or_b64 exec, exec, s[2:3]
	s_mul_i32 s2, s8, 0xfffff840
	s_add_i32 s2, s2, s14
	v_add_u32_e32 v22, 30, v28
	v_lshrrev_b32_e32 v23, 16, v17
	v_cmp_gt_u32_e32 vcc, s2, v22
	v_add_u32_e32 v25, 29, v28
	v_lshrrev_b32_e32 v29, 16, v16
	v_cndmask_b32_e32 v22, 0, v23, vcc
	v_add_u32_e32 v23, 28, v28
	v_cmp_gt_u32_e32 vcc, s2, v23
	v_add_u32_e32 v26, 26, v28
	v_add_u32_e32 v27, 27, v28
	v_cndmask_b32_e32 v41, 0, v29, vcc
	v_cmp_gt_u32_e32 vcc, s2, v25
	v_add_u32_e32 v23, 25, v28
	v_lshrrev_b32_e32 v25, 16, v5
	v_cndmask_b32_e32 v43, 0, v17, vcc
	v_cmp_gt_u32_e32 vcc, s2, v26
	v_add_u32_e32 v26, 24, v28
	v_lshrrev_b32_e32 v30, 16, v3
	v_cndmask_b32_e32 v38, 0, v4, vcc
	v_cmp_gt_u32_e32 vcc, s2, v27
	v_add_u32_e32 v27, 21, v28
	v_add_u32_e32 v29, 22, v28
	v_cndmask_b32_e32 v44, 0, v16, vcc
	v_cmp_gt_u32_e32 vcc, s2, v23
	v_lshrrev_b32_e32 v31, 16, v18
	v_lshrrev_b32_e32 v32, 16, v7
	v_cndmask_b32_e32 v23, 0, v25, vcc
	v_add_u32_e32 v25, 23, v28
	v_cmp_gt_u32_e32 vcc, s2, v25
	v_add_u32_e32 v25, 20, v28
	v_lshrrev_b32_e32 v34, 16, v20
	v_cndmask_b32_e32 v40, 0, v30, vcc
	v_cmp_gt_u32_e32 vcc, s2, v26
	v_lshrrev_b32_e32 v26, 16, v19
	v_add_u32_e32 v30, 17, v28
	v_cndmask_b32_e32 v45, 0, v5, vcc
	v_cmp_gt_u32_e32 vcc, s2, v27
	v_add_u32_e32 v27, 19, v28
	v_lshrrev_b32_e32 v55, 16, v11
	v_cndmask_b32_e32 v37, 0, v2, vcc
	v_cmp_gt_u32_e32 vcc, s2, v29
	v_add_u32_e32 v29, 16, v28
	v_add_u32_e32 v53, 1, v28
	v_cndmask_b32_e32 v46, 0, v3, vcc
	v_cmp_gt_u32_e32 vcc, s2, v25
	v_add_u32_e32 v54, 2, v28
	s_nop 0
	v_cndmask_b32_e32 v25, 0, v26, vcc
	v_add_u32_e32 v26, 18, v28
	v_cmp_gt_u32_e32 vcc, s2, v26
	v_add_u32_e32 v26, 15, v28
	s_nop 0
	v_cndmask_b32_e32 v39, 0, v31, vcc
	v_cmp_gt_u32_e32 vcc, s2, v27
	v_lshrrev_b32_e32 v27, 16, v9
	v_add_u32_e32 v31, 12, v28
	v_cndmask_b32_e32 v47, 0, v19, vcc
	v_cmp_gt_u32_e32 vcc, s2, v29
	v_add_u32_e32 v29, 14, v28
	s_nop 0
	v_cndmask_b32_e32 v36, 0, v8, vcc
	v_cmp_gt_u32_e32 vcc, s2, v30
	v_add_u32_e32 v30, 11, v28
	s_nop 0
	v_cndmask_b32_e32 v48, 0, v18, vcc
	v_cmp_gt_u32_e32 vcc, s2, v26
	s_nop 1
	v_cndmask_b32_e32 v26, 0, v27, vcc
	v_add_u32_e32 v27, 13, v28
	v_cmp_gt_u32_e32 vcc, s2, v27
	v_add_u32_e32 v27, 10, v28
	s_nop 0
	v_cndmask_b32_e32 v35, 0, v32, vcc
	v_cmp_gt_u32_e32 vcc, s2, v29
	v_lshrrev_b32_e32 v29, 16, v21
	v_add_u32_e32 v32, 7, v28
	v_cndmask_b32_e32 v49, 0, v9, vcc
	v_cmp_gt_u32_e32 vcc, s2, v30
	v_add_u32_e32 v30, 9, v28
	s_nop 0
	v_cndmask_b32_e32 v33, 0, v6, vcc
	v_cmp_gt_u32_e32 vcc, s2, v31
	v_add_u32_e32 v31, 6, v28
	s_nop 0
	v_cndmask_b32_e32 v50, 0, v7, vcc
	v_cmp_gt_u32_e32 vcc, s2, v27
	s_nop 1
	v_cndmask_b32_e32 v27, 0, v29, vcc
	v_add_u32_e32 v29, 8, v28
	v_cmp_gt_u32_e32 vcc, s2, v29
	v_add_u32_e32 v29, 5, v28
	s_nop 0
	v_cndmask_b32_e32 v34, 0, v34, vcc
	v_cmp_gt_u32_e32 vcc, s2, v30
	v_lshrrev_b32_e32 v30, 16, v13
	s_nop 0
	v_cndmask_b32_e32 v51, 0, v21, vcc
	v_cmp_gt_u32_e32 vcc, s2, v31
	v_add_u32_e32 v31, 4, v28
	s_nop 0
	v_cndmask_b32_e32 v52, 0, v12, vcc
	v_cmp_gt_u32_e32 vcc, s2, v32
	s_nop 1
	v_cndmask_b32_e32 v32, 0, v20, vcc
	v_cmp_gt_u32_e32 vcc, s2, v29
	s_nop 1
	v_cndmask_b32_e32 v29, 0, v30, vcc
	v_add_u32_e32 v30, 3, v28
	v_cmp_gt_u32_e32 vcc, s2, v30
	s_nop 1
	v_cndmask_b32_e32 v55, 0, v55, vcc
	v_cmp_gt_u32_e32 vcc, s2, v31
	s_nop 1
	v_cndmask_b32_e32 v31, 0, v13, vcc
	;; [unrolled: 3-line block ×4, first 2 shown]
	v_cmp_gt_u32_e32 vcc, s2, v28
	s_mov_b32 s2, 0x5040100
	v_perm_b32 v30, v53, v30, s2
	s_waitcnt vmcnt(0) lgkmcnt(0)
	v_cndmask_b32_e32 v28, 0, v42, vcc
	v_sub_u16_e32 v28, v10, v28
	v_perm_b32 v31, v31, v55, s2
	v_perm_b32 v32, v32, v52, s2
	;; [unrolled: 1-line block ×11, first 2 shown]
.LBB711_76:
	s_cbranch_execnz .LBB711_86
.LBB711_77:
	v_cmp_eq_u64_e32 vcc, 1, v[14:15]
	v_cmp_ne_u32_e64 s[2:3], 0, v0
	s_cbranch_vccnz .LBB711_81
; %bb.78:
	s_mov_b32 s6, 0x5040100
	v_mov_b32_e32 v14, 0
	v_mov_b32_e32 v28, v10
	ds_write_b16 v24, v1
	s_waitcnt lgkmcnt(0)
	; wave barrier
	s_waitcnt lgkmcnt(0)
	s_and_saveexec_b64 s[4:5], s[2:3]
	s_cbranch_execz .LBB711_80
; %bb.79:
	v_add_u32_e32 v14, -2, v24
	ds_read_u16 v14, v14
	s_waitcnt lgkmcnt(0)
	v_sub_u16_e32 v28, v10, v14
	v_mov_b32_e32 v14, v0
.LBB711_80:
	s_or_b64 exec, exec, s[4:5]
	v_perm_b32 v30, v11, v10, s6
	v_alignbit_b32 v31, v13, v11, 16
	v_lshrrev_b32_e32 v29, 16, v13
	v_perm_b32 v32, v20, v12, s6
	v_alignbit_b32 v34, v21, v20, 16
	v_lshrrev_b32_e32 v27, 16, v21
	;; [unrolled: 3-line block ×6, first 2 shown]
	s_cbranch_execz .LBB711_82
	s_branch .LBB711_85
.LBB711_81:
                                        ; implicit-def: $vgpr41
                                        ; implicit-def: $vgpr38
                                        ; implicit-def: $vgpr40
                                        ; implicit-def: $vgpr37
                                        ; implicit-def: $vgpr39
                                        ; implicit-def: $vgpr36
                                        ; implicit-def: $vgpr35
                                        ; implicit-def: $vgpr33
                                        ; implicit-def: $vgpr34
                                        ; implicit-def: $vgpr32
                                        ; implicit-def: $vgpr31
                                        ; implicit-def: $vgpr30
                                        ; implicit-def: $vgpr28
                                        ; implicit-def: $vgpr29
                                        ; implicit-def: $vgpr27
                                        ; implicit-def: $vgpr26
                                        ; implicit-def: $vgpr25
                                        ; implicit-def: $vgpr23
                                        ; implicit-def: $vgpr22
                                        ; implicit-def: $vgpr14
.LBB711_82:
	v_mad_u32_u24 v14, v0, 31, 30
	v_cmp_gt_u32_e32 vcc, s14, v14
	v_mad_u32_u24 v14, v0, 31, 29
	v_mad_u32_u24 v15, v0, 31, 28
	v_cmp_gt_u32_e64 s[2:3], s14, v14
	v_mad_u32_u24 v23, v0, 31, 26
	v_lshrrev_b32_e32 v26, 16, v16
	v_cndmask_b32_e64 v14, 0, v17, s[2:3]
	v_cmp_gt_u32_e64 s[2:3], s14, v15
	v_mad_u32_u24 v25, v0, 31, 27
	v_mad_u32_u24 v27, v0, 31, 21
	v_cndmask_b32_e64 v15, 0, v26, s[2:3]
	v_cmp_gt_u32_e64 s[2:3], s14, v23
	v_mad_u32_u24 v26, v0, 31, 23
	v_lshrrev_b32_e32 v30, 16, v3
	v_cndmask_b32_e64 v28, 0, v4, s[2:3]
	v_cmp_gt_u32_e64 s[2:3], s14, v25
	v_mad_u32_u24 v25, v0, 31, 24
	v_cmp_gt_u32_e64 s[4:5], s14, v25
	v_mad_u32_u24 v29, v0, 31, 22
	v_lshrrev_b32_e32 v31, 16, v18
	v_cndmask_b32_e64 v40, 0, v5, s[4:5]
	v_cmp_gt_u32_e64 s[4:5], s14, v26
	v_mad_u32_u24 v26, v0, 31, 19
	v_cmp_gt_u32_e64 s[6:7], s14, v26
	v_cndmask_b32_e64 v41, 0, v30, s[4:5]
	v_cmp_gt_u32_e64 s[4:5], s14, v27
	v_mad_u32_u24 v27, v0, 31, 18
	v_cndmask_b32_e64 v39, 0, v19, s[6:7]
	v_cndmask_b32_e64 v37, 0, v2, s[4:5]
	v_cmp_gt_u32_e64 s[4:5], s14, v29
	v_mad_u32_u24 v29, v0, 31, 16
	v_cmp_gt_u32_e64 s[6:7], s14, v27
	v_mad_u32_u24 v27, v0, 31, 14
	v_mad_u32_u24 v30, v0, 31, 17
	v_cndmask_b32_e64 v43, 0, v31, s[6:7]
	v_cmp_gt_u32_e64 s[6:7], s14, v29
	v_mad_u32_u24 v29, v0, 31, 13
	v_cmp_gt_u32_e64 s[8:9], s14, v27
	v_cndmask_b32_e64 v36, 0, v8, s[6:7]
	v_cmp_gt_u32_e64 s[6:7], s14, v30
	v_mad_u32_u24 v30, v0, 31, 11
	v_lshrrev_b32_e32 v32, 16, v7
	v_cndmask_b32_e64 v35, 0, v9, s[8:9]
	v_cmp_gt_u32_e64 s[8:9], s14, v29
	v_mad_u32_u24 v29, v0, 31, 9
	v_cmp_gt_u32_e64 s[10:11], s14, v29
	v_cndmask_b32_e64 v45, 0, v32, s[8:9]
	v_cmp_gt_u32_e64 s[8:9], s14, v30
	v_mad_u32_u24 v30, v0, 31, 8
	v_mad_u32_u24 v31, v0, 31, 12
	v_cndmask_b32_e64 v34, 0, v21, s[10:11]
	v_cmp_gt_u32_e64 s[10:11], s14, v30
	v_mad_u32_u24 v30, v0, 31, 4
	v_cndmask_b32_e64 v33, 0, v6, s[8:9]
	v_cmp_gt_u32_e64 s[8:9], s14, v31
	v_mad_u32_u24 v31, v0, 31, 6
	v_lshrrev_b32_e32 v32, 16, v20
	v_mad_u32_u24 v49, v0, 31, 3
	v_cmp_gt_u32_e64 s[12:13], s14, v30
	v_cndmask_b32_e64 v47, 0, v32, s[10:11]
	v_cmp_gt_u32_e64 s[10:11], s14, v31
	v_mad_u32_u24 v50, v0, 31, 1
	v_lshrrev_b32_e32 v53, 16, v11
	v_cndmask_b32_e64 v31, 0, v13, s[12:13]
	v_cmp_gt_u32_e64 s[12:13], s14, v49
	v_mad_u32_u24 v48, v0, 31, 7
	v_mad_u32_u24 v52, v0, 31, 2
	v_cndmask_b32_e64 v49, 0, v53, s[12:13]
	v_cmp_gt_u32_e64 s[12:13], s14, v50
	v_mul_u32_u24_e32 v51, 31, v0
	v_mad_u32_u24 v23, v0, 31, 25
	v_mad_u32_u24 v25, v0, 31, 20
	;; [unrolled: 1-line block ×4, first 2 shown]
	v_cndmask_b32_e64 v32, 0, v12, s[10:11]
	v_cmp_gt_u32_e64 s[10:11], s14, v48
	v_mad_u32_u24 v29, v0, 31, 5
	v_cndmask_b32_e64 v30, 0, v10, s[12:13]
	v_cmp_gt_u32_e64 s[12:13], s14, v52
	v_cndmask_b32_e64 v38, 0, v16, s[2:3]
	v_cmp_gt_u32_e64 s[2:3], s14, v23
	s_waitcnt vmcnt(0)
	v_cndmask_b32_e64 v42, 0, v3, s[4:5]
	v_cmp_gt_u32_e64 s[4:5], s14, v25
	v_cndmask_b32_e64 v44, 0, v18, s[6:7]
	v_cmp_gt_u32_e64 s[6:7], s14, v26
	;; [unrolled: 2-line block ×4, first 2 shown]
	v_cndmask_b32_e64 v50, 0, v11, s[12:13]
	v_cmp_ne_u32_e64 s[12:13], 0, v0
	v_cmp_gt_u32_e64 s[14:15], s14, v51
	v_lshrrev_b32_e32 v22, 16, v17
	v_lshrrev_b32_e32 v23, 16, v5
	;; [unrolled: 1-line block ×6, first 2 shown]
	s_and_b64 s[16:17], s[12:13], s[14:15]
	s_mov_b32 s14, 0x5040100
	ds_write_b16 v24, v1
	s_waitcnt lgkmcnt(0)
	; wave barrier
	s_waitcnt lgkmcnt(0)
	s_and_saveexec_b64 s[12:13], s[16:17]
	s_cbranch_execz .LBB711_84
; %bb.83:
	v_add_u32_e32 v24, -2, v24
	ds_read_u16 v24, v24
	s_waitcnt lgkmcnt(0)
	v_sub_u16_e32 v10, v10, v24
.LBB711_84:
	s_or_b64 exec, exec, s[12:13]
	v_cndmask_b32_e32 v22, 0, v22, vcc
	v_cndmask_b32_e64 v23, 0, v23, s[2:3]
	v_cndmask_b32_e64 v25, 0, v25, s[4:5]
	;; [unrolled: 1-line block ×5, first 2 shown]
	v_perm_b32 v30, v50, v30, s14
	v_perm_b32 v31, v31, v49, s14
	v_perm_b32 v32, v48, v32, s14
	v_perm_b32 v34, v34, v47, s14
	v_perm_b32 v33, v46, v33, s14
	v_perm_b32 v35, v35, v45, s14
	v_perm_b32 v36, v44, v36, s14
	v_perm_b32 v39, v39, v43, s14
	v_perm_b32 v37, v42, v37, s14
	v_perm_b32 v40, v40, v41, s14
	v_perm_b32 v38, v38, v28, s14
	v_perm_b32 v41, v14, v15, s14
	v_mov_b32_e32 v28, v10
	v_mov_b32_e32 v14, v0
.LBB711_85:
	v_mov_b32_e32 v0, v14
.LBB711_86:
	v_pk_sub_i16 v13, v13, v31
	v_pk_sub_i16 v14, v11, v30
	v_sub_u16_e32 v12, v12, v29
	s_mov_b32 s2, 0x5040100
	v_pk_sub_i16 v11, v21, v34
	v_pk_sub_i16 v10, v20, v32
	v_sub_u16_e32 v15, v6, v27
	v_pk_sub_i16 v9, v9, v35
	v_pk_sub_i16 v20, v7, v33
	v_sub_u16_e32 v8, v8, v26
	;; [unrolled: 3-line block ×3, first 2 shown]
	v_pk_sub_i16 v19, v5, v40
	v_sub_u16_e32 v21, v4, v23
	v_pk_sub_i16 v5, v17, v41
	v_pk_sub_i16 v4, v16, v38
	v_sub_u16_e32 v16, v1, v22
	v_mul_u32_u24_e32 v17, 62, v0
	v_alignbit_b32 v2, v12, v13, 16
	v_alignbit_b32 v1, v13, v14, 16
	v_perm_b32 v0, v14, v28, s2
	v_pk_sub_i16 v3, v3, v37
	s_waitcnt lgkmcnt(0)
	; wave barrier
	ds_write_b96 v17, v[0:2]
	ds_write_b64 v17, v[10:11] offset:12
	v_perm_b32 v0, v20, v15, s2
	v_alignbit_b32 v2, v8, v9, 16
	v_alignbit_b32 v1, v9, v20, 16
	ds_write_b96 v17, v[0:2] offset:20
	ds_write_b64 v17, v[6:7] offset:32
	v_perm_b32 v0, v3, v18, s2
	v_alignbit_b32 v2, v21, v19, 16
	v_alignbit_b32 v1, v19, v3, 16
	s_mov_b64 s[2:3], -1
	s_and_b64 vcc, exec, s[0:1]
	ds_write_b96 v17, v[0:2] offset:40
	ds_write_b64 v17, v[4:5] offset:52
	ds_write_b16 v17, v16 offset:60
	s_waitcnt lgkmcnt(0)
	s_cbranch_vccnz .LBB711_89
; %bb.87:
	s_andn2_b64 vcc, exec, s[2:3]
	s_cbranch_vccz .LBB711_90
.LBB711_88:
	s_endpgm
.LBB711_89:
	; wave barrier
	s_cbranch_execnz .LBB711_88
.LBB711_90:
	; wave barrier
	s_endpgm
	.section	.rodata,"a",@progbits
	.p2align	6, 0x0
	.amdhsa_kernel _ZN7rocprim17ROCPRIM_400000_NS6detail17trampoline_kernelINS0_14default_configENS1_35adjacent_difference_config_selectorILb1EsEEZNS1_24adjacent_difference_implIS3_Lb1ELb0EPsN6thrust23THRUST_200600_302600_NS16discard_iteratorINS9_11use_defaultEEENS9_5minusIsEEEE10hipError_tPvRmT2_T3_mT4_P12ihipStream_tbEUlT_E_NS1_11comp_targetILNS1_3genE5ELNS1_11target_archE942ELNS1_3gpuE9ELNS1_3repE0EEENS1_30default_config_static_selectorELNS0_4arch9wavefront6targetE1EEEvT1_
		.amdhsa_group_segment_fixed_size 3968
		.amdhsa_private_segment_fixed_size 0
		.amdhsa_kernarg_size 64
		.amdhsa_user_sgpr_count 2
		.amdhsa_user_sgpr_dispatch_ptr 0
		.amdhsa_user_sgpr_queue_ptr 0
		.amdhsa_user_sgpr_kernarg_segment_ptr 1
		.amdhsa_user_sgpr_dispatch_id 0
		.amdhsa_user_sgpr_kernarg_preload_length 0
		.amdhsa_user_sgpr_kernarg_preload_offset 0
		.amdhsa_user_sgpr_private_segment_size 0
		.amdhsa_uses_dynamic_stack 0
		.amdhsa_enable_private_segment 0
		.amdhsa_system_sgpr_workgroup_id_x 1
		.amdhsa_system_sgpr_workgroup_id_y 0
		.amdhsa_system_sgpr_workgroup_id_z 0
		.amdhsa_system_sgpr_workgroup_info 0
		.amdhsa_system_vgpr_workitem_id 0
		.amdhsa_next_free_vgpr 56
		.amdhsa_next_free_sgpr 21
		.amdhsa_accum_offset 56
		.amdhsa_reserve_vcc 1
		.amdhsa_float_round_mode_32 0
		.amdhsa_float_round_mode_16_64 0
		.amdhsa_float_denorm_mode_32 3
		.amdhsa_float_denorm_mode_16_64 3
		.amdhsa_dx10_clamp 1
		.amdhsa_ieee_mode 1
		.amdhsa_fp16_overflow 0
		.amdhsa_tg_split 0
		.amdhsa_exception_fp_ieee_invalid_op 0
		.amdhsa_exception_fp_denorm_src 0
		.amdhsa_exception_fp_ieee_div_zero 0
		.amdhsa_exception_fp_ieee_overflow 0
		.amdhsa_exception_fp_ieee_underflow 0
		.amdhsa_exception_fp_ieee_inexact 0
		.amdhsa_exception_int_div_zero 0
	.end_amdhsa_kernel
	.section	.text._ZN7rocprim17ROCPRIM_400000_NS6detail17trampoline_kernelINS0_14default_configENS1_35adjacent_difference_config_selectorILb1EsEEZNS1_24adjacent_difference_implIS3_Lb1ELb0EPsN6thrust23THRUST_200600_302600_NS16discard_iteratorINS9_11use_defaultEEENS9_5minusIsEEEE10hipError_tPvRmT2_T3_mT4_P12ihipStream_tbEUlT_E_NS1_11comp_targetILNS1_3genE5ELNS1_11target_archE942ELNS1_3gpuE9ELNS1_3repE0EEENS1_30default_config_static_selectorELNS0_4arch9wavefront6targetE1EEEvT1_,"axG",@progbits,_ZN7rocprim17ROCPRIM_400000_NS6detail17trampoline_kernelINS0_14default_configENS1_35adjacent_difference_config_selectorILb1EsEEZNS1_24adjacent_difference_implIS3_Lb1ELb0EPsN6thrust23THRUST_200600_302600_NS16discard_iteratorINS9_11use_defaultEEENS9_5minusIsEEEE10hipError_tPvRmT2_T3_mT4_P12ihipStream_tbEUlT_E_NS1_11comp_targetILNS1_3genE5ELNS1_11target_archE942ELNS1_3gpuE9ELNS1_3repE0EEENS1_30default_config_static_selectorELNS0_4arch9wavefront6targetE1EEEvT1_,comdat
.Lfunc_end711:
	.size	_ZN7rocprim17ROCPRIM_400000_NS6detail17trampoline_kernelINS0_14default_configENS1_35adjacent_difference_config_selectorILb1EsEEZNS1_24adjacent_difference_implIS3_Lb1ELb0EPsN6thrust23THRUST_200600_302600_NS16discard_iteratorINS9_11use_defaultEEENS9_5minusIsEEEE10hipError_tPvRmT2_T3_mT4_P12ihipStream_tbEUlT_E_NS1_11comp_targetILNS1_3genE5ELNS1_11target_archE942ELNS1_3gpuE9ELNS1_3repE0EEENS1_30default_config_static_selectorELNS0_4arch9wavefront6targetE1EEEvT1_, .Lfunc_end711-_ZN7rocprim17ROCPRIM_400000_NS6detail17trampoline_kernelINS0_14default_configENS1_35adjacent_difference_config_selectorILb1EsEEZNS1_24adjacent_difference_implIS3_Lb1ELb0EPsN6thrust23THRUST_200600_302600_NS16discard_iteratorINS9_11use_defaultEEENS9_5minusIsEEEE10hipError_tPvRmT2_T3_mT4_P12ihipStream_tbEUlT_E_NS1_11comp_targetILNS1_3genE5ELNS1_11target_archE942ELNS1_3gpuE9ELNS1_3repE0EEENS1_30default_config_static_selectorELNS0_4arch9wavefront6targetE1EEEvT1_
                                        ; -- End function
	.section	.AMDGPU.csdata,"",@progbits
; Kernel info:
; codeLenInByte = 5080
; NumSgprs: 27
; NumVgprs: 56
; NumAgprs: 0
; TotalNumVgprs: 56
; ScratchSize: 0
; MemoryBound: 0
; FloatMode: 240
; IeeeMode: 1
; LDSByteSize: 3968 bytes/workgroup (compile time only)
; SGPRBlocks: 3
; VGPRBlocks: 6
; NumSGPRsForWavesPerEU: 27
; NumVGPRsForWavesPerEU: 56
; AccumOffset: 56
; Occupancy: 4
; WaveLimiterHint : 1
; COMPUTE_PGM_RSRC2:SCRATCH_EN: 0
; COMPUTE_PGM_RSRC2:USER_SGPR: 2
; COMPUTE_PGM_RSRC2:TRAP_HANDLER: 0
; COMPUTE_PGM_RSRC2:TGID_X_EN: 1
; COMPUTE_PGM_RSRC2:TGID_Y_EN: 0
; COMPUTE_PGM_RSRC2:TGID_Z_EN: 0
; COMPUTE_PGM_RSRC2:TIDIG_COMP_CNT: 0
; COMPUTE_PGM_RSRC3_GFX90A:ACCUM_OFFSET: 13
; COMPUTE_PGM_RSRC3_GFX90A:TG_SPLIT: 0
	.section	.text._ZN7rocprim17ROCPRIM_400000_NS6detail17trampoline_kernelINS0_14default_configENS1_35adjacent_difference_config_selectorILb1EsEEZNS1_24adjacent_difference_implIS3_Lb1ELb0EPsN6thrust23THRUST_200600_302600_NS16discard_iteratorINS9_11use_defaultEEENS9_5minusIsEEEE10hipError_tPvRmT2_T3_mT4_P12ihipStream_tbEUlT_E_NS1_11comp_targetILNS1_3genE4ELNS1_11target_archE910ELNS1_3gpuE8ELNS1_3repE0EEENS1_30default_config_static_selectorELNS0_4arch9wavefront6targetE1EEEvT1_,"axG",@progbits,_ZN7rocprim17ROCPRIM_400000_NS6detail17trampoline_kernelINS0_14default_configENS1_35adjacent_difference_config_selectorILb1EsEEZNS1_24adjacent_difference_implIS3_Lb1ELb0EPsN6thrust23THRUST_200600_302600_NS16discard_iteratorINS9_11use_defaultEEENS9_5minusIsEEEE10hipError_tPvRmT2_T3_mT4_P12ihipStream_tbEUlT_E_NS1_11comp_targetILNS1_3genE4ELNS1_11target_archE910ELNS1_3gpuE8ELNS1_3repE0EEENS1_30default_config_static_selectorELNS0_4arch9wavefront6targetE1EEEvT1_,comdat
	.protected	_ZN7rocprim17ROCPRIM_400000_NS6detail17trampoline_kernelINS0_14default_configENS1_35adjacent_difference_config_selectorILb1EsEEZNS1_24adjacent_difference_implIS3_Lb1ELb0EPsN6thrust23THRUST_200600_302600_NS16discard_iteratorINS9_11use_defaultEEENS9_5minusIsEEEE10hipError_tPvRmT2_T3_mT4_P12ihipStream_tbEUlT_E_NS1_11comp_targetILNS1_3genE4ELNS1_11target_archE910ELNS1_3gpuE8ELNS1_3repE0EEENS1_30default_config_static_selectorELNS0_4arch9wavefront6targetE1EEEvT1_ ; -- Begin function _ZN7rocprim17ROCPRIM_400000_NS6detail17trampoline_kernelINS0_14default_configENS1_35adjacent_difference_config_selectorILb1EsEEZNS1_24adjacent_difference_implIS3_Lb1ELb0EPsN6thrust23THRUST_200600_302600_NS16discard_iteratorINS9_11use_defaultEEENS9_5minusIsEEEE10hipError_tPvRmT2_T3_mT4_P12ihipStream_tbEUlT_E_NS1_11comp_targetILNS1_3genE4ELNS1_11target_archE910ELNS1_3gpuE8ELNS1_3repE0EEENS1_30default_config_static_selectorELNS0_4arch9wavefront6targetE1EEEvT1_
	.globl	_ZN7rocprim17ROCPRIM_400000_NS6detail17trampoline_kernelINS0_14default_configENS1_35adjacent_difference_config_selectorILb1EsEEZNS1_24adjacent_difference_implIS3_Lb1ELb0EPsN6thrust23THRUST_200600_302600_NS16discard_iteratorINS9_11use_defaultEEENS9_5minusIsEEEE10hipError_tPvRmT2_T3_mT4_P12ihipStream_tbEUlT_E_NS1_11comp_targetILNS1_3genE4ELNS1_11target_archE910ELNS1_3gpuE8ELNS1_3repE0EEENS1_30default_config_static_selectorELNS0_4arch9wavefront6targetE1EEEvT1_
	.p2align	8
	.type	_ZN7rocprim17ROCPRIM_400000_NS6detail17trampoline_kernelINS0_14default_configENS1_35adjacent_difference_config_selectorILb1EsEEZNS1_24adjacent_difference_implIS3_Lb1ELb0EPsN6thrust23THRUST_200600_302600_NS16discard_iteratorINS9_11use_defaultEEENS9_5minusIsEEEE10hipError_tPvRmT2_T3_mT4_P12ihipStream_tbEUlT_E_NS1_11comp_targetILNS1_3genE4ELNS1_11target_archE910ELNS1_3gpuE8ELNS1_3repE0EEENS1_30default_config_static_selectorELNS0_4arch9wavefront6targetE1EEEvT1_,@function
_ZN7rocprim17ROCPRIM_400000_NS6detail17trampoline_kernelINS0_14default_configENS1_35adjacent_difference_config_selectorILb1EsEEZNS1_24adjacent_difference_implIS3_Lb1ELb0EPsN6thrust23THRUST_200600_302600_NS16discard_iteratorINS9_11use_defaultEEENS9_5minusIsEEEE10hipError_tPvRmT2_T3_mT4_P12ihipStream_tbEUlT_E_NS1_11comp_targetILNS1_3genE4ELNS1_11target_archE910ELNS1_3gpuE8ELNS1_3repE0EEENS1_30default_config_static_selectorELNS0_4arch9wavefront6targetE1EEEvT1_: ; @_ZN7rocprim17ROCPRIM_400000_NS6detail17trampoline_kernelINS0_14default_configENS1_35adjacent_difference_config_selectorILb1EsEEZNS1_24adjacent_difference_implIS3_Lb1ELb0EPsN6thrust23THRUST_200600_302600_NS16discard_iteratorINS9_11use_defaultEEENS9_5minusIsEEEE10hipError_tPvRmT2_T3_mT4_P12ihipStream_tbEUlT_E_NS1_11comp_targetILNS1_3genE4ELNS1_11target_archE910ELNS1_3gpuE8ELNS1_3repE0EEENS1_30default_config_static_selectorELNS0_4arch9wavefront6targetE1EEEvT1_
; %bb.0:
	.section	.rodata,"a",@progbits
	.p2align	6, 0x0
	.amdhsa_kernel _ZN7rocprim17ROCPRIM_400000_NS6detail17trampoline_kernelINS0_14default_configENS1_35adjacent_difference_config_selectorILb1EsEEZNS1_24adjacent_difference_implIS3_Lb1ELb0EPsN6thrust23THRUST_200600_302600_NS16discard_iteratorINS9_11use_defaultEEENS9_5minusIsEEEE10hipError_tPvRmT2_T3_mT4_P12ihipStream_tbEUlT_E_NS1_11comp_targetILNS1_3genE4ELNS1_11target_archE910ELNS1_3gpuE8ELNS1_3repE0EEENS1_30default_config_static_selectorELNS0_4arch9wavefront6targetE1EEEvT1_
		.amdhsa_group_segment_fixed_size 0
		.amdhsa_private_segment_fixed_size 0
		.amdhsa_kernarg_size 64
		.amdhsa_user_sgpr_count 2
		.amdhsa_user_sgpr_dispatch_ptr 0
		.amdhsa_user_sgpr_queue_ptr 0
		.amdhsa_user_sgpr_kernarg_segment_ptr 1
		.amdhsa_user_sgpr_dispatch_id 0
		.amdhsa_user_sgpr_kernarg_preload_length 0
		.amdhsa_user_sgpr_kernarg_preload_offset 0
		.amdhsa_user_sgpr_private_segment_size 0
		.amdhsa_uses_dynamic_stack 0
		.amdhsa_enable_private_segment 0
		.amdhsa_system_sgpr_workgroup_id_x 1
		.amdhsa_system_sgpr_workgroup_id_y 0
		.amdhsa_system_sgpr_workgroup_id_z 0
		.amdhsa_system_sgpr_workgroup_info 0
		.amdhsa_system_vgpr_workitem_id 0
		.amdhsa_next_free_vgpr 1
		.amdhsa_next_free_sgpr 0
		.amdhsa_accum_offset 4
		.amdhsa_reserve_vcc 0
		.amdhsa_float_round_mode_32 0
		.amdhsa_float_round_mode_16_64 0
		.amdhsa_float_denorm_mode_32 3
		.amdhsa_float_denorm_mode_16_64 3
		.amdhsa_dx10_clamp 1
		.amdhsa_ieee_mode 1
		.amdhsa_fp16_overflow 0
		.amdhsa_tg_split 0
		.amdhsa_exception_fp_ieee_invalid_op 0
		.amdhsa_exception_fp_denorm_src 0
		.amdhsa_exception_fp_ieee_div_zero 0
		.amdhsa_exception_fp_ieee_overflow 0
		.amdhsa_exception_fp_ieee_underflow 0
		.amdhsa_exception_fp_ieee_inexact 0
		.amdhsa_exception_int_div_zero 0
	.end_amdhsa_kernel
	.section	.text._ZN7rocprim17ROCPRIM_400000_NS6detail17trampoline_kernelINS0_14default_configENS1_35adjacent_difference_config_selectorILb1EsEEZNS1_24adjacent_difference_implIS3_Lb1ELb0EPsN6thrust23THRUST_200600_302600_NS16discard_iteratorINS9_11use_defaultEEENS9_5minusIsEEEE10hipError_tPvRmT2_T3_mT4_P12ihipStream_tbEUlT_E_NS1_11comp_targetILNS1_3genE4ELNS1_11target_archE910ELNS1_3gpuE8ELNS1_3repE0EEENS1_30default_config_static_selectorELNS0_4arch9wavefront6targetE1EEEvT1_,"axG",@progbits,_ZN7rocprim17ROCPRIM_400000_NS6detail17trampoline_kernelINS0_14default_configENS1_35adjacent_difference_config_selectorILb1EsEEZNS1_24adjacent_difference_implIS3_Lb1ELb0EPsN6thrust23THRUST_200600_302600_NS16discard_iteratorINS9_11use_defaultEEENS9_5minusIsEEEE10hipError_tPvRmT2_T3_mT4_P12ihipStream_tbEUlT_E_NS1_11comp_targetILNS1_3genE4ELNS1_11target_archE910ELNS1_3gpuE8ELNS1_3repE0EEENS1_30default_config_static_selectorELNS0_4arch9wavefront6targetE1EEEvT1_,comdat
.Lfunc_end712:
	.size	_ZN7rocprim17ROCPRIM_400000_NS6detail17trampoline_kernelINS0_14default_configENS1_35adjacent_difference_config_selectorILb1EsEEZNS1_24adjacent_difference_implIS3_Lb1ELb0EPsN6thrust23THRUST_200600_302600_NS16discard_iteratorINS9_11use_defaultEEENS9_5minusIsEEEE10hipError_tPvRmT2_T3_mT4_P12ihipStream_tbEUlT_E_NS1_11comp_targetILNS1_3genE4ELNS1_11target_archE910ELNS1_3gpuE8ELNS1_3repE0EEENS1_30default_config_static_selectorELNS0_4arch9wavefront6targetE1EEEvT1_, .Lfunc_end712-_ZN7rocprim17ROCPRIM_400000_NS6detail17trampoline_kernelINS0_14default_configENS1_35adjacent_difference_config_selectorILb1EsEEZNS1_24adjacent_difference_implIS3_Lb1ELb0EPsN6thrust23THRUST_200600_302600_NS16discard_iteratorINS9_11use_defaultEEENS9_5minusIsEEEE10hipError_tPvRmT2_T3_mT4_P12ihipStream_tbEUlT_E_NS1_11comp_targetILNS1_3genE4ELNS1_11target_archE910ELNS1_3gpuE8ELNS1_3repE0EEENS1_30default_config_static_selectorELNS0_4arch9wavefront6targetE1EEEvT1_
                                        ; -- End function
	.section	.AMDGPU.csdata,"",@progbits
; Kernel info:
; codeLenInByte = 0
; NumSgprs: 6
; NumVgprs: 0
; NumAgprs: 0
; TotalNumVgprs: 0
; ScratchSize: 0
; MemoryBound: 0
; FloatMode: 240
; IeeeMode: 1
; LDSByteSize: 0 bytes/workgroup (compile time only)
; SGPRBlocks: 0
; VGPRBlocks: 0
; NumSGPRsForWavesPerEU: 6
; NumVGPRsForWavesPerEU: 1
; AccumOffset: 4
; Occupancy: 8
; WaveLimiterHint : 0
; COMPUTE_PGM_RSRC2:SCRATCH_EN: 0
; COMPUTE_PGM_RSRC2:USER_SGPR: 2
; COMPUTE_PGM_RSRC2:TRAP_HANDLER: 0
; COMPUTE_PGM_RSRC2:TGID_X_EN: 1
; COMPUTE_PGM_RSRC2:TGID_Y_EN: 0
; COMPUTE_PGM_RSRC2:TGID_Z_EN: 0
; COMPUTE_PGM_RSRC2:TIDIG_COMP_CNT: 0
; COMPUTE_PGM_RSRC3_GFX90A:ACCUM_OFFSET: 0
; COMPUTE_PGM_RSRC3_GFX90A:TG_SPLIT: 0
	.section	.text._ZN7rocprim17ROCPRIM_400000_NS6detail17trampoline_kernelINS0_14default_configENS1_35adjacent_difference_config_selectorILb1EsEEZNS1_24adjacent_difference_implIS3_Lb1ELb0EPsN6thrust23THRUST_200600_302600_NS16discard_iteratorINS9_11use_defaultEEENS9_5minusIsEEEE10hipError_tPvRmT2_T3_mT4_P12ihipStream_tbEUlT_E_NS1_11comp_targetILNS1_3genE3ELNS1_11target_archE908ELNS1_3gpuE7ELNS1_3repE0EEENS1_30default_config_static_selectorELNS0_4arch9wavefront6targetE1EEEvT1_,"axG",@progbits,_ZN7rocprim17ROCPRIM_400000_NS6detail17trampoline_kernelINS0_14default_configENS1_35adjacent_difference_config_selectorILb1EsEEZNS1_24adjacent_difference_implIS3_Lb1ELb0EPsN6thrust23THRUST_200600_302600_NS16discard_iteratorINS9_11use_defaultEEENS9_5minusIsEEEE10hipError_tPvRmT2_T3_mT4_P12ihipStream_tbEUlT_E_NS1_11comp_targetILNS1_3genE3ELNS1_11target_archE908ELNS1_3gpuE7ELNS1_3repE0EEENS1_30default_config_static_selectorELNS0_4arch9wavefront6targetE1EEEvT1_,comdat
	.protected	_ZN7rocprim17ROCPRIM_400000_NS6detail17trampoline_kernelINS0_14default_configENS1_35adjacent_difference_config_selectorILb1EsEEZNS1_24adjacent_difference_implIS3_Lb1ELb0EPsN6thrust23THRUST_200600_302600_NS16discard_iteratorINS9_11use_defaultEEENS9_5minusIsEEEE10hipError_tPvRmT2_T3_mT4_P12ihipStream_tbEUlT_E_NS1_11comp_targetILNS1_3genE3ELNS1_11target_archE908ELNS1_3gpuE7ELNS1_3repE0EEENS1_30default_config_static_selectorELNS0_4arch9wavefront6targetE1EEEvT1_ ; -- Begin function _ZN7rocprim17ROCPRIM_400000_NS6detail17trampoline_kernelINS0_14default_configENS1_35adjacent_difference_config_selectorILb1EsEEZNS1_24adjacent_difference_implIS3_Lb1ELb0EPsN6thrust23THRUST_200600_302600_NS16discard_iteratorINS9_11use_defaultEEENS9_5minusIsEEEE10hipError_tPvRmT2_T3_mT4_P12ihipStream_tbEUlT_E_NS1_11comp_targetILNS1_3genE3ELNS1_11target_archE908ELNS1_3gpuE7ELNS1_3repE0EEENS1_30default_config_static_selectorELNS0_4arch9wavefront6targetE1EEEvT1_
	.globl	_ZN7rocprim17ROCPRIM_400000_NS6detail17trampoline_kernelINS0_14default_configENS1_35adjacent_difference_config_selectorILb1EsEEZNS1_24adjacent_difference_implIS3_Lb1ELb0EPsN6thrust23THRUST_200600_302600_NS16discard_iteratorINS9_11use_defaultEEENS9_5minusIsEEEE10hipError_tPvRmT2_T3_mT4_P12ihipStream_tbEUlT_E_NS1_11comp_targetILNS1_3genE3ELNS1_11target_archE908ELNS1_3gpuE7ELNS1_3repE0EEENS1_30default_config_static_selectorELNS0_4arch9wavefront6targetE1EEEvT1_
	.p2align	8
	.type	_ZN7rocprim17ROCPRIM_400000_NS6detail17trampoline_kernelINS0_14default_configENS1_35adjacent_difference_config_selectorILb1EsEEZNS1_24adjacent_difference_implIS3_Lb1ELb0EPsN6thrust23THRUST_200600_302600_NS16discard_iteratorINS9_11use_defaultEEENS9_5minusIsEEEE10hipError_tPvRmT2_T3_mT4_P12ihipStream_tbEUlT_E_NS1_11comp_targetILNS1_3genE3ELNS1_11target_archE908ELNS1_3gpuE7ELNS1_3repE0EEENS1_30default_config_static_selectorELNS0_4arch9wavefront6targetE1EEEvT1_,@function
_ZN7rocprim17ROCPRIM_400000_NS6detail17trampoline_kernelINS0_14default_configENS1_35adjacent_difference_config_selectorILb1EsEEZNS1_24adjacent_difference_implIS3_Lb1ELb0EPsN6thrust23THRUST_200600_302600_NS16discard_iteratorINS9_11use_defaultEEENS9_5minusIsEEEE10hipError_tPvRmT2_T3_mT4_P12ihipStream_tbEUlT_E_NS1_11comp_targetILNS1_3genE3ELNS1_11target_archE908ELNS1_3gpuE7ELNS1_3repE0EEENS1_30default_config_static_selectorELNS0_4arch9wavefront6targetE1EEEvT1_: ; @_ZN7rocprim17ROCPRIM_400000_NS6detail17trampoline_kernelINS0_14default_configENS1_35adjacent_difference_config_selectorILb1EsEEZNS1_24adjacent_difference_implIS3_Lb1ELb0EPsN6thrust23THRUST_200600_302600_NS16discard_iteratorINS9_11use_defaultEEENS9_5minusIsEEEE10hipError_tPvRmT2_T3_mT4_P12ihipStream_tbEUlT_E_NS1_11comp_targetILNS1_3genE3ELNS1_11target_archE908ELNS1_3gpuE7ELNS1_3repE0EEENS1_30default_config_static_selectorELNS0_4arch9wavefront6targetE1EEEvT1_
; %bb.0:
	.section	.rodata,"a",@progbits
	.p2align	6, 0x0
	.amdhsa_kernel _ZN7rocprim17ROCPRIM_400000_NS6detail17trampoline_kernelINS0_14default_configENS1_35adjacent_difference_config_selectorILb1EsEEZNS1_24adjacent_difference_implIS3_Lb1ELb0EPsN6thrust23THRUST_200600_302600_NS16discard_iteratorINS9_11use_defaultEEENS9_5minusIsEEEE10hipError_tPvRmT2_T3_mT4_P12ihipStream_tbEUlT_E_NS1_11comp_targetILNS1_3genE3ELNS1_11target_archE908ELNS1_3gpuE7ELNS1_3repE0EEENS1_30default_config_static_selectorELNS0_4arch9wavefront6targetE1EEEvT1_
		.amdhsa_group_segment_fixed_size 0
		.amdhsa_private_segment_fixed_size 0
		.amdhsa_kernarg_size 64
		.amdhsa_user_sgpr_count 2
		.amdhsa_user_sgpr_dispatch_ptr 0
		.amdhsa_user_sgpr_queue_ptr 0
		.amdhsa_user_sgpr_kernarg_segment_ptr 1
		.amdhsa_user_sgpr_dispatch_id 0
		.amdhsa_user_sgpr_kernarg_preload_length 0
		.amdhsa_user_sgpr_kernarg_preload_offset 0
		.amdhsa_user_sgpr_private_segment_size 0
		.amdhsa_uses_dynamic_stack 0
		.amdhsa_enable_private_segment 0
		.amdhsa_system_sgpr_workgroup_id_x 1
		.amdhsa_system_sgpr_workgroup_id_y 0
		.amdhsa_system_sgpr_workgroup_id_z 0
		.amdhsa_system_sgpr_workgroup_info 0
		.amdhsa_system_vgpr_workitem_id 0
		.amdhsa_next_free_vgpr 1
		.amdhsa_next_free_sgpr 0
		.amdhsa_accum_offset 4
		.amdhsa_reserve_vcc 0
		.amdhsa_float_round_mode_32 0
		.amdhsa_float_round_mode_16_64 0
		.amdhsa_float_denorm_mode_32 3
		.amdhsa_float_denorm_mode_16_64 3
		.amdhsa_dx10_clamp 1
		.amdhsa_ieee_mode 1
		.amdhsa_fp16_overflow 0
		.amdhsa_tg_split 0
		.amdhsa_exception_fp_ieee_invalid_op 0
		.amdhsa_exception_fp_denorm_src 0
		.amdhsa_exception_fp_ieee_div_zero 0
		.amdhsa_exception_fp_ieee_overflow 0
		.amdhsa_exception_fp_ieee_underflow 0
		.amdhsa_exception_fp_ieee_inexact 0
		.amdhsa_exception_int_div_zero 0
	.end_amdhsa_kernel
	.section	.text._ZN7rocprim17ROCPRIM_400000_NS6detail17trampoline_kernelINS0_14default_configENS1_35adjacent_difference_config_selectorILb1EsEEZNS1_24adjacent_difference_implIS3_Lb1ELb0EPsN6thrust23THRUST_200600_302600_NS16discard_iteratorINS9_11use_defaultEEENS9_5minusIsEEEE10hipError_tPvRmT2_T3_mT4_P12ihipStream_tbEUlT_E_NS1_11comp_targetILNS1_3genE3ELNS1_11target_archE908ELNS1_3gpuE7ELNS1_3repE0EEENS1_30default_config_static_selectorELNS0_4arch9wavefront6targetE1EEEvT1_,"axG",@progbits,_ZN7rocprim17ROCPRIM_400000_NS6detail17trampoline_kernelINS0_14default_configENS1_35adjacent_difference_config_selectorILb1EsEEZNS1_24adjacent_difference_implIS3_Lb1ELb0EPsN6thrust23THRUST_200600_302600_NS16discard_iteratorINS9_11use_defaultEEENS9_5minusIsEEEE10hipError_tPvRmT2_T3_mT4_P12ihipStream_tbEUlT_E_NS1_11comp_targetILNS1_3genE3ELNS1_11target_archE908ELNS1_3gpuE7ELNS1_3repE0EEENS1_30default_config_static_selectorELNS0_4arch9wavefront6targetE1EEEvT1_,comdat
.Lfunc_end713:
	.size	_ZN7rocprim17ROCPRIM_400000_NS6detail17trampoline_kernelINS0_14default_configENS1_35adjacent_difference_config_selectorILb1EsEEZNS1_24adjacent_difference_implIS3_Lb1ELb0EPsN6thrust23THRUST_200600_302600_NS16discard_iteratorINS9_11use_defaultEEENS9_5minusIsEEEE10hipError_tPvRmT2_T3_mT4_P12ihipStream_tbEUlT_E_NS1_11comp_targetILNS1_3genE3ELNS1_11target_archE908ELNS1_3gpuE7ELNS1_3repE0EEENS1_30default_config_static_selectorELNS0_4arch9wavefront6targetE1EEEvT1_, .Lfunc_end713-_ZN7rocprim17ROCPRIM_400000_NS6detail17trampoline_kernelINS0_14default_configENS1_35adjacent_difference_config_selectorILb1EsEEZNS1_24adjacent_difference_implIS3_Lb1ELb0EPsN6thrust23THRUST_200600_302600_NS16discard_iteratorINS9_11use_defaultEEENS9_5minusIsEEEE10hipError_tPvRmT2_T3_mT4_P12ihipStream_tbEUlT_E_NS1_11comp_targetILNS1_3genE3ELNS1_11target_archE908ELNS1_3gpuE7ELNS1_3repE0EEENS1_30default_config_static_selectorELNS0_4arch9wavefront6targetE1EEEvT1_
                                        ; -- End function
	.section	.AMDGPU.csdata,"",@progbits
; Kernel info:
; codeLenInByte = 0
; NumSgprs: 6
; NumVgprs: 0
; NumAgprs: 0
; TotalNumVgprs: 0
; ScratchSize: 0
; MemoryBound: 0
; FloatMode: 240
; IeeeMode: 1
; LDSByteSize: 0 bytes/workgroup (compile time only)
; SGPRBlocks: 0
; VGPRBlocks: 0
; NumSGPRsForWavesPerEU: 6
; NumVGPRsForWavesPerEU: 1
; AccumOffset: 4
; Occupancy: 8
; WaveLimiterHint : 0
; COMPUTE_PGM_RSRC2:SCRATCH_EN: 0
; COMPUTE_PGM_RSRC2:USER_SGPR: 2
; COMPUTE_PGM_RSRC2:TRAP_HANDLER: 0
; COMPUTE_PGM_RSRC2:TGID_X_EN: 1
; COMPUTE_PGM_RSRC2:TGID_Y_EN: 0
; COMPUTE_PGM_RSRC2:TGID_Z_EN: 0
; COMPUTE_PGM_RSRC2:TIDIG_COMP_CNT: 0
; COMPUTE_PGM_RSRC3_GFX90A:ACCUM_OFFSET: 0
; COMPUTE_PGM_RSRC3_GFX90A:TG_SPLIT: 0
	.section	.text._ZN7rocprim17ROCPRIM_400000_NS6detail17trampoline_kernelINS0_14default_configENS1_35adjacent_difference_config_selectorILb1EsEEZNS1_24adjacent_difference_implIS3_Lb1ELb0EPsN6thrust23THRUST_200600_302600_NS16discard_iteratorINS9_11use_defaultEEENS9_5minusIsEEEE10hipError_tPvRmT2_T3_mT4_P12ihipStream_tbEUlT_E_NS1_11comp_targetILNS1_3genE2ELNS1_11target_archE906ELNS1_3gpuE6ELNS1_3repE0EEENS1_30default_config_static_selectorELNS0_4arch9wavefront6targetE1EEEvT1_,"axG",@progbits,_ZN7rocprim17ROCPRIM_400000_NS6detail17trampoline_kernelINS0_14default_configENS1_35adjacent_difference_config_selectorILb1EsEEZNS1_24adjacent_difference_implIS3_Lb1ELb0EPsN6thrust23THRUST_200600_302600_NS16discard_iteratorINS9_11use_defaultEEENS9_5minusIsEEEE10hipError_tPvRmT2_T3_mT4_P12ihipStream_tbEUlT_E_NS1_11comp_targetILNS1_3genE2ELNS1_11target_archE906ELNS1_3gpuE6ELNS1_3repE0EEENS1_30default_config_static_selectorELNS0_4arch9wavefront6targetE1EEEvT1_,comdat
	.protected	_ZN7rocprim17ROCPRIM_400000_NS6detail17trampoline_kernelINS0_14default_configENS1_35adjacent_difference_config_selectorILb1EsEEZNS1_24adjacent_difference_implIS3_Lb1ELb0EPsN6thrust23THRUST_200600_302600_NS16discard_iteratorINS9_11use_defaultEEENS9_5minusIsEEEE10hipError_tPvRmT2_T3_mT4_P12ihipStream_tbEUlT_E_NS1_11comp_targetILNS1_3genE2ELNS1_11target_archE906ELNS1_3gpuE6ELNS1_3repE0EEENS1_30default_config_static_selectorELNS0_4arch9wavefront6targetE1EEEvT1_ ; -- Begin function _ZN7rocprim17ROCPRIM_400000_NS6detail17trampoline_kernelINS0_14default_configENS1_35adjacent_difference_config_selectorILb1EsEEZNS1_24adjacent_difference_implIS3_Lb1ELb0EPsN6thrust23THRUST_200600_302600_NS16discard_iteratorINS9_11use_defaultEEENS9_5minusIsEEEE10hipError_tPvRmT2_T3_mT4_P12ihipStream_tbEUlT_E_NS1_11comp_targetILNS1_3genE2ELNS1_11target_archE906ELNS1_3gpuE6ELNS1_3repE0EEENS1_30default_config_static_selectorELNS0_4arch9wavefront6targetE1EEEvT1_
	.globl	_ZN7rocprim17ROCPRIM_400000_NS6detail17trampoline_kernelINS0_14default_configENS1_35adjacent_difference_config_selectorILb1EsEEZNS1_24adjacent_difference_implIS3_Lb1ELb0EPsN6thrust23THRUST_200600_302600_NS16discard_iteratorINS9_11use_defaultEEENS9_5minusIsEEEE10hipError_tPvRmT2_T3_mT4_P12ihipStream_tbEUlT_E_NS1_11comp_targetILNS1_3genE2ELNS1_11target_archE906ELNS1_3gpuE6ELNS1_3repE0EEENS1_30default_config_static_selectorELNS0_4arch9wavefront6targetE1EEEvT1_
	.p2align	8
	.type	_ZN7rocprim17ROCPRIM_400000_NS6detail17trampoline_kernelINS0_14default_configENS1_35adjacent_difference_config_selectorILb1EsEEZNS1_24adjacent_difference_implIS3_Lb1ELb0EPsN6thrust23THRUST_200600_302600_NS16discard_iteratorINS9_11use_defaultEEENS9_5minusIsEEEE10hipError_tPvRmT2_T3_mT4_P12ihipStream_tbEUlT_E_NS1_11comp_targetILNS1_3genE2ELNS1_11target_archE906ELNS1_3gpuE6ELNS1_3repE0EEENS1_30default_config_static_selectorELNS0_4arch9wavefront6targetE1EEEvT1_,@function
_ZN7rocprim17ROCPRIM_400000_NS6detail17trampoline_kernelINS0_14default_configENS1_35adjacent_difference_config_selectorILb1EsEEZNS1_24adjacent_difference_implIS3_Lb1ELb0EPsN6thrust23THRUST_200600_302600_NS16discard_iteratorINS9_11use_defaultEEENS9_5minusIsEEEE10hipError_tPvRmT2_T3_mT4_P12ihipStream_tbEUlT_E_NS1_11comp_targetILNS1_3genE2ELNS1_11target_archE906ELNS1_3gpuE6ELNS1_3repE0EEENS1_30default_config_static_selectorELNS0_4arch9wavefront6targetE1EEEvT1_: ; @_ZN7rocprim17ROCPRIM_400000_NS6detail17trampoline_kernelINS0_14default_configENS1_35adjacent_difference_config_selectorILb1EsEEZNS1_24adjacent_difference_implIS3_Lb1ELb0EPsN6thrust23THRUST_200600_302600_NS16discard_iteratorINS9_11use_defaultEEENS9_5minusIsEEEE10hipError_tPvRmT2_T3_mT4_P12ihipStream_tbEUlT_E_NS1_11comp_targetILNS1_3genE2ELNS1_11target_archE906ELNS1_3gpuE6ELNS1_3repE0EEENS1_30default_config_static_selectorELNS0_4arch9wavefront6targetE1EEEvT1_
; %bb.0:
	.section	.rodata,"a",@progbits
	.p2align	6, 0x0
	.amdhsa_kernel _ZN7rocprim17ROCPRIM_400000_NS6detail17trampoline_kernelINS0_14default_configENS1_35adjacent_difference_config_selectorILb1EsEEZNS1_24adjacent_difference_implIS3_Lb1ELb0EPsN6thrust23THRUST_200600_302600_NS16discard_iteratorINS9_11use_defaultEEENS9_5minusIsEEEE10hipError_tPvRmT2_T3_mT4_P12ihipStream_tbEUlT_E_NS1_11comp_targetILNS1_3genE2ELNS1_11target_archE906ELNS1_3gpuE6ELNS1_3repE0EEENS1_30default_config_static_selectorELNS0_4arch9wavefront6targetE1EEEvT1_
		.amdhsa_group_segment_fixed_size 0
		.amdhsa_private_segment_fixed_size 0
		.amdhsa_kernarg_size 64
		.amdhsa_user_sgpr_count 2
		.amdhsa_user_sgpr_dispatch_ptr 0
		.amdhsa_user_sgpr_queue_ptr 0
		.amdhsa_user_sgpr_kernarg_segment_ptr 1
		.amdhsa_user_sgpr_dispatch_id 0
		.amdhsa_user_sgpr_kernarg_preload_length 0
		.amdhsa_user_sgpr_kernarg_preload_offset 0
		.amdhsa_user_sgpr_private_segment_size 0
		.amdhsa_uses_dynamic_stack 0
		.amdhsa_enable_private_segment 0
		.amdhsa_system_sgpr_workgroup_id_x 1
		.amdhsa_system_sgpr_workgroup_id_y 0
		.amdhsa_system_sgpr_workgroup_id_z 0
		.amdhsa_system_sgpr_workgroup_info 0
		.amdhsa_system_vgpr_workitem_id 0
		.amdhsa_next_free_vgpr 1
		.amdhsa_next_free_sgpr 0
		.amdhsa_accum_offset 4
		.amdhsa_reserve_vcc 0
		.amdhsa_float_round_mode_32 0
		.amdhsa_float_round_mode_16_64 0
		.amdhsa_float_denorm_mode_32 3
		.amdhsa_float_denorm_mode_16_64 3
		.amdhsa_dx10_clamp 1
		.amdhsa_ieee_mode 1
		.amdhsa_fp16_overflow 0
		.amdhsa_tg_split 0
		.amdhsa_exception_fp_ieee_invalid_op 0
		.amdhsa_exception_fp_denorm_src 0
		.amdhsa_exception_fp_ieee_div_zero 0
		.amdhsa_exception_fp_ieee_overflow 0
		.amdhsa_exception_fp_ieee_underflow 0
		.amdhsa_exception_fp_ieee_inexact 0
		.amdhsa_exception_int_div_zero 0
	.end_amdhsa_kernel
	.section	.text._ZN7rocprim17ROCPRIM_400000_NS6detail17trampoline_kernelINS0_14default_configENS1_35adjacent_difference_config_selectorILb1EsEEZNS1_24adjacent_difference_implIS3_Lb1ELb0EPsN6thrust23THRUST_200600_302600_NS16discard_iteratorINS9_11use_defaultEEENS9_5minusIsEEEE10hipError_tPvRmT2_T3_mT4_P12ihipStream_tbEUlT_E_NS1_11comp_targetILNS1_3genE2ELNS1_11target_archE906ELNS1_3gpuE6ELNS1_3repE0EEENS1_30default_config_static_selectorELNS0_4arch9wavefront6targetE1EEEvT1_,"axG",@progbits,_ZN7rocprim17ROCPRIM_400000_NS6detail17trampoline_kernelINS0_14default_configENS1_35adjacent_difference_config_selectorILb1EsEEZNS1_24adjacent_difference_implIS3_Lb1ELb0EPsN6thrust23THRUST_200600_302600_NS16discard_iteratorINS9_11use_defaultEEENS9_5minusIsEEEE10hipError_tPvRmT2_T3_mT4_P12ihipStream_tbEUlT_E_NS1_11comp_targetILNS1_3genE2ELNS1_11target_archE906ELNS1_3gpuE6ELNS1_3repE0EEENS1_30default_config_static_selectorELNS0_4arch9wavefront6targetE1EEEvT1_,comdat
.Lfunc_end714:
	.size	_ZN7rocprim17ROCPRIM_400000_NS6detail17trampoline_kernelINS0_14default_configENS1_35adjacent_difference_config_selectorILb1EsEEZNS1_24adjacent_difference_implIS3_Lb1ELb0EPsN6thrust23THRUST_200600_302600_NS16discard_iteratorINS9_11use_defaultEEENS9_5minusIsEEEE10hipError_tPvRmT2_T3_mT4_P12ihipStream_tbEUlT_E_NS1_11comp_targetILNS1_3genE2ELNS1_11target_archE906ELNS1_3gpuE6ELNS1_3repE0EEENS1_30default_config_static_selectorELNS0_4arch9wavefront6targetE1EEEvT1_, .Lfunc_end714-_ZN7rocprim17ROCPRIM_400000_NS6detail17trampoline_kernelINS0_14default_configENS1_35adjacent_difference_config_selectorILb1EsEEZNS1_24adjacent_difference_implIS3_Lb1ELb0EPsN6thrust23THRUST_200600_302600_NS16discard_iteratorINS9_11use_defaultEEENS9_5minusIsEEEE10hipError_tPvRmT2_T3_mT4_P12ihipStream_tbEUlT_E_NS1_11comp_targetILNS1_3genE2ELNS1_11target_archE906ELNS1_3gpuE6ELNS1_3repE0EEENS1_30default_config_static_selectorELNS0_4arch9wavefront6targetE1EEEvT1_
                                        ; -- End function
	.section	.AMDGPU.csdata,"",@progbits
; Kernel info:
; codeLenInByte = 0
; NumSgprs: 6
; NumVgprs: 0
; NumAgprs: 0
; TotalNumVgprs: 0
; ScratchSize: 0
; MemoryBound: 0
; FloatMode: 240
; IeeeMode: 1
; LDSByteSize: 0 bytes/workgroup (compile time only)
; SGPRBlocks: 0
; VGPRBlocks: 0
; NumSGPRsForWavesPerEU: 6
; NumVGPRsForWavesPerEU: 1
; AccumOffset: 4
; Occupancy: 8
; WaveLimiterHint : 0
; COMPUTE_PGM_RSRC2:SCRATCH_EN: 0
; COMPUTE_PGM_RSRC2:USER_SGPR: 2
; COMPUTE_PGM_RSRC2:TRAP_HANDLER: 0
; COMPUTE_PGM_RSRC2:TGID_X_EN: 1
; COMPUTE_PGM_RSRC2:TGID_Y_EN: 0
; COMPUTE_PGM_RSRC2:TGID_Z_EN: 0
; COMPUTE_PGM_RSRC2:TIDIG_COMP_CNT: 0
; COMPUTE_PGM_RSRC3_GFX90A:ACCUM_OFFSET: 0
; COMPUTE_PGM_RSRC3_GFX90A:TG_SPLIT: 0
	.section	.text._ZN7rocprim17ROCPRIM_400000_NS6detail17trampoline_kernelINS0_14default_configENS1_35adjacent_difference_config_selectorILb1EsEEZNS1_24adjacent_difference_implIS3_Lb1ELb0EPsN6thrust23THRUST_200600_302600_NS16discard_iteratorINS9_11use_defaultEEENS9_5minusIsEEEE10hipError_tPvRmT2_T3_mT4_P12ihipStream_tbEUlT_E_NS1_11comp_targetILNS1_3genE9ELNS1_11target_archE1100ELNS1_3gpuE3ELNS1_3repE0EEENS1_30default_config_static_selectorELNS0_4arch9wavefront6targetE1EEEvT1_,"axG",@progbits,_ZN7rocprim17ROCPRIM_400000_NS6detail17trampoline_kernelINS0_14default_configENS1_35adjacent_difference_config_selectorILb1EsEEZNS1_24adjacent_difference_implIS3_Lb1ELb0EPsN6thrust23THRUST_200600_302600_NS16discard_iteratorINS9_11use_defaultEEENS9_5minusIsEEEE10hipError_tPvRmT2_T3_mT4_P12ihipStream_tbEUlT_E_NS1_11comp_targetILNS1_3genE9ELNS1_11target_archE1100ELNS1_3gpuE3ELNS1_3repE0EEENS1_30default_config_static_selectorELNS0_4arch9wavefront6targetE1EEEvT1_,comdat
	.protected	_ZN7rocprim17ROCPRIM_400000_NS6detail17trampoline_kernelINS0_14default_configENS1_35adjacent_difference_config_selectorILb1EsEEZNS1_24adjacent_difference_implIS3_Lb1ELb0EPsN6thrust23THRUST_200600_302600_NS16discard_iteratorINS9_11use_defaultEEENS9_5minusIsEEEE10hipError_tPvRmT2_T3_mT4_P12ihipStream_tbEUlT_E_NS1_11comp_targetILNS1_3genE9ELNS1_11target_archE1100ELNS1_3gpuE3ELNS1_3repE0EEENS1_30default_config_static_selectorELNS0_4arch9wavefront6targetE1EEEvT1_ ; -- Begin function _ZN7rocprim17ROCPRIM_400000_NS6detail17trampoline_kernelINS0_14default_configENS1_35adjacent_difference_config_selectorILb1EsEEZNS1_24adjacent_difference_implIS3_Lb1ELb0EPsN6thrust23THRUST_200600_302600_NS16discard_iteratorINS9_11use_defaultEEENS9_5minusIsEEEE10hipError_tPvRmT2_T3_mT4_P12ihipStream_tbEUlT_E_NS1_11comp_targetILNS1_3genE9ELNS1_11target_archE1100ELNS1_3gpuE3ELNS1_3repE0EEENS1_30default_config_static_selectorELNS0_4arch9wavefront6targetE1EEEvT1_
	.globl	_ZN7rocprim17ROCPRIM_400000_NS6detail17trampoline_kernelINS0_14default_configENS1_35adjacent_difference_config_selectorILb1EsEEZNS1_24adjacent_difference_implIS3_Lb1ELb0EPsN6thrust23THRUST_200600_302600_NS16discard_iteratorINS9_11use_defaultEEENS9_5minusIsEEEE10hipError_tPvRmT2_T3_mT4_P12ihipStream_tbEUlT_E_NS1_11comp_targetILNS1_3genE9ELNS1_11target_archE1100ELNS1_3gpuE3ELNS1_3repE0EEENS1_30default_config_static_selectorELNS0_4arch9wavefront6targetE1EEEvT1_
	.p2align	8
	.type	_ZN7rocprim17ROCPRIM_400000_NS6detail17trampoline_kernelINS0_14default_configENS1_35adjacent_difference_config_selectorILb1EsEEZNS1_24adjacent_difference_implIS3_Lb1ELb0EPsN6thrust23THRUST_200600_302600_NS16discard_iteratorINS9_11use_defaultEEENS9_5minusIsEEEE10hipError_tPvRmT2_T3_mT4_P12ihipStream_tbEUlT_E_NS1_11comp_targetILNS1_3genE9ELNS1_11target_archE1100ELNS1_3gpuE3ELNS1_3repE0EEENS1_30default_config_static_selectorELNS0_4arch9wavefront6targetE1EEEvT1_,@function
_ZN7rocprim17ROCPRIM_400000_NS6detail17trampoline_kernelINS0_14default_configENS1_35adjacent_difference_config_selectorILb1EsEEZNS1_24adjacent_difference_implIS3_Lb1ELb0EPsN6thrust23THRUST_200600_302600_NS16discard_iteratorINS9_11use_defaultEEENS9_5minusIsEEEE10hipError_tPvRmT2_T3_mT4_P12ihipStream_tbEUlT_E_NS1_11comp_targetILNS1_3genE9ELNS1_11target_archE1100ELNS1_3gpuE3ELNS1_3repE0EEENS1_30default_config_static_selectorELNS0_4arch9wavefront6targetE1EEEvT1_: ; @_ZN7rocprim17ROCPRIM_400000_NS6detail17trampoline_kernelINS0_14default_configENS1_35adjacent_difference_config_selectorILb1EsEEZNS1_24adjacent_difference_implIS3_Lb1ELb0EPsN6thrust23THRUST_200600_302600_NS16discard_iteratorINS9_11use_defaultEEENS9_5minusIsEEEE10hipError_tPvRmT2_T3_mT4_P12ihipStream_tbEUlT_E_NS1_11comp_targetILNS1_3genE9ELNS1_11target_archE1100ELNS1_3gpuE3ELNS1_3repE0EEENS1_30default_config_static_selectorELNS0_4arch9wavefront6targetE1EEEvT1_
; %bb.0:
	.section	.rodata,"a",@progbits
	.p2align	6, 0x0
	.amdhsa_kernel _ZN7rocprim17ROCPRIM_400000_NS6detail17trampoline_kernelINS0_14default_configENS1_35adjacent_difference_config_selectorILb1EsEEZNS1_24adjacent_difference_implIS3_Lb1ELb0EPsN6thrust23THRUST_200600_302600_NS16discard_iteratorINS9_11use_defaultEEENS9_5minusIsEEEE10hipError_tPvRmT2_T3_mT4_P12ihipStream_tbEUlT_E_NS1_11comp_targetILNS1_3genE9ELNS1_11target_archE1100ELNS1_3gpuE3ELNS1_3repE0EEENS1_30default_config_static_selectorELNS0_4arch9wavefront6targetE1EEEvT1_
		.amdhsa_group_segment_fixed_size 0
		.amdhsa_private_segment_fixed_size 0
		.amdhsa_kernarg_size 64
		.amdhsa_user_sgpr_count 2
		.amdhsa_user_sgpr_dispatch_ptr 0
		.amdhsa_user_sgpr_queue_ptr 0
		.amdhsa_user_sgpr_kernarg_segment_ptr 1
		.amdhsa_user_sgpr_dispatch_id 0
		.amdhsa_user_sgpr_kernarg_preload_length 0
		.amdhsa_user_sgpr_kernarg_preload_offset 0
		.amdhsa_user_sgpr_private_segment_size 0
		.amdhsa_uses_dynamic_stack 0
		.amdhsa_enable_private_segment 0
		.amdhsa_system_sgpr_workgroup_id_x 1
		.amdhsa_system_sgpr_workgroup_id_y 0
		.amdhsa_system_sgpr_workgroup_id_z 0
		.amdhsa_system_sgpr_workgroup_info 0
		.amdhsa_system_vgpr_workitem_id 0
		.amdhsa_next_free_vgpr 1
		.amdhsa_next_free_sgpr 0
		.amdhsa_accum_offset 4
		.amdhsa_reserve_vcc 0
		.amdhsa_float_round_mode_32 0
		.amdhsa_float_round_mode_16_64 0
		.amdhsa_float_denorm_mode_32 3
		.amdhsa_float_denorm_mode_16_64 3
		.amdhsa_dx10_clamp 1
		.amdhsa_ieee_mode 1
		.amdhsa_fp16_overflow 0
		.amdhsa_tg_split 0
		.amdhsa_exception_fp_ieee_invalid_op 0
		.amdhsa_exception_fp_denorm_src 0
		.amdhsa_exception_fp_ieee_div_zero 0
		.amdhsa_exception_fp_ieee_overflow 0
		.amdhsa_exception_fp_ieee_underflow 0
		.amdhsa_exception_fp_ieee_inexact 0
		.amdhsa_exception_int_div_zero 0
	.end_amdhsa_kernel
	.section	.text._ZN7rocprim17ROCPRIM_400000_NS6detail17trampoline_kernelINS0_14default_configENS1_35adjacent_difference_config_selectorILb1EsEEZNS1_24adjacent_difference_implIS3_Lb1ELb0EPsN6thrust23THRUST_200600_302600_NS16discard_iteratorINS9_11use_defaultEEENS9_5minusIsEEEE10hipError_tPvRmT2_T3_mT4_P12ihipStream_tbEUlT_E_NS1_11comp_targetILNS1_3genE9ELNS1_11target_archE1100ELNS1_3gpuE3ELNS1_3repE0EEENS1_30default_config_static_selectorELNS0_4arch9wavefront6targetE1EEEvT1_,"axG",@progbits,_ZN7rocprim17ROCPRIM_400000_NS6detail17trampoline_kernelINS0_14default_configENS1_35adjacent_difference_config_selectorILb1EsEEZNS1_24adjacent_difference_implIS3_Lb1ELb0EPsN6thrust23THRUST_200600_302600_NS16discard_iteratorINS9_11use_defaultEEENS9_5minusIsEEEE10hipError_tPvRmT2_T3_mT4_P12ihipStream_tbEUlT_E_NS1_11comp_targetILNS1_3genE9ELNS1_11target_archE1100ELNS1_3gpuE3ELNS1_3repE0EEENS1_30default_config_static_selectorELNS0_4arch9wavefront6targetE1EEEvT1_,comdat
.Lfunc_end715:
	.size	_ZN7rocprim17ROCPRIM_400000_NS6detail17trampoline_kernelINS0_14default_configENS1_35adjacent_difference_config_selectorILb1EsEEZNS1_24adjacent_difference_implIS3_Lb1ELb0EPsN6thrust23THRUST_200600_302600_NS16discard_iteratorINS9_11use_defaultEEENS9_5minusIsEEEE10hipError_tPvRmT2_T3_mT4_P12ihipStream_tbEUlT_E_NS1_11comp_targetILNS1_3genE9ELNS1_11target_archE1100ELNS1_3gpuE3ELNS1_3repE0EEENS1_30default_config_static_selectorELNS0_4arch9wavefront6targetE1EEEvT1_, .Lfunc_end715-_ZN7rocprim17ROCPRIM_400000_NS6detail17trampoline_kernelINS0_14default_configENS1_35adjacent_difference_config_selectorILb1EsEEZNS1_24adjacent_difference_implIS3_Lb1ELb0EPsN6thrust23THRUST_200600_302600_NS16discard_iteratorINS9_11use_defaultEEENS9_5minusIsEEEE10hipError_tPvRmT2_T3_mT4_P12ihipStream_tbEUlT_E_NS1_11comp_targetILNS1_3genE9ELNS1_11target_archE1100ELNS1_3gpuE3ELNS1_3repE0EEENS1_30default_config_static_selectorELNS0_4arch9wavefront6targetE1EEEvT1_
                                        ; -- End function
	.section	.AMDGPU.csdata,"",@progbits
; Kernel info:
; codeLenInByte = 0
; NumSgprs: 6
; NumVgprs: 0
; NumAgprs: 0
; TotalNumVgprs: 0
; ScratchSize: 0
; MemoryBound: 0
; FloatMode: 240
; IeeeMode: 1
; LDSByteSize: 0 bytes/workgroup (compile time only)
; SGPRBlocks: 0
; VGPRBlocks: 0
; NumSGPRsForWavesPerEU: 6
; NumVGPRsForWavesPerEU: 1
; AccumOffset: 4
; Occupancy: 8
; WaveLimiterHint : 0
; COMPUTE_PGM_RSRC2:SCRATCH_EN: 0
; COMPUTE_PGM_RSRC2:USER_SGPR: 2
; COMPUTE_PGM_RSRC2:TRAP_HANDLER: 0
; COMPUTE_PGM_RSRC2:TGID_X_EN: 1
; COMPUTE_PGM_RSRC2:TGID_Y_EN: 0
; COMPUTE_PGM_RSRC2:TGID_Z_EN: 0
; COMPUTE_PGM_RSRC2:TIDIG_COMP_CNT: 0
; COMPUTE_PGM_RSRC3_GFX90A:ACCUM_OFFSET: 0
; COMPUTE_PGM_RSRC3_GFX90A:TG_SPLIT: 0
	.section	.text._ZN7rocprim17ROCPRIM_400000_NS6detail17trampoline_kernelINS0_14default_configENS1_35adjacent_difference_config_selectorILb1EsEEZNS1_24adjacent_difference_implIS3_Lb1ELb0EPsN6thrust23THRUST_200600_302600_NS16discard_iteratorINS9_11use_defaultEEENS9_5minusIsEEEE10hipError_tPvRmT2_T3_mT4_P12ihipStream_tbEUlT_E_NS1_11comp_targetILNS1_3genE8ELNS1_11target_archE1030ELNS1_3gpuE2ELNS1_3repE0EEENS1_30default_config_static_selectorELNS0_4arch9wavefront6targetE1EEEvT1_,"axG",@progbits,_ZN7rocprim17ROCPRIM_400000_NS6detail17trampoline_kernelINS0_14default_configENS1_35adjacent_difference_config_selectorILb1EsEEZNS1_24adjacent_difference_implIS3_Lb1ELb0EPsN6thrust23THRUST_200600_302600_NS16discard_iteratorINS9_11use_defaultEEENS9_5minusIsEEEE10hipError_tPvRmT2_T3_mT4_P12ihipStream_tbEUlT_E_NS1_11comp_targetILNS1_3genE8ELNS1_11target_archE1030ELNS1_3gpuE2ELNS1_3repE0EEENS1_30default_config_static_selectorELNS0_4arch9wavefront6targetE1EEEvT1_,comdat
	.protected	_ZN7rocprim17ROCPRIM_400000_NS6detail17trampoline_kernelINS0_14default_configENS1_35adjacent_difference_config_selectorILb1EsEEZNS1_24adjacent_difference_implIS3_Lb1ELb0EPsN6thrust23THRUST_200600_302600_NS16discard_iteratorINS9_11use_defaultEEENS9_5minusIsEEEE10hipError_tPvRmT2_T3_mT4_P12ihipStream_tbEUlT_E_NS1_11comp_targetILNS1_3genE8ELNS1_11target_archE1030ELNS1_3gpuE2ELNS1_3repE0EEENS1_30default_config_static_selectorELNS0_4arch9wavefront6targetE1EEEvT1_ ; -- Begin function _ZN7rocprim17ROCPRIM_400000_NS6detail17trampoline_kernelINS0_14default_configENS1_35adjacent_difference_config_selectorILb1EsEEZNS1_24adjacent_difference_implIS3_Lb1ELb0EPsN6thrust23THRUST_200600_302600_NS16discard_iteratorINS9_11use_defaultEEENS9_5minusIsEEEE10hipError_tPvRmT2_T3_mT4_P12ihipStream_tbEUlT_E_NS1_11comp_targetILNS1_3genE8ELNS1_11target_archE1030ELNS1_3gpuE2ELNS1_3repE0EEENS1_30default_config_static_selectorELNS0_4arch9wavefront6targetE1EEEvT1_
	.globl	_ZN7rocprim17ROCPRIM_400000_NS6detail17trampoline_kernelINS0_14default_configENS1_35adjacent_difference_config_selectorILb1EsEEZNS1_24adjacent_difference_implIS3_Lb1ELb0EPsN6thrust23THRUST_200600_302600_NS16discard_iteratorINS9_11use_defaultEEENS9_5minusIsEEEE10hipError_tPvRmT2_T3_mT4_P12ihipStream_tbEUlT_E_NS1_11comp_targetILNS1_3genE8ELNS1_11target_archE1030ELNS1_3gpuE2ELNS1_3repE0EEENS1_30default_config_static_selectorELNS0_4arch9wavefront6targetE1EEEvT1_
	.p2align	8
	.type	_ZN7rocprim17ROCPRIM_400000_NS6detail17trampoline_kernelINS0_14default_configENS1_35adjacent_difference_config_selectorILb1EsEEZNS1_24adjacent_difference_implIS3_Lb1ELb0EPsN6thrust23THRUST_200600_302600_NS16discard_iteratorINS9_11use_defaultEEENS9_5minusIsEEEE10hipError_tPvRmT2_T3_mT4_P12ihipStream_tbEUlT_E_NS1_11comp_targetILNS1_3genE8ELNS1_11target_archE1030ELNS1_3gpuE2ELNS1_3repE0EEENS1_30default_config_static_selectorELNS0_4arch9wavefront6targetE1EEEvT1_,@function
_ZN7rocprim17ROCPRIM_400000_NS6detail17trampoline_kernelINS0_14default_configENS1_35adjacent_difference_config_selectorILb1EsEEZNS1_24adjacent_difference_implIS3_Lb1ELb0EPsN6thrust23THRUST_200600_302600_NS16discard_iteratorINS9_11use_defaultEEENS9_5minusIsEEEE10hipError_tPvRmT2_T3_mT4_P12ihipStream_tbEUlT_E_NS1_11comp_targetILNS1_3genE8ELNS1_11target_archE1030ELNS1_3gpuE2ELNS1_3repE0EEENS1_30default_config_static_selectorELNS0_4arch9wavefront6targetE1EEEvT1_: ; @_ZN7rocprim17ROCPRIM_400000_NS6detail17trampoline_kernelINS0_14default_configENS1_35adjacent_difference_config_selectorILb1EsEEZNS1_24adjacent_difference_implIS3_Lb1ELb0EPsN6thrust23THRUST_200600_302600_NS16discard_iteratorINS9_11use_defaultEEENS9_5minusIsEEEE10hipError_tPvRmT2_T3_mT4_P12ihipStream_tbEUlT_E_NS1_11comp_targetILNS1_3genE8ELNS1_11target_archE1030ELNS1_3gpuE2ELNS1_3repE0EEENS1_30default_config_static_selectorELNS0_4arch9wavefront6targetE1EEEvT1_
; %bb.0:
	.section	.rodata,"a",@progbits
	.p2align	6, 0x0
	.amdhsa_kernel _ZN7rocprim17ROCPRIM_400000_NS6detail17trampoline_kernelINS0_14default_configENS1_35adjacent_difference_config_selectorILb1EsEEZNS1_24adjacent_difference_implIS3_Lb1ELb0EPsN6thrust23THRUST_200600_302600_NS16discard_iteratorINS9_11use_defaultEEENS9_5minusIsEEEE10hipError_tPvRmT2_T3_mT4_P12ihipStream_tbEUlT_E_NS1_11comp_targetILNS1_3genE8ELNS1_11target_archE1030ELNS1_3gpuE2ELNS1_3repE0EEENS1_30default_config_static_selectorELNS0_4arch9wavefront6targetE1EEEvT1_
		.amdhsa_group_segment_fixed_size 0
		.amdhsa_private_segment_fixed_size 0
		.amdhsa_kernarg_size 64
		.amdhsa_user_sgpr_count 2
		.amdhsa_user_sgpr_dispatch_ptr 0
		.amdhsa_user_sgpr_queue_ptr 0
		.amdhsa_user_sgpr_kernarg_segment_ptr 1
		.amdhsa_user_sgpr_dispatch_id 0
		.amdhsa_user_sgpr_kernarg_preload_length 0
		.amdhsa_user_sgpr_kernarg_preload_offset 0
		.amdhsa_user_sgpr_private_segment_size 0
		.amdhsa_uses_dynamic_stack 0
		.amdhsa_enable_private_segment 0
		.amdhsa_system_sgpr_workgroup_id_x 1
		.amdhsa_system_sgpr_workgroup_id_y 0
		.amdhsa_system_sgpr_workgroup_id_z 0
		.amdhsa_system_sgpr_workgroup_info 0
		.amdhsa_system_vgpr_workitem_id 0
		.amdhsa_next_free_vgpr 1
		.amdhsa_next_free_sgpr 0
		.amdhsa_accum_offset 4
		.amdhsa_reserve_vcc 0
		.amdhsa_float_round_mode_32 0
		.amdhsa_float_round_mode_16_64 0
		.amdhsa_float_denorm_mode_32 3
		.amdhsa_float_denorm_mode_16_64 3
		.amdhsa_dx10_clamp 1
		.amdhsa_ieee_mode 1
		.amdhsa_fp16_overflow 0
		.amdhsa_tg_split 0
		.amdhsa_exception_fp_ieee_invalid_op 0
		.amdhsa_exception_fp_denorm_src 0
		.amdhsa_exception_fp_ieee_div_zero 0
		.amdhsa_exception_fp_ieee_overflow 0
		.amdhsa_exception_fp_ieee_underflow 0
		.amdhsa_exception_fp_ieee_inexact 0
		.amdhsa_exception_int_div_zero 0
	.end_amdhsa_kernel
	.section	.text._ZN7rocprim17ROCPRIM_400000_NS6detail17trampoline_kernelINS0_14default_configENS1_35adjacent_difference_config_selectorILb1EsEEZNS1_24adjacent_difference_implIS3_Lb1ELb0EPsN6thrust23THRUST_200600_302600_NS16discard_iteratorINS9_11use_defaultEEENS9_5minusIsEEEE10hipError_tPvRmT2_T3_mT4_P12ihipStream_tbEUlT_E_NS1_11comp_targetILNS1_3genE8ELNS1_11target_archE1030ELNS1_3gpuE2ELNS1_3repE0EEENS1_30default_config_static_selectorELNS0_4arch9wavefront6targetE1EEEvT1_,"axG",@progbits,_ZN7rocprim17ROCPRIM_400000_NS6detail17trampoline_kernelINS0_14default_configENS1_35adjacent_difference_config_selectorILb1EsEEZNS1_24adjacent_difference_implIS3_Lb1ELb0EPsN6thrust23THRUST_200600_302600_NS16discard_iteratorINS9_11use_defaultEEENS9_5minusIsEEEE10hipError_tPvRmT2_T3_mT4_P12ihipStream_tbEUlT_E_NS1_11comp_targetILNS1_3genE8ELNS1_11target_archE1030ELNS1_3gpuE2ELNS1_3repE0EEENS1_30default_config_static_selectorELNS0_4arch9wavefront6targetE1EEEvT1_,comdat
.Lfunc_end716:
	.size	_ZN7rocprim17ROCPRIM_400000_NS6detail17trampoline_kernelINS0_14default_configENS1_35adjacent_difference_config_selectorILb1EsEEZNS1_24adjacent_difference_implIS3_Lb1ELb0EPsN6thrust23THRUST_200600_302600_NS16discard_iteratorINS9_11use_defaultEEENS9_5minusIsEEEE10hipError_tPvRmT2_T3_mT4_P12ihipStream_tbEUlT_E_NS1_11comp_targetILNS1_3genE8ELNS1_11target_archE1030ELNS1_3gpuE2ELNS1_3repE0EEENS1_30default_config_static_selectorELNS0_4arch9wavefront6targetE1EEEvT1_, .Lfunc_end716-_ZN7rocprim17ROCPRIM_400000_NS6detail17trampoline_kernelINS0_14default_configENS1_35adjacent_difference_config_selectorILb1EsEEZNS1_24adjacent_difference_implIS3_Lb1ELb0EPsN6thrust23THRUST_200600_302600_NS16discard_iteratorINS9_11use_defaultEEENS9_5minusIsEEEE10hipError_tPvRmT2_T3_mT4_P12ihipStream_tbEUlT_E_NS1_11comp_targetILNS1_3genE8ELNS1_11target_archE1030ELNS1_3gpuE2ELNS1_3repE0EEENS1_30default_config_static_selectorELNS0_4arch9wavefront6targetE1EEEvT1_
                                        ; -- End function
	.section	.AMDGPU.csdata,"",@progbits
; Kernel info:
; codeLenInByte = 0
; NumSgprs: 6
; NumVgprs: 0
; NumAgprs: 0
; TotalNumVgprs: 0
; ScratchSize: 0
; MemoryBound: 0
; FloatMode: 240
; IeeeMode: 1
; LDSByteSize: 0 bytes/workgroup (compile time only)
; SGPRBlocks: 0
; VGPRBlocks: 0
; NumSGPRsForWavesPerEU: 6
; NumVGPRsForWavesPerEU: 1
; AccumOffset: 4
; Occupancy: 8
; WaveLimiterHint : 0
; COMPUTE_PGM_RSRC2:SCRATCH_EN: 0
; COMPUTE_PGM_RSRC2:USER_SGPR: 2
; COMPUTE_PGM_RSRC2:TRAP_HANDLER: 0
; COMPUTE_PGM_RSRC2:TGID_X_EN: 1
; COMPUTE_PGM_RSRC2:TGID_Y_EN: 0
; COMPUTE_PGM_RSRC2:TGID_Z_EN: 0
; COMPUTE_PGM_RSRC2:TIDIG_COMP_CNT: 0
; COMPUTE_PGM_RSRC3_GFX90A:ACCUM_OFFSET: 0
; COMPUTE_PGM_RSRC3_GFX90A:TG_SPLIT: 0
	.section	.text._ZN7rocprim17ROCPRIM_400000_NS6detail17trampoline_kernelINS0_14default_configENS1_25transform_config_selectorItLb0EEEZNS1_14transform_implILb0ES3_S5_NS0_18transform_iteratorINS0_17counting_iteratorImlEEZNS1_24adjacent_difference_implIS3_Lb1ELb0EPtN6thrust23THRUST_200600_302600_NS16discard_iteratorINSD_11use_defaultEEENSD_5minusItEEEE10hipError_tPvRmT2_T3_mT4_P12ihipStream_tbEUlmE_tEESB_NS0_8identityIvEEEESJ_SM_SN_mSO_SQ_bEUlT_E_NS1_11comp_targetILNS1_3genE0ELNS1_11target_archE4294967295ELNS1_3gpuE0ELNS1_3repE0EEENS1_30default_config_static_selectorELNS0_4arch9wavefront6targetE1EEEvT1_,"axG",@progbits,_ZN7rocprim17ROCPRIM_400000_NS6detail17trampoline_kernelINS0_14default_configENS1_25transform_config_selectorItLb0EEEZNS1_14transform_implILb0ES3_S5_NS0_18transform_iteratorINS0_17counting_iteratorImlEEZNS1_24adjacent_difference_implIS3_Lb1ELb0EPtN6thrust23THRUST_200600_302600_NS16discard_iteratorINSD_11use_defaultEEENSD_5minusItEEEE10hipError_tPvRmT2_T3_mT4_P12ihipStream_tbEUlmE_tEESB_NS0_8identityIvEEEESJ_SM_SN_mSO_SQ_bEUlT_E_NS1_11comp_targetILNS1_3genE0ELNS1_11target_archE4294967295ELNS1_3gpuE0ELNS1_3repE0EEENS1_30default_config_static_selectorELNS0_4arch9wavefront6targetE1EEEvT1_,comdat
	.protected	_ZN7rocprim17ROCPRIM_400000_NS6detail17trampoline_kernelINS0_14default_configENS1_25transform_config_selectorItLb0EEEZNS1_14transform_implILb0ES3_S5_NS0_18transform_iteratorINS0_17counting_iteratorImlEEZNS1_24adjacent_difference_implIS3_Lb1ELb0EPtN6thrust23THRUST_200600_302600_NS16discard_iteratorINSD_11use_defaultEEENSD_5minusItEEEE10hipError_tPvRmT2_T3_mT4_P12ihipStream_tbEUlmE_tEESB_NS0_8identityIvEEEESJ_SM_SN_mSO_SQ_bEUlT_E_NS1_11comp_targetILNS1_3genE0ELNS1_11target_archE4294967295ELNS1_3gpuE0ELNS1_3repE0EEENS1_30default_config_static_selectorELNS0_4arch9wavefront6targetE1EEEvT1_ ; -- Begin function _ZN7rocprim17ROCPRIM_400000_NS6detail17trampoline_kernelINS0_14default_configENS1_25transform_config_selectorItLb0EEEZNS1_14transform_implILb0ES3_S5_NS0_18transform_iteratorINS0_17counting_iteratorImlEEZNS1_24adjacent_difference_implIS3_Lb1ELb0EPtN6thrust23THRUST_200600_302600_NS16discard_iteratorINSD_11use_defaultEEENSD_5minusItEEEE10hipError_tPvRmT2_T3_mT4_P12ihipStream_tbEUlmE_tEESB_NS0_8identityIvEEEESJ_SM_SN_mSO_SQ_bEUlT_E_NS1_11comp_targetILNS1_3genE0ELNS1_11target_archE4294967295ELNS1_3gpuE0ELNS1_3repE0EEENS1_30default_config_static_selectorELNS0_4arch9wavefront6targetE1EEEvT1_
	.globl	_ZN7rocprim17ROCPRIM_400000_NS6detail17trampoline_kernelINS0_14default_configENS1_25transform_config_selectorItLb0EEEZNS1_14transform_implILb0ES3_S5_NS0_18transform_iteratorINS0_17counting_iteratorImlEEZNS1_24adjacent_difference_implIS3_Lb1ELb0EPtN6thrust23THRUST_200600_302600_NS16discard_iteratorINSD_11use_defaultEEENSD_5minusItEEEE10hipError_tPvRmT2_T3_mT4_P12ihipStream_tbEUlmE_tEESB_NS0_8identityIvEEEESJ_SM_SN_mSO_SQ_bEUlT_E_NS1_11comp_targetILNS1_3genE0ELNS1_11target_archE4294967295ELNS1_3gpuE0ELNS1_3repE0EEENS1_30default_config_static_selectorELNS0_4arch9wavefront6targetE1EEEvT1_
	.p2align	8
	.type	_ZN7rocprim17ROCPRIM_400000_NS6detail17trampoline_kernelINS0_14default_configENS1_25transform_config_selectorItLb0EEEZNS1_14transform_implILb0ES3_S5_NS0_18transform_iteratorINS0_17counting_iteratorImlEEZNS1_24adjacent_difference_implIS3_Lb1ELb0EPtN6thrust23THRUST_200600_302600_NS16discard_iteratorINSD_11use_defaultEEENSD_5minusItEEEE10hipError_tPvRmT2_T3_mT4_P12ihipStream_tbEUlmE_tEESB_NS0_8identityIvEEEESJ_SM_SN_mSO_SQ_bEUlT_E_NS1_11comp_targetILNS1_3genE0ELNS1_11target_archE4294967295ELNS1_3gpuE0ELNS1_3repE0EEENS1_30default_config_static_selectorELNS0_4arch9wavefront6targetE1EEEvT1_,@function
_ZN7rocprim17ROCPRIM_400000_NS6detail17trampoline_kernelINS0_14default_configENS1_25transform_config_selectorItLb0EEEZNS1_14transform_implILb0ES3_S5_NS0_18transform_iteratorINS0_17counting_iteratorImlEEZNS1_24adjacent_difference_implIS3_Lb1ELb0EPtN6thrust23THRUST_200600_302600_NS16discard_iteratorINSD_11use_defaultEEENSD_5minusItEEEE10hipError_tPvRmT2_T3_mT4_P12ihipStream_tbEUlmE_tEESB_NS0_8identityIvEEEESJ_SM_SN_mSO_SQ_bEUlT_E_NS1_11comp_targetILNS1_3genE0ELNS1_11target_archE4294967295ELNS1_3gpuE0ELNS1_3repE0EEENS1_30default_config_static_selectorELNS0_4arch9wavefront6targetE1EEEvT1_: ; @_ZN7rocprim17ROCPRIM_400000_NS6detail17trampoline_kernelINS0_14default_configENS1_25transform_config_selectorItLb0EEEZNS1_14transform_implILb0ES3_S5_NS0_18transform_iteratorINS0_17counting_iteratorImlEEZNS1_24adjacent_difference_implIS3_Lb1ELb0EPtN6thrust23THRUST_200600_302600_NS16discard_iteratorINSD_11use_defaultEEENSD_5minusItEEEE10hipError_tPvRmT2_T3_mT4_P12ihipStream_tbEUlmE_tEESB_NS0_8identityIvEEEESJ_SM_SN_mSO_SQ_bEUlT_E_NS1_11comp_targetILNS1_3genE0ELNS1_11target_archE4294967295ELNS1_3gpuE0ELNS1_3repE0EEENS1_30default_config_static_selectorELNS0_4arch9wavefront6targetE1EEEvT1_
; %bb.0:
	.section	.rodata,"a",@progbits
	.p2align	6, 0x0
	.amdhsa_kernel _ZN7rocprim17ROCPRIM_400000_NS6detail17trampoline_kernelINS0_14default_configENS1_25transform_config_selectorItLb0EEEZNS1_14transform_implILb0ES3_S5_NS0_18transform_iteratorINS0_17counting_iteratorImlEEZNS1_24adjacent_difference_implIS3_Lb1ELb0EPtN6thrust23THRUST_200600_302600_NS16discard_iteratorINSD_11use_defaultEEENSD_5minusItEEEE10hipError_tPvRmT2_T3_mT4_P12ihipStream_tbEUlmE_tEESB_NS0_8identityIvEEEESJ_SM_SN_mSO_SQ_bEUlT_E_NS1_11comp_targetILNS1_3genE0ELNS1_11target_archE4294967295ELNS1_3gpuE0ELNS1_3repE0EEENS1_30default_config_static_selectorELNS0_4arch9wavefront6targetE1EEEvT1_
		.amdhsa_group_segment_fixed_size 0
		.amdhsa_private_segment_fixed_size 0
		.amdhsa_kernarg_size 56
		.amdhsa_user_sgpr_count 2
		.amdhsa_user_sgpr_dispatch_ptr 0
		.amdhsa_user_sgpr_queue_ptr 0
		.amdhsa_user_sgpr_kernarg_segment_ptr 1
		.amdhsa_user_sgpr_dispatch_id 0
		.amdhsa_user_sgpr_kernarg_preload_length 0
		.amdhsa_user_sgpr_kernarg_preload_offset 0
		.amdhsa_user_sgpr_private_segment_size 0
		.amdhsa_uses_dynamic_stack 0
		.amdhsa_enable_private_segment 0
		.amdhsa_system_sgpr_workgroup_id_x 1
		.amdhsa_system_sgpr_workgroup_id_y 0
		.amdhsa_system_sgpr_workgroup_id_z 0
		.amdhsa_system_sgpr_workgroup_info 0
		.amdhsa_system_vgpr_workitem_id 0
		.amdhsa_next_free_vgpr 1
		.amdhsa_next_free_sgpr 0
		.amdhsa_accum_offset 4
		.amdhsa_reserve_vcc 0
		.amdhsa_float_round_mode_32 0
		.amdhsa_float_round_mode_16_64 0
		.amdhsa_float_denorm_mode_32 3
		.amdhsa_float_denorm_mode_16_64 3
		.amdhsa_dx10_clamp 1
		.amdhsa_ieee_mode 1
		.amdhsa_fp16_overflow 0
		.amdhsa_tg_split 0
		.amdhsa_exception_fp_ieee_invalid_op 0
		.amdhsa_exception_fp_denorm_src 0
		.amdhsa_exception_fp_ieee_div_zero 0
		.amdhsa_exception_fp_ieee_overflow 0
		.amdhsa_exception_fp_ieee_underflow 0
		.amdhsa_exception_fp_ieee_inexact 0
		.amdhsa_exception_int_div_zero 0
	.end_amdhsa_kernel
	.section	.text._ZN7rocprim17ROCPRIM_400000_NS6detail17trampoline_kernelINS0_14default_configENS1_25transform_config_selectorItLb0EEEZNS1_14transform_implILb0ES3_S5_NS0_18transform_iteratorINS0_17counting_iteratorImlEEZNS1_24adjacent_difference_implIS3_Lb1ELb0EPtN6thrust23THRUST_200600_302600_NS16discard_iteratorINSD_11use_defaultEEENSD_5minusItEEEE10hipError_tPvRmT2_T3_mT4_P12ihipStream_tbEUlmE_tEESB_NS0_8identityIvEEEESJ_SM_SN_mSO_SQ_bEUlT_E_NS1_11comp_targetILNS1_3genE0ELNS1_11target_archE4294967295ELNS1_3gpuE0ELNS1_3repE0EEENS1_30default_config_static_selectorELNS0_4arch9wavefront6targetE1EEEvT1_,"axG",@progbits,_ZN7rocprim17ROCPRIM_400000_NS6detail17trampoline_kernelINS0_14default_configENS1_25transform_config_selectorItLb0EEEZNS1_14transform_implILb0ES3_S5_NS0_18transform_iteratorINS0_17counting_iteratorImlEEZNS1_24adjacent_difference_implIS3_Lb1ELb0EPtN6thrust23THRUST_200600_302600_NS16discard_iteratorINSD_11use_defaultEEENSD_5minusItEEEE10hipError_tPvRmT2_T3_mT4_P12ihipStream_tbEUlmE_tEESB_NS0_8identityIvEEEESJ_SM_SN_mSO_SQ_bEUlT_E_NS1_11comp_targetILNS1_3genE0ELNS1_11target_archE4294967295ELNS1_3gpuE0ELNS1_3repE0EEENS1_30default_config_static_selectorELNS0_4arch9wavefront6targetE1EEEvT1_,comdat
.Lfunc_end717:
	.size	_ZN7rocprim17ROCPRIM_400000_NS6detail17trampoline_kernelINS0_14default_configENS1_25transform_config_selectorItLb0EEEZNS1_14transform_implILb0ES3_S5_NS0_18transform_iteratorINS0_17counting_iteratorImlEEZNS1_24adjacent_difference_implIS3_Lb1ELb0EPtN6thrust23THRUST_200600_302600_NS16discard_iteratorINSD_11use_defaultEEENSD_5minusItEEEE10hipError_tPvRmT2_T3_mT4_P12ihipStream_tbEUlmE_tEESB_NS0_8identityIvEEEESJ_SM_SN_mSO_SQ_bEUlT_E_NS1_11comp_targetILNS1_3genE0ELNS1_11target_archE4294967295ELNS1_3gpuE0ELNS1_3repE0EEENS1_30default_config_static_selectorELNS0_4arch9wavefront6targetE1EEEvT1_, .Lfunc_end717-_ZN7rocprim17ROCPRIM_400000_NS6detail17trampoline_kernelINS0_14default_configENS1_25transform_config_selectorItLb0EEEZNS1_14transform_implILb0ES3_S5_NS0_18transform_iteratorINS0_17counting_iteratorImlEEZNS1_24adjacent_difference_implIS3_Lb1ELb0EPtN6thrust23THRUST_200600_302600_NS16discard_iteratorINSD_11use_defaultEEENSD_5minusItEEEE10hipError_tPvRmT2_T3_mT4_P12ihipStream_tbEUlmE_tEESB_NS0_8identityIvEEEESJ_SM_SN_mSO_SQ_bEUlT_E_NS1_11comp_targetILNS1_3genE0ELNS1_11target_archE4294967295ELNS1_3gpuE0ELNS1_3repE0EEENS1_30default_config_static_selectorELNS0_4arch9wavefront6targetE1EEEvT1_
                                        ; -- End function
	.section	.AMDGPU.csdata,"",@progbits
; Kernel info:
; codeLenInByte = 0
; NumSgprs: 6
; NumVgprs: 0
; NumAgprs: 0
; TotalNumVgprs: 0
; ScratchSize: 0
; MemoryBound: 0
; FloatMode: 240
; IeeeMode: 1
; LDSByteSize: 0 bytes/workgroup (compile time only)
; SGPRBlocks: 0
; VGPRBlocks: 0
; NumSGPRsForWavesPerEU: 6
; NumVGPRsForWavesPerEU: 1
; AccumOffset: 4
; Occupancy: 8
; WaveLimiterHint : 0
; COMPUTE_PGM_RSRC2:SCRATCH_EN: 0
; COMPUTE_PGM_RSRC2:USER_SGPR: 2
; COMPUTE_PGM_RSRC2:TRAP_HANDLER: 0
; COMPUTE_PGM_RSRC2:TGID_X_EN: 1
; COMPUTE_PGM_RSRC2:TGID_Y_EN: 0
; COMPUTE_PGM_RSRC2:TGID_Z_EN: 0
; COMPUTE_PGM_RSRC2:TIDIG_COMP_CNT: 0
; COMPUTE_PGM_RSRC3_GFX90A:ACCUM_OFFSET: 0
; COMPUTE_PGM_RSRC3_GFX90A:TG_SPLIT: 0
	.section	.text._ZN7rocprim17ROCPRIM_400000_NS6detail17trampoline_kernelINS0_14default_configENS1_25transform_config_selectorItLb0EEEZNS1_14transform_implILb0ES3_S5_NS0_18transform_iteratorINS0_17counting_iteratorImlEEZNS1_24adjacent_difference_implIS3_Lb1ELb0EPtN6thrust23THRUST_200600_302600_NS16discard_iteratorINSD_11use_defaultEEENSD_5minusItEEEE10hipError_tPvRmT2_T3_mT4_P12ihipStream_tbEUlmE_tEESB_NS0_8identityIvEEEESJ_SM_SN_mSO_SQ_bEUlT_E_NS1_11comp_targetILNS1_3genE5ELNS1_11target_archE942ELNS1_3gpuE9ELNS1_3repE0EEENS1_30default_config_static_selectorELNS0_4arch9wavefront6targetE1EEEvT1_,"axG",@progbits,_ZN7rocprim17ROCPRIM_400000_NS6detail17trampoline_kernelINS0_14default_configENS1_25transform_config_selectorItLb0EEEZNS1_14transform_implILb0ES3_S5_NS0_18transform_iteratorINS0_17counting_iteratorImlEEZNS1_24adjacent_difference_implIS3_Lb1ELb0EPtN6thrust23THRUST_200600_302600_NS16discard_iteratorINSD_11use_defaultEEENSD_5minusItEEEE10hipError_tPvRmT2_T3_mT4_P12ihipStream_tbEUlmE_tEESB_NS0_8identityIvEEEESJ_SM_SN_mSO_SQ_bEUlT_E_NS1_11comp_targetILNS1_3genE5ELNS1_11target_archE942ELNS1_3gpuE9ELNS1_3repE0EEENS1_30default_config_static_selectorELNS0_4arch9wavefront6targetE1EEEvT1_,comdat
	.protected	_ZN7rocprim17ROCPRIM_400000_NS6detail17trampoline_kernelINS0_14default_configENS1_25transform_config_selectorItLb0EEEZNS1_14transform_implILb0ES3_S5_NS0_18transform_iteratorINS0_17counting_iteratorImlEEZNS1_24adjacent_difference_implIS3_Lb1ELb0EPtN6thrust23THRUST_200600_302600_NS16discard_iteratorINSD_11use_defaultEEENSD_5minusItEEEE10hipError_tPvRmT2_T3_mT4_P12ihipStream_tbEUlmE_tEESB_NS0_8identityIvEEEESJ_SM_SN_mSO_SQ_bEUlT_E_NS1_11comp_targetILNS1_3genE5ELNS1_11target_archE942ELNS1_3gpuE9ELNS1_3repE0EEENS1_30default_config_static_selectorELNS0_4arch9wavefront6targetE1EEEvT1_ ; -- Begin function _ZN7rocprim17ROCPRIM_400000_NS6detail17trampoline_kernelINS0_14default_configENS1_25transform_config_selectorItLb0EEEZNS1_14transform_implILb0ES3_S5_NS0_18transform_iteratorINS0_17counting_iteratorImlEEZNS1_24adjacent_difference_implIS3_Lb1ELb0EPtN6thrust23THRUST_200600_302600_NS16discard_iteratorINSD_11use_defaultEEENSD_5minusItEEEE10hipError_tPvRmT2_T3_mT4_P12ihipStream_tbEUlmE_tEESB_NS0_8identityIvEEEESJ_SM_SN_mSO_SQ_bEUlT_E_NS1_11comp_targetILNS1_3genE5ELNS1_11target_archE942ELNS1_3gpuE9ELNS1_3repE0EEENS1_30default_config_static_selectorELNS0_4arch9wavefront6targetE1EEEvT1_
	.globl	_ZN7rocprim17ROCPRIM_400000_NS6detail17trampoline_kernelINS0_14default_configENS1_25transform_config_selectorItLb0EEEZNS1_14transform_implILb0ES3_S5_NS0_18transform_iteratorINS0_17counting_iteratorImlEEZNS1_24adjacent_difference_implIS3_Lb1ELb0EPtN6thrust23THRUST_200600_302600_NS16discard_iteratorINSD_11use_defaultEEENSD_5minusItEEEE10hipError_tPvRmT2_T3_mT4_P12ihipStream_tbEUlmE_tEESB_NS0_8identityIvEEEESJ_SM_SN_mSO_SQ_bEUlT_E_NS1_11comp_targetILNS1_3genE5ELNS1_11target_archE942ELNS1_3gpuE9ELNS1_3repE0EEENS1_30default_config_static_selectorELNS0_4arch9wavefront6targetE1EEEvT1_
	.p2align	8
	.type	_ZN7rocprim17ROCPRIM_400000_NS6detail17trampoline_kernelINS0_14default_configENS1_25transform_config_selectorItLb0EEEZNS1_14transform_implILb0ES3_S5_NS0_18transform_iteratorINS0_17counting_iteratorImlEEZNS1_24adjacent_difference_implIS3_Lb1ELb0EPtN6thrust23THRUST_200600_302600_NS16discard_iteratorINSD_11use_defaultEEENSD_5minusItEEEE10hipError_tPvRmT2_T3_mT4_P12ihipStream_tbEUlmE_tEESB_NS0_8identityIvEEEESJ_SM_SN_mSO_SQ_bEUlT_E_NS1_11comp_targetILNS1_3genE5ELNS1_11target_archE942ELNS1_3gpuE9ELNS1_3repE0EEENS1_30default_config_static_selectorELNS0_4arch9wavefront6targetE1EEEvT1_,@function
_ZN7rocprim17ROCPRIM_400000_NS6detail17trampoline_kernelINS0_14default_configENS1_25transform_config_selectorItLb0EEEZNS1_14transform_implILb0ES3_S5_NS0_18transform_iteratorINS0_17counting_iteratorImlEEZNS1_24adjacent_difference_implIS3_Lb1ELb0EPtN6thrust23THRUST_200600_302600_NS16discard_iteratorINSD_11use_defaultEEENSD_5minusItEEEE10hipError_tPvRmT2_T3_mT4_P12ihipStream_tbEUlmE_tEESB_NS0_8identityIvEEEESJ_SM_SN_mSO_SQ_bEUlT_E_NS1_11comp_targetILNS1_3genE5ELNS1_11target_archE942ELNS1_3gpuE9ELNS1_3repE0EEENS1_30default_config_static_selectorELNS0_4arch9wavefront6targetE1EEEvT1_: ; @_ZN7rocprim17ROCPRIM_400000_NS6detail17trampoline_kernelINS0_14default_configENS1_25transform_config_selectorItLb0EEEZNS1_14transform_implILb0ES3_S5_NS0_18transform_iteratorINS0_17counting_iteratorImlEEZNS1_24adjacent_difference_implIS3_Lb1ELb0EPtN6thrust23THRUST_200600_302600_NS16discard_iteratorINSD_11use_defaultEEENSD_5minusItEEEE10hipError_tPvRmT2_T3_mT4_P12ihipStream_tbEUlmE_tEESB_NS0_8identityIvEEEESJ_SM_SN_mSO_SQ_bEUlT_E_NS1_11comp_targetILNS1_3genE5ELNS1_11target_archE942ELNS1_3gpuE9ELNS1_3repE0EEENS1_30default_config_static_selectorELNS0_4arch9wavefront6targetE1EEEvT1_
; %bb.0:
	s_load_dwordx4 s[4:7], s[0:1], 0x18
	s_load_dwordx2 s[8:9], s[0:1], 0x28
	s_load_dwordx4 s[12:15], s[0:1], 0x0
	s_load_dword s20, s[0:1], 0x10
	s_load_dword s3, s[0:1], 0x38
	s_waitcnt lgkmcnt(0)
	s_lshl_b64 s[0:1], s[4:5], 1
	s_add_u32 s26, s8, s0
	s_addc_u32 s27, s9, s1
	s_lshl_b32 s18, s2, 11
	s_add_i32 s3, s3, -1
	s_add_u32 s0, s12, s18
	s_addc_u32 s1, s13, 0
	s_add_u32 s22, s0, s4
	s_addc_u32 s23, s1, s5
	s_mov_b32 s19, 0
	s_cmp_lg_u32 s2, s3
	v_lshlrev_b32_e32 v6, 1, v0
	s_cbranch_scc0 .LBB718_2
; %bb.1:
	v_mov_b32_e32 v1, 0
	v_lshl_add_u64 v[2:3], s[22:23], 0, v[0:1]
	v_mad_u64_u32 v[4:5], s[0:1], v2, s20, 0
	v_mov_b32_e32 v2, v5
	v_mad_u64_u32 v[2:3], s[0:1], v3, s20, v[2:3]
	s_mov_b32 s21, s19
	v_mov_b32_e32 v5, v2
	v_lshl_add_u64 v[2:3], v[4:5], 1, s[14:15]
	s_lshl_b64 s[0:1], s[20:21], 9
	v_lshl_add_u64 v[4:5], v[2:3], 0, s[0:1]
	v_lshl_add_u64 v[8:9], v[4:5], 0, s[0:1]
	;; [unrolled: 1-line block ×4, first 2 shown]
	global_load_ushort v14, v[2:3], off
	global_load_ushort v15, v[4:5], off
	;; [unrolled: 1-line block ×5, first 2 shown]
	v_lshl_add_u64 v[2:3], v[12:13], 0, s[0:1]
	global_load_ushort v4, v[2:3], off
	v_lshl_add_u64 v[2:3], v[2:3], 0, s[0:1]
	global_load_ushort v5, v[2:3], off
	;; [unrolled: 2-line block ×3, first 2 shown]
	s_lshl_b64 s[2:3], s[18:19], 1
	s_add_u32 s2, s26, s2
	v_mov_b32_e32 v7, v1
	s_addc_u32 s3, s27, s3
	v_lshl_add_u64 v[8:9], s[2:3], 0, v[6:7]
	s_mov_b64 s[16:17], -1
	s_waitcnt vmcnt(7)
	global_store_short v6, v14, s[2:3]
	s_waitcnt vmcnt(7)
	global_store_short v6, v15, s[2:3] offset:512
	s_waitcnt vmcnt(7)
	global_store_short v6, v16, s[2:3] offset:1024
	;; [unrolled: 2-line block ×6, first 2 shown]
	s_cbranch_execz .LBB718_3
	s_branch .LBB718_32
.LBB718_2:
	s_mov_b64 s[16:17], 0
                                        ; implicit-def: $vgpr2
                                        ; implicit-def: $vgpr8_vgpr9
.LBB718_3:
	s_sub_i32 s21, s6, s18
	v_cmp_gt_u32_e32 vcc, s21, v0
                                        ; implicit-def: $vgpr2_vgpr3_vgpr4_vgpr5
	s_and_saveexec_b64 s[0:1], vcc
	s_cbranch_execz .LBB718_5
; %bb.4:
	v_mov_b32_e32 v1, 0
	s_waitcnt vmcnt(7)
	v_lshl_add_u64 v[2:3], s[22:23], 0, v[0:1]
	v_mad_u64_u32 v[4:5], s[2:3], v2, s20, 0
	v_mov_b32_e32 v2, v5
	v_mad_u64_u32 v[2:3], s[2:3], v3, s20, v[2:3]
	v_mov_b32_e32 v5, v2
	v_lshl_add_u64 v[2:3], v[4:5], 1, s[14:15]
	global_load_ushort v2, v[2:3], off
.LBB718_5:
	s_or_b64 exec, exec, s[0:1]
	v_or_b32_e32 v8, 0x100, v0
	v_cmp_gt_u32_e64 s[0:1], s21, v8
	s_and_saveexec_b64 s[2:3], s[0:1]
	s_cbranch_execz .LBB718_7
; %bb.6:
	v_mov_b32_e32 v9, 0
	v_lshl_add_u64 v[8:9], s[22:23], 0, v[8:9]
	v_mad_u64_u32 v[10:11], s[4:5], v8, s20, 0
	v_mov_b32_e32 v8, v11
	v_mad_u64_u32 v[8:9], s[4:5], v9, s20, v[8:9]
	v_mov_b32_e32 v11, v8
	v_lshl_add_u64 v[8:9], v[10:11], 1, s[14:15]
	global_load_ushort v1, v[8:9], off
	s_mov_b32 s4, 0x5040100
	s_waitcnt vmcnt(0)
	v_perm_b32 v2, v1, v2, s4
.LBB718_7:
	s_or_b64 exec, exec, s[2:3]
	v_or_b32_e32 v8, 0x200, v0
	v_cmp_gt_u32_e64 s[2:3], s21, v8
	s_and_saveexec_b64 s[4:5], s[2:3]
	s_cbranch_execz .LBB718_9
; %bb.8:
	v_mov_b32_e32 v9, 0
	v_lshl_add_u64 v[8:9], s[22:23], 0, v[8:9]
	v_mad_u64_u32 v[10:11], s[6:7], v8, s20, 0
	v_mov_b32_e32 v8, v11
	v_mad_u64_u32 v[8:9], s[6:7], v9, s20, v[8:9]
	v_mov_b32_e32 v11, v8
	v_lshl_add_u64 v[8:9], v[10:11], 1, s[14:15]
	global_load_ushort v1, v[8:9], off
	s_mov_b32 s6, 0xffff
	s_waitcnt vmcnt(0)
	v_bfi_b32 v3, s6, v1, v3
.LBB718_9:
	s_or_b64 exec, exec, s[4:5]
	v_or_b32_e32 v8, 0x300, v0
	v_cmp_gt_u32_e64 s[4:5], s21, v8
	s_and_saveexec_b64 s[6:7], s[4:5]
	s_cbranch_execz .LBB718_11
; %bb.10:
	v_mov_b32_e32 v9, 0
	v_lshl_add_u64 v[8:9], s[22:23], 0, v[8:9]
	v_mad_u64_u32 v[10:11], s[8:9], v8, s20, 0
	v_mov_b32_e32 v8, v11
	v_mad_u64_u32 v[8:9], s[8:9], v9, s20, v[8:9]
	v_mov_b32_e32 v11, v8
	v_lshl_add_u64 v[8:9], v[10:11], 1, s[14:15]
	global_load_ushort v1, v[8:9], off
	s_mov_b32 s8, 0x5040100
	s_waitcnt vmcnt(0)
	v_perm_b32 v3, v1, v3, s8
.LBB718_11:
	s_or_b64 exec, exec, s[6:7]
	v_or_b32_e32 v8, 0x400, v0
	v_cmp_gt_u32_e64 s[6:7], s21, v8
	s_and_saveexec_b64 s[8:9], s[6:7]
	s_cbranch_execz .LBB718_13
; %bb.12:
	v_mov_b32_e32 v9, 0
	v_lshl_add_u64 v[8:9], s[22:23], 0, v[8:9]
	v_mad_u64_u32 v[10:11], s[10:11], v8, s20, 0
	v_mov_b32_e32 v8, v11
	v_mad_u64_u32 v[8:9], s[10:11], v9, s20, v[8:9]
	v_mov_b32_e32 v11, v8
	v_lshl_add_u64 v[8:9], v[10:11], 1, s[14:15]
	global_load_ushort v1, v[8:9], off
	s_mov_b32 s10, 0xffff
	s_waitcnt vmcnt(0)
	v_bfi_b32 v4, s10, v1, v4
.LBB718_13:
	s_or_b64 exec, exec, s[8:9]
	v_or_b32_e32 v8, 0x500, v0
	v_cmp_gt_u32_e64 s[8:9], s21, v8
	s_and_saveexec_b64 s[10:11], s[8:9]
	s_cbranch_execz .LBB718_15
; %bb.14:
	v_mov_b32_e32 v9, 0
	v_lshl_add_u64 v[8:9], s[22:23], 0, v[8:9]
	v_mad_u64_u32 v[10:11], s[12:13], v8, s20, 0
	v_mov_b32_e32 v8, v11
	v_mad_u64_u32 v[8:9], s[12:13], v9, s20, v[8:9]
	v_mov_b32_e32 v11, v8
	v_lshl_add_u64 v[8:9], v[10:11], 1, s[14:15]
	global_load_ushort v1, v[8:9], off
	s_mov_b32 s12, 0x5040100
	s_waitcnt vmcnt(0)
	v_perm_b32 v4, v1, v4, s12
.LBB718_15:
	s_or_b64 exec, exec, s[10:11]
	v_or_b32_e32 v8, 0x600, v0
	v_cmp_gt_u32_e64 s[10:11], s21, v8
	s_and_saveexec_b64 s[12:13], s[10:11]
	s_cbranch_execz .LBB718_17
; %bb.16:
	v_mov_b32_e32 v9, 0
	v_lshl_add_u64 v[8:9], s[22:23], 0, v[8:9]
	v_mad_u64_u32 v[10:11], s[24:25], v8, s20, 0
	v_mov_b32_e32 v8, v11
	v_mad_u64_u32 v[8:9], s[24:25], v9, s20, v[8:9]
	v_mov_b32_e32 v11, v8
	v_lshl_add_u64 v[8:9], v[10:11], 1, s[14:15]
	global_load_ushort v1, v[8:9], off
	s_mov_b32 s24, 0xffff
	s_waitcnt vmcnt(0)
	v_bfi_b32 v5, s24, v1, v5
.LBB718_17:
	s_or_b64 exec, exec, s[12:13]
	v_or_b32_e32 v0, 0x700, v0
	v_cmp_gt_u32_e64 s[12:13], s21, v0
	s_and_saveexec_b64 s[24:25], s[12:13]
	s_cbranch_execz .LBB718_19
; %bb.18:
	v_mov_b32_e32 v1, 0
	v_lshl_add_u64 v[0:1], s[22:23], 0, v[0:1]
	v_mad_u64_u32 v[8:9], s[22:23], v0, s20, 0
	v_mov_b32_e32 v0, v9
	v_mad_u64_u32 v[0:1], s[20:21], v1, s20, v[0:1]
	v_mov_b32_e32 v9, v0
	v_lshl_add_u64 v[0:1], v[8:9], 1, s[14:15]
	global_load_ushort v0, v[0:1], off
	s_mov_b32 s14, 0x5040100
	s_waitcnt vmcnt(0)
	v_perm_b32 v5, v0, v5, s14
.LBB718_19:
	s_or_b64 exec, exec, s[24:25]
	s_lshl_b64 s[14:15], s[18:19], 1
	s_add_u32 s14, s26, s14
	s_addc_u32 s15, s27, s15
	v_mov_b32_e32 v7, 0
	v_lshl_add_u64 v[8:9], s[14:15], 0, v[6:7]
	s_and_saveexec_b64 s[14:15], vcc
	s_cbranch_execnz .LBB718_35
; %bb.20:
	s_or_b64 exec, exec, s[14:15]
	s_and_saveexec_b64 s[14:15], s[0:1]
	s_cbranch_execnz .LBB718_36
.LBB718_21:
	s_or_b64 exec, exec, s[14:15]
	s_mov_b32 s14, 0xffff
	s_and_saveexec_b64 s[0:1], s[2:3]
	s_cbranch_execz .LBB718_23
.LBB718_22:
	global_store_short v[8:9], v3, off offset:1024
.LBB718_23:
	s_or_b64 exec, exec, s[0:1]
	v_bfi_b32 v0, s14, v3, v3
	v_cndmask_b32_e64 v0, v0, v3, s[4:5]
	s_and_saveexec_b64 s[0:1], s[4:5]
	s_cbranch_execz .LBB718_25
; %bb.24:
	global_store_short_d16_hi v[8:9], v0, off offset:1536
.LBB718_25:
	s_or_b64 exec, exec, s[0:1]
	s_mov_b32 s2, 0xffff
	v_cndmask_b32_e64 v0, v4, v4, s[6:7]
	s_and_saveexec_b64 s[0:1], s[6:7]
	s_cbranch_execz .LBB718_27
; %bb.26:
	global_store_short v[8:9], v0, off offset:2048
.LBB718_27:
	s_or_b64 exec, exec, s[0:1]
	v_bfi_b32 v0, s2, v0, v4
	v_cndmask_b32_e64 v0, v0, v4, s[8:9]
	s_and_saveexec_b64 s[0:1], s[8:9]
	s_cbranch_execnz .LBB718_37
; %bb.28:
	s_or_b64 exec, exec, s[0:1]
	s_and_saveexec_b64 s[0:1], s[10:11]
	s_cbranch_execnz .LBB718_38
.LBB718_29:
	s_or_b64 exec, exec, s[0:1]
                                        ; implicit-def: $vgpr2
	s_and_saveexec_b64 s[0:1], s[12:13]
	s_cbranch_execz .LBB718_31
.LBB718_30:
	v_cndmask_b32_e64 v0, v5, v5, s[12:13]
	s_waitcnt vmcnt(0)
	v_lshrrev_b32_e32 v2, 16, v0
	s_or_b64 s[16:17], s[16:17], exec
.LBB718_31:
	s_or_b64 exec, exec, s[0:1]
.LBB718_32:
	s_and_saveexec_b64 s[0:1], s[16:17]
	s_cbranch_execnz .LBB718_34
; %bb.33:
	s_endpgm
.LBB718_34:
	s_waitcnt vmcnt(0)
	global_store_short v[8:9], v2, off offset:3584
	s_endpgm
.LBB718_35:
	s_waitcnt vmcnt(0)
	global_store_short v[8:9], v2, off
	s_or_b64 exec, exec, s[14:15]
	s_and_saveexec_b64 s[14:15], s[0:1]
	s_cbranch_execz .LBB718_21
.LBB718_36:
	s_waitcnt vmcnt(0)
	global_store_short_d16_hi v[8:9], v2, off offset:512
	s_or_b64 exec, exec, s[14:15]
	s_mov_b32 s14, 0xffff
	s_and_saveexec_b64 s[0:1], s[2:3]
	s_cbranch_execnz .LBB718_22
	s_branch .LBB718_23
.LBB718_37:
	global_store_short_d16_hi v[8:9], v0, off offset:2560
	s_or_b64 exec, exec, s[0:1]
	s_and_saveexec_b64 s[0:1], s[10:11]
	s_cbranch_execz .LBB718_29
.LBB718_38:
	v_cndmask_b32_e64 v0, v5, v5, s[10:11]
	global_store_short v[8:9], v0, off offset:3072
	s_or_b64 exec, exec, s[0:1]
                                        ; implicit-def: $vgpr2
	s_and_saveexec_b64 s[0:1], s[12:13]
	s_cbranch_execnz .LBB718_30
	s_branch .LBB718_31
	.section	.rodata,"a",@progbits
	.p2align	6, 0x0
	.amdhsa_kernel _ZN7rocprim17ROCPRIM_400000_NS6detail17trampoline_kernelINS0_14default_configENS1_25transform_config_selectorItLb0EEEZNS1_14transform_implILb0ES3_S5_NS0_18transform_iteratorINS0_17counting_iteratorImlEEZNS1_24adjacent_difference_implIS3_Lb1ELb0EPtN6thrust23THRUST_200600_302600_NS16discard_iteratorINSD_11use_defaultEEENSD_5minusItEEEE10hipError_tPvRmT2_T3_mT4_P12ihipStream_tbEUlmE_tEESB_NS0_8identityIvEEEESJ_SM_SN_mSO_SQ_bEUlT_E_NS1_11comp_targetILNS1_3genE5ELNS1_11target_archE942ELNS1_3gpuE9ELNS1_3repE0EEENS1_30default_config_static_selectorELNS0_4arch9wavefront6targetE1EEEvT1_
		.amdhsa_group_segment_fixed_size 0
		.amdhsa_private_segment_fixed_size 0
		.amdhsa_kernarg_size 312
		.amdhsa_user_sgpr_count 2
		.amdhsa_user_sgpr_dispatch_ptr 0
		.amdhsa_user_sgpr_queue_ptr 0
		.amdhsa_user_sgpr_kernarg_segment_ptr 1
		.amdhsa_user_sgpr_dispatch_id 0
		.amdhsa_user_sgpr_kernarg_preload_length 0
		.amdhsa_user_sgpr_kernarg_preload_offset 0
		.amdhsa_user_sgpr_private_segment_size 0
		.amdhsa_uses_dynamic_stack 0
		.amdhsa_enable_private_segment 0
		.amdhsa_system_sgpr_workgroup_id_x 1
		.amdhsa_system_sgpr_workgroup_id_y 0
		.amdhsa_system_sgpr_workgroup_id_z 0
		.amdhsa_system_sgpr_workgroup_info 0
		.amdhsa_system_vgpr_workitem_id 0
		.amdhsa_next_free_vgpr 19
		.amdhsa_next_free_sgpr 28
		.amdhsa_accum_offset 20
		.amdhsa_reserve_vcc 1
		.amdhsa_float_round_mode_32 0
		.amdhsa_float_round_mode_16_64 0
		.amdhsa_float_denorm_mode_32 3
		.amdhsa_float_denorm_mode_16_64 3
		.amdhsa_dx10_clamp 1
		.amdhsa_ieee_mode 1
		.amdhsa_fp16_overflow 0
		.amdhsa_tg_split 0
		.amdhsa_exception_fp_ieee_invalid_op 0
		.amdhsa_exception_fp_denorm_src 0
		.amdhsa_exception_fp_ieee_div_zero 0
		.amdhsa_exception_fp_ieee_overflow 0
		.amdhsa_exception_fp_ieee_underflow 0
		.amdhsa_exception_fp_ieee_inexact 0
		.amdhsa_exception_int_div_zero 0
	.end_amdhsa_kernel
	.section	.text._ZN7rocprim17ROCPRIM_400000_NS6detail17trampoline_kernelINS0_14default_configENS1_25transform_config_selectorItLb0EEEZNS1_14transform_implILb0ES3_S5_NS0_18transform_iteratorINS0_17counting_iteratorImlEEZNS1_24adjacent_difference_implIS3_Lb1ELb0EPtN6thrust23THRUST_200600_302600_NS16discard_iteratorINSD_11use_defaultEEENSD_5minusItEEEE10hipError_tPvRmT2_T3_mT4_P12ihipStream_tbEUlmE_tEESB_NS0_8identityIvEEEESJ_SM_SN_mSO_SQ_bEUlT_E_NS1_11comp_targetILNS1_3genE5ELNS1_11target_archE942ELNS1_3gpuE9ELNS1_3repE0EEENS1_30default_config_static_selectorELNS0_4arch9wavefront6targetE1EEEvT1_,"axG",@progbits,_ZN7rocprim17ROCPRIM_400000_NS6detail17trampoline_kernelINS0_14default_configENS1_25transform_config_selectorItLb0EEEZNS1_14transform_implILb0ES3_S5_NS0_18transform_iteratorINS0_17counting_iteratorImlEEZNS1_24adjacent_difference_implIS3_Lb1ELb0EPtN6thrust23THRUST_200600_302600_NS16discard_iteratorINSD_11use_defaultEEENSD_5minusItEEEE10hipError_tPvRmT2_T3_mT4_P12ihipStream_tbEUlmE_tEESB_NS0_8identityIvEEEESJ_SM_SN_mSO_SQ_bEUlT_E_NS1_11comp_targetILNS1_3genE5ELNS1_11target_archE942ELNS1_3gpuE9ELNS1_3repE0EEENS1_30default_config_static_selectorELNS0_4arch9wavefront6targetE1EEEvT1_,comdat
.Lfunc_end718:
	.size	_ZN7rocprim17ROCPRIM_400000_NS6detail17trampoline_kernelINS0_14default_configENS1_25transform_config_selectorItLb0EEEZNS1_14transform_implILb0ES3_S5_NS0_18transform_iteratorINS0_17counting_iteratorImlEEZNS1_24adjacent_difference_implIS3_Lb1ELb0EPtN6thrust23THRUST_200600_302600_NS16discard_iteratorINSD_11use_defaultEEENSD_5minusItEEEE10hipError_tPvRmT2_T3_mT4_P12ihipStream_tbEUlmE_tEESB_NS0_8identityIvEEEESJ_SM_SN_mSO_SQ_bEUlT_E_NS1_11comp_targetILNS1_3genE5ELNS1_11target_archE942ELNS1_3gpuE9ELNS1_3repE0EEENS1_30default_config_static_selectorELNS0_4arch9wavefront6targetE1EEEvT1_, .Lfunc_end718-_ZN7rocprim17ROCPRIM_400000_NS6detail17trampoline_kernelINS0_14default_configENS1_25transform_config_selectorItLb0EEEZNS1_14transform_implILb0ES3_S5_NS0_18transform_iteratorINS0_17counting_iteratorImlEEZNS1_24adjacent_difference_implIS3_Lb1ELb0EPtN6thrust23THRUST_200600_302600_NS16discard_iteratorINSD_11use_defaultEEENSD_5minusItEEEE10hipError_tPvRmT2_T3_mT4_P12ihipStream_tbEUlmE_tEESB_NS0_8identityIvEEEESJ_SM_SN_mSO_SQ_bEUlT_E_NS1_11comp_targetILNS1_3genE5ELNS1_11target_archE942ELNS1_3gpuE9ELNS1_3repE0EEENS1_30default_config_static_selectorELNS0_4arch9wavefront6targetE1EEEvT1_
                                        ; -- End function
	.section	.AMDGPU.csdata,"",@progbits
; Kernel info:
; codeLenInByte = 1528
; NumSgprs: 34
; NumVgprs: 19
; NumAgprs: 0
; TotalNumVgprs: 19
; ScratchSize: 0
; MemoryBound: 0
; FloatMode: 240
; IeeeMode: 1
; LDSByteSize: 0 bytes/workgroup (compile time only)
; SGPRBlocks: 4
; VGPRBlocks: 2
; NumSGPRsForWavesPerEU: 34
; NumVGPRsForWavesPerEU: 19
; AccumOffset: 20
; Occupancy: 8
; WaveLimiterHint : 1
; COMPUTE_PGM_RSRC2:SCRATCH_EN: 0
; COMPUTE_PGM_RSRC2:USER_SGPR: 2
; COMPUTE_PGM_RSRC2:TRAP_HANDLER: 0
; COMPUTE_PGM_RSRC2:TGID_X_EN: 1
; COMPUTE_PGM_RSRC2:TGID_Y_EN: 0
; COMPUTE_PGM_RSRC2:TGID_Z_EN: 0
; COMPUTE_PGM_RSRC2:TIDIG_COMP_CNT: 0
; COMPUTE_PGM_RSRC3_GFX90A:ACCUM_OFFSET: 4
; COMPUTE_PGM_RSRC3_GFX90A:TG_SPLIT: 0
	.section	.text._ZN7rocprim17ROCPRIM_400000_NS6detail17trampoline_kernelINS0_14default_configENS1_25transform_config_selectorItLb0EEEZNS1_14transform_implILb0ES3_S5_NS0_18transform_iteratorINS0_17counting_iteratorImlEEZNS1_24adjacent_difference_implIS3_Lb1ELb0EPtN6thrust23THRUST_200600_302600_NS16discard_iteratorINSD_11use_defaultEEENSD_5minusItEEEE10hipError_tPvRmT2_T3_mT4_P12ihipStream_tbEUlmE_tEESB_NS0_8identityIvEEEESJ_SM_SN_mSO_SQ_bEUlT_E_NS1_11comp_targetILNS1_3genE4ELNS1_11target_archE910ELNS1_3gpuE8ELNS1_3repE0EEENS1_30default_config_static_selectorELNS0_4arch9wavefront6targetE1EEEvT1_,"axG",@progbits,_ZN7rocprim17ROCPRIM_400000_NS6detail17trampoline_kernelINS0_14default_configENS1_25transform_config_selectorItLb0EEEZNS1_14transform_implILb0ES3_S5_NS0_18transform_iteratorINS0_17counting_iteratorImlEEZNS1_24adjacent_difference_implIS3_Lb1ELb0EPtN6thrust23THRUST_200600_302600_NS16discard_iteratorINSD_11use_defaultEEENSD_5minusItEEEE10hipError_tPvRmT2_T3_mT4_P12ihipStream_tbEUlmE_tEESB_NS0_8identityIvEEEESJ_SM_SN_mSO_SQ_bEUlT_E_NS1_11comp_targetILNS1_3genE4ELNS1_11target_archE910ELNS1_3gpuE8ELNS1_3repE0EEENS1_30default_config_static_selectorELNS0_4arch9wavefront6targetE1EEEvT1_,comdat
	.protected	_ZN7rocprim17ROCPRIM_400000_NS6detail17trampoline_kernelINS0_14default_configENS1_25transform_config_selectorItLb0EEEZNS1_14transform_implILb0ES3_S5_NS0_18transform_iteratorINS0_17counting_iteratorImlEEZNS1_24adjacent_difference_implIS3_Lb1ELb0EPtN6thrust23THRUST_200600_302600_NS16discard_iteratorINSD_11use_defaultEEENSD_5minusItEEEE10hipError_tPvRmT2_T3_mT4_P12ihipStream_tbEUlmE_tEESB_NS0_8identityIvEEEESJ_SM_SN_mSO_SQ_bEUlT_E_NS1_11comp_targetILNS1_3genE4ELNS1_11target_archE910ELNS1_3gpuE8ELNS1_3repE0EEENS1_30default_config_static_selectorELNS0_4arch9wavefront6targetE1EEEvT1_ ; -- Begin function _ZN7rocprim17ROCPRIM_400000_NS6detail17trampoline_kernelINS0_14default_configENS1_25transform_config_selectorItLb0EEEZNS1_14transform_implILb0ES3_S5_NS0_18transform_iteratorINS0_17counting_iteratorImlEEZNS1_24adjacent_difference_implIS3_Lb1ELb0EPtN6thrust23THRUST_200600_302600_NS16discard_iteratorINSD_11use_defaultEEENSD_5minusItEEEE10hipError_tPvRmT2_T3_mT4_P12ihipStream_tbEUlmE_tEESB_NS0_8identityIvEEEESJ_SM_SN_mSO_SQ_bEUlT_E_NS1_11comp_targetILNS1_3genE4ELNS1_11target_archE910ELNS1_3gpuE8ELNS1_3repE0EEENS1_30default_config_static_selectorELNS0_4arch9wavefront6targetE1EEEvT1_
	.globl	_ZN7rocprim17ROCPRIM_400000_NS6detail17trampoline_kernelINS0_14default_configENS1_25transform_config_selectorItLb0EEEZNS1_14transform_implILb0ES3_S5_NS0_18transform_iteratorINS0_17counting_iteratorImlEEZNS1_24adjacent_difference_implIS3_Lb1ELb0EPtN6thrust23THRUST_200600_302600_NS16discard_iteratorINSD_11use_defaultEEENSD_5minusItEEEE10hipError_tPvRmT2_T3_mT4_P12ihipStream_tbEUlmE_tEESB_NS0_8identityIvEEEESJ_SM_SN_mSO_SQ_bEUlT_E_NS1_11comp_targetILNS1_3genE4ELNS1_11target_archE910ELNS1_3gpuE8ELNS1_3repE0EEENS1_30default_config_static_selectorELNS0_4arch9wavefront6targetE1EEEvT1_
	.p2align	8
	.type	_ZN7rocprim17ROCPRIM_400000_NS6detail17trampoline_kernelINS0_14default_configENS1_25transform_config_selectorItLb0EEEZNS1_14transform_implILb0ES3_S5_NS0_18transform_iteratorINS0_17counting_iteratorImlEEZNS1_24adjacent_difference_implIS3_Lb1ELb0EPtN6thrust23THRUST_200600_302600_NS16discard_iteratorINSD_11use_defaultEEENSD_5minusItEEEE10hipError_tPvRmT2_T3_mT4_P12ihipStream_tbEUlmE_tEESB_NS0_8identityIvEEEESJ_SM_SN_mSO_SQ_bEUlT_E_NS1_11comp_targetILNS1_3genE4ELNS1_11target_archE910ELNS1_3gpuE8ELNS1_3repE0EEENS1_30default_config_static_selectorELNS0_4arch9wavefront6targetE1EEEvT1_,@function
_ZN7rocprim17ROCPRIM_400000_NS6detail17trampoline_kernelINS0_14default_configENS1_25transform_config_selectorItLb0EEEZNS1_14transform_implILb0ES3_S5_NS0_18transform_iteratorINS0_17counting_iteratorImlEEZNS1_24adjacent_difference_implIS3_Lb1ELb0EPtN6thrust23THRUST_200600_302600_NS16discard_iteratorINSD_11use_defaultEEENSD_5minusItEEEE10hipError_tPvRmT2_T3_mT4_P12ihipStream_tbEUlmE_tEESB_NS0_8identityIvEEEESJ_SM_SN_mSO_SQ_bEUlT_E_NS1_11comp_targetILNS1_3genE4ELNS1_11target_archE910ELNS1_3gpuE8ELNS1_3repE0EEENS1_30default_config_static_selectorELNS0_4arch9wavefront6targetE1EEEvT1_: ; @_ZN7rocprim17ROCPRIM_400000_NS6detail17trampoline_kernelINS0_14default_configENS1_25transform_config_selectorItLb0EEEZNS1_14transform_implILb0ES3_S5_NS0_18transform_iteratorINS0_17counting_iteratorImlEEZNS1_24adjacent_difference_implIS3_Lb1ELb0EPtN6thrust23THRUST_200600_302600_NS16discard_iteratorINSD_11use_defaultEEENSD_5minusItEEEE10hipError_tPvRmT2_T3_mT4_P12ihipStream_tbEUlmE_tEESB_NS0_8identityIvEEEESJ_SM_SN_mSO_SQ_bEUlT_E_NS1_11comp_targetILNS1_3genE4ELNS1_11target_archE910ELNS1_3gpuE8ELNS1_3repE0EEENS1_30default_config_static_selectorELNS0_4arch9wavefront6targetE1EEEvT1_
; %bb.0:
	.section	.rodata,"a",@progbits
	.p2align	6, 0x0
	.amdhsa_kernel _ZN7rocprim17ROCPRIM_400000_NS6detail17trampoline_kernelINS0_14default_configENS1_25transform_config_selectorItLb0EEEZNS1_14transform_implILb0ES3_S5_NS0_18transform_iteratorINS0_17counting_iteratorImlEEZNS1_24adjacent_difference_implIS3_Lb1ELb0EPtN6thrust23THRUST_200600_302600_NS16discard_iteratorINSD_11use_defaultEEENSD_5minusItEEEE10hipError_tPvRmT2_T3_mT4_P12ihipStream_tbEUlmE_tEESB_NS0_8identityIvEEEESJ_SM_SN_mSO_SQ_bEUlT_E_NS1_11comp_targetILNS1_3genE4ELNS1_11target_archE910ELNS1_3gpuE8ELNS1_3repE0EEENS1_30default_config_static_selectorELNS0_4arch9wavefront6targetE1EEEvT1_
		.amdhsa_group_segment_fixed_size 0
		.amdhsa_private_segment_fixed_size 0
		.amdhsa_kernarg_size 56
		.amdhsa_user_sgpr_count 2
		.amdhsa_user_sgpr_dispatch_ptr 0
		.amdhsa_user_sgpr_queue_ptr 0
		.amdhsa_user_sgpr_kernarg_segment_ptr 1
		.amdhsa_user_sgpr_dispatch_id 0
		.amdhsa_user_sgpr_kernarg_preload_length 0
		.amdhsa_user_sgpr_kernarg_preload_offset 0
		.amdhsa_user_sgpr_private_segment_size 0
		.amdhsa_uses_dynamic_stack 0
		.amdhsa_enable_private_segment 0
		.amdhsa_system_sgpr_workgroup_id_x 1
		.amdhsa_system_sgpr_workgroup_id_y 0
		.amdhsa_system_sgpr_workgroup_id_z 0
		.amdhsa_system_sgpr_workgroup_info 0
		.amdhsa_system_vgpr_workitem_id 0
		.amdhsa_next_free_vgpr 1
		.amdhsa_next_free_sgpr 0
		.amdhsa_accum_offset 4
		.amdhsa_reserve_vcc 0
		.amdhsa_float_round_mode_32 0
		.amdhsa_float_round_mode_16_64 0
		.amdhsa_float_denorm_mode_32 3
		.amdhsa_float_denorm_mode_16_64 3
		.amdhsa_dx10_clamp 1
		.amdhsa_ieee_mode 1
		.amdhsa_fp16_overflow 0
		.amdhsa_tg_split 0
		.amdhsa_exception_fp_ieee_invalid_op 0
		.amdhsa_exception_fp_denorm_src 0
		.amdhsa_exception_fp_ieee_div_zero 0
		.amdhsa_exception_fp_ieee_overflow 0
		.amdhsa_exception_fp_ieee_underflow 0
		.amdhsa_exception_fp_ieee_inexact 0
		.amdhsa_exception_int_div_zero 0
	.end_amdhsa_kernel
	.section	.text._ZN7rocprim17ROCPRIM_400000_NS6detail17trampoline_kernelINS0_14default_configENS1_25transform_config_selectorItLb0EEEZNS1_14transform_implILb0ES3_S5_NS0_18transform_iteratorINS0_17counting_iteratorImlEEZNS1_24adjacent_difference_implIS3_Lb1ELb0EPtN6thrust23THRUST_200600_302600_NS16discard_iteratorINSD_11use_defaultEEENSD_5minusItEEEE10hipError_tPvRmT2_T3_mT4_P12ihipStream_tbEUlmE_tEESB_NS0_8identityIvEEEESJ_SM_SN_mSO_SQ_bEUlT_E_NS1_11comp_targetILNS1_3genE4ELNS1_11target_archE910ELNS1_3gpuE8ELNS1_3repE0EEENS1_30default_config_static_selectorELNS0_4arch9wavefront6targetE1EEEvT1_,"axG",@progbits,_ZN7rocprim17ROCPRIM_400000_NS6detail17trampoline_kernelINS0_14default_configENS1_25transform_config_selectorItLb0EEEZNS1_14transform_implILb0ES3_S5_NS0_18transform_iteratorINS0_17counting_iteratorImlEEZNS1_24adjacent_difference_implIS3_Lb1ELb0EPtN6thrust23THRUST_200600_302600_NS16discard_iteratorINSD_11use_defaultEEENSD_5minusItEEEE10hipError_tPvRmT2_T3_mT4_P12ihipStream_tbEUlmE_tEESB_NS0_8identityIvEEEESJ_SM_SN_mSO_SQ_bEUlT_E_NS1_11comp_targetILNS1_3genE4ELNS1_11target_archE910ELNS1_3gpuE8ELNS1_3repE0EEENS1_30default_config_static_selectorELNS0_4arch9wavefront6targetE1EEEvT1_,comdat
.Lfunc_end719:
	.size	_ZN7rocprim17ROCPRIM_400000_NS6detail17trampoline_kernelINS0_14default_configENS1_25transform_config_selectorItLb0EEEZNS1_14transform_implILb0ES3_S5_NS0_18transform_iteratorINS0_17counting_iteratorImlEEZNS1_24adjacent_difference_implIS3_Lb1ELb0EPtN6thrust23THRUST_200600_302600_NS16discard_iteratorINSD_11use_defaultEEENSD_5minusItEEEE10hipError_tPvRmT2_T3_mT4_P12ihipStream_tbEUlmE_tEESB_NS0_8identityIvEEEESJ_SM_SN_mSO_SQ_bEUlT_E_NS1_11comp_targetILNS1_3genE4ELNS1_11target_archE910ELNS1_3gpuE8ELNS1_3repE0EEENS1_30default_config_static_selectorELNS0_4arch9wavefront6targetE1EEEvT1_, .Lfunc_end719-_ZN7rocprim17ROCPRIM_400000_NS6detail17trampoline_kernelINS0_14default_configENS1_25transform_config_selectorItLb0EEEZNS1_14transform_implILb0ES3_S5_NS0_18transform_iteratorINS0_17counting_iteratorImlEEZNS1_24adjacent_difference_implIS3_Lb1ELb0EPtN6thrust23THRUST_200600_302600_NS16discard_iteratorINSD_11use_defaultEEENSD_5minusItEEEE10hipError_tPvRmT2_T3_mT4_P12ihipStream_tbEUlmE_tEESB_NS0_8identityIvEEEESJ_SM_SN_mSO_SQ_bEUlT_E_NS1_11comp_targetILNS1_3genE4ELNS1_11target_archE910ELNS1_3gpuE8ELNS1_3repE0EEENS1_30default_config_static_selectorELNS0_4arch9wavefront6targetE1EEEvT1_
                                        ; -- End function
	.section	.AMDGPU.csdata,"",@progbits
; Kernel info:
; codeLenInByte = 0
; NumSgprs: 6
; NumVgprs: 0
; NumAgprs: 0
; TotalNumVgprs: 0
; ScratchSize: 0
; MemoryBound: 0
; FloatMode: 240
; IeeeMode: 1
; LDSByteSize: 0 bytes/workgroup (compile time only)
; SGPRBlocks: 0
; VGPRBlocks: 0
; NumSGPRsForWavesPerEU: 6
; NumVGPRsForWavesPerEU: 1
; AccumOffset: 4
; Occupancy: 8
; WaveLimiterHint : 0
; COMPUTE_PGM_RSRC2:SCRATCH_EN: 0
; COMPUTE_PGM_RSRC2:USER_SGPR: 2
; COMPUTE_PGM_RSRC2:TRAP_HANDLER: 0
; COMPUTE_PGM_RSRC2:TGID_X_EN: 1
; COMPUTE_PGM_RSRC2:TGID_Y_EN: 0
; COMPUTE_PGM_RSRC2:TGID_Z_EN: 0
; COMPUTE_PGM_RSRC2:TIDIG_COMP_CNT: 0
; COMPUTE_PGM_RSRC3_GFX90A:ACCUM_OFFSET: 0
; COMPUTE_PGM_RSRC3_GFX90A:TG_SPLIT: 0
	.section	.text._ZN7rocprim17ROCPRIM_400000_NS6detail17trampoline_kernelINS0_14default_configENS1_25transform_config_selectorItLb0EEEZNS1_14transform_implILb0ES3_S5_NS0_18transform_iteratorINS0_17counting_iteratorImlEEZNS1_24adjacent_difference_implIS3_Lb1ELb0EPtN6thrust23THRUST_200600_302600_NS16discard_iteratorINSD_11use_defaultEEENSD_5minusItEEEE10hipError_tPvRmT2_T3_mT4_P12ihipStream_tbEUlmE_tEESB_NS0_8identityIvEEEESJ_SM_SN_mSO_SQ_bEUlT_E_NS1_11comp_targetILNS1_3genE3ELNS1_11target_archE908ELNS1_3gpuE7ELNS1_3repE0EEENS1_30default_config_static_selectorELNS0_4arch9wavefront6targetE1EEEvT1_,"axG",@progbits,_ZN7rocprim17ROCPRIM_400000_NS6detail17trampoline_kernelINS0_14default_configENS1_25transform_config_selectorItLb0EEEZNS1_14transform_implILb0ES3_S5_NS0_18transform_iteratorINS0_17counting_iteratorImlEEZNS1_24adjacent_difference_implIS3_Lb1ELb0EPtN6thrust23THRUST_200600_302600_NS16discard_iteratorINSD_11use_defaultEEENSD_5minusItEEEE10hipError_tPvRmT2_T3_mT4_P12ihipStream_tbEUlmE_tEESB_NS0_8identityIvEEEESJ_SM_SN_mSO_SQ_bEUlT_E_NS1_11comp_targetILNS1_3genE3ELNS1_11target_archE908ELNS1_3gpuE7ELNS1_3repE0EEENS1_30default_config_static_selectorELNS0_4arch9wavefront6targetE1EEEvT1_,comdat
	.protected	_ZN7rocprim17ROCPRIM_400000_NS6detail17trampoline_kernelINS0_14default_configENS1_25transform_config_selectorItLb0EEEZNS1_14transform_implILb0ES3_S5_NS0_18transform_iteratorINS0_17counting_iteratorImlEEZNS1_24adjacent_difference_implIS3_Lb1ELb0EPtN6thrust23THRUST_200600_302600_NS16discard_iteratorINSD_11use_defaultEEENSD_5minusItEEEE10hipError_tPvRmT2_T3_mT4_P12ihipStream_tbEUlmE_tEESB_NS0_8identityIvEEEESJ_SM_SN_mSO_SQ_bEUlT_E_NS1_11comp_targetILNS1_3genE3ELNS1_11target_archE908ELNS1_3gpuE7ELNS1_3repE0EEENS1_30default_config_static_selectorELNS0_4arch9wavefront6targetE1EEEvT1_ ; -- Begin function _ZN7rocprim17ROCPRIM_400000_NS6detail17trampoline_kernelINS0_14default_configENS1_25transform_config_selectorItLb0EEEZNS1_14transform_implILb0ES3_S5_NS0_18transform_iteratorINS0_17counting_iteratorImlEEZNS1_24adjacent_difference_implIS3_Lb1ELb0EPtN6thrust23THRUST_200600_302600_NS16discard_iteratorINSD_11use_defaultEEENSD_5minusItEEEE10hipError_tPvRmT2_T3_mT4_P12ihipStream_tbEUlmE_tEESB_NS0_8identityIvEEEESJ_SM_SN_mSO_SQ_bEUlT_E_NS1_11comp_targetILNS1_3genE3ELNS1_11target_archE908ELNS1_3gpuE7ELNS1_3repE0EEENS1_30default_config_static_selectorELNS0_4arch9wavefront6targetE1EEEvT1_
	.globl	_ZN7rocprim17ROCPRIM_400000_NS6detail17trampoline_kernelINS0_14default_configENS1_25transform_config_selectorItLb0EEEZNS1_14transform_implILb0ES3_S5_NS0_18transform_iteratorINS0_17counting_iteratorImlEEZNS1_24adjacent_difference_implIS3_Lb1ELb0EPtN6thrust23THRUST_200600_302600_NS16discard_iteratorINSD_11use_defaultEEENSD_5minusItEEEE10hipError_tPvRmT2_T3_mT4_P12ihipStream_tbEUlmE_tEESB_NS0_8identityIvEEEESJ_SM_SN_mSO_SQ_bEUlT_E_NS1_11comp_targetILNS1_3genE3ELNS1_11target_archE908ELNS1_3gpuE7ELNS1_3repE0EEENS1_30default_config_static_selectorELNS0_4arch9wavefront6targetE1EEEvT1_
	.p2align	8
	.type	_ZN7rocprim17ROCPRIM_400000_NS6detail17trampoline_kernelINS0_14default_configENS1_25transform_config_selectorItLb0EEEZNS1_14transform_implILb0ES3_S5_NS0_18transform_iteratorINS0_17counting_iteratorImlEEZNS1_24adjacent_difference_implIS3_Lb1ELb0EPtN6thrust23THRUST_200600_302600_NS16discard_iteratorINSD_11use_defaultEEENSD_5minusItEEEE10hipError_tPvRmT2_T3_mT4_P12ihipStream_tbEUlmE_tEESB_NS0_8identityIvEEEESJ_SM_SN_mSO_SQ_bEUlT_E_NS1_11comp_targetILNS1_3genE3ELNS1_11target_archE908ELNS1_3gpuE7ELNS1_3repE0EEENS1_30default_config_static_selectorELNS0_4arch9wavefront6targetE1EEEvT1_,@function
_ZN7rocprim17ROCPRIM_400000_NS6detail17trampoline_kernelINS0_14default_configENS1_25transform_config_selectorItLb0EEEZNS1_14transform_implILb0ES3_S5_NS0_18transform_iteratorINS0_17counting_iteratorImlEEZNS1_24adjacent_difference_implIS3_Lb1ELb0EPtN6thrust23THRUST_200600_302600_NS16discard_iteratorINSD_11use_defaultEEENSD_5minusItEEEE10hipError_tPvRmT2_T3_mT4_P12ihipStream_tbEUlmE_tEESB_NS0_8identityIvEEEESJ_SM_SN_mSO_SQ_bEUlT_E_NS1_11comp_targetILNS1_3genE3ELNS1_11target_archE908ELNS1_3gpuE7ELNS1_3repE0EEENS1_30default_config_static_selectorELNS0_4arch9wavefront6targetE1EEEvT1_: ; @_ZN7rocprim17ROCPRIM_400000_NS6detail17trampoline_kernelINS0_14default_configENS1_25transform_config_selectorItLb0EEEZNS1_14transform_implILb0ES3_S5_NS0_18transform_iteratorINS0_17counting_iteratorImlEEZNS1_24adjacent_difference_implIS3_Lb1ELb0EPtN6thrust23THRUST_200600_302600_NS16discard_iteratorINSD_11use_defaultEEENSD_5minusItEEEE10hipError_tPvRmT2_T3_mT4_P12ihipStream_tbEUlmE_tEESB_NS0_8identityIvEEEESJ_SM_SN_mSO_SQ_bEUlT_E_NS1_11comp_targetILNS1_3genE3ELNS1_11target_archE908ELNS1_3gpuE7ELNS1_3repE0EEENS1_30default_config_static_selectorELNS0_4arch9wavefront6targetE1EEEvT1_
; %bb.0:
	.section	.rodata,"a",@progbits
	.p2align	6, 0x0
	.amdhsa_kernel _ZN7rocprim17ROCPRIM_400000_NS6detail17trampoline_kernelINS0_14default_configENS1_25transform_config_selectorItLb0EEEZNS1_14transform_implILb0ES3_S5_NS0_18transform_iteratorINS0_17counting_iteratorImlEEZNS1_24adjacent_difference_implIS3_Lb1ELb0EPtN6thrust23THRUST_200600_302600_NS16discard_iteratorINSD_11use_defaultEEENSD_5minusItEEEE10hipError_tPvRmT2_T3_mT4_P12ihipStream_tbEUlmE_tEESB_NS0_8identityIvEEEESJ_SM_SN_mSO_SQ_bEUlT_E_NS1_11comp_targetILNS1_3genE3ELNS1_11target_archE908ELNS1_3gpuE7ELNS1_3repE0EEENS1_30default_config_static_selectorELNS0_4arch9wavefront6targetE1EEEvT1_
		.amdhsa_group_segment_fixed_size 0
		.amdhsa_private_segment_fixed_size 0
		.amdhsa_kernarg_size 56
		.amdhsa_user_sgpr_count 2
		.amdhsa_user_sgpr_dispatch_ptr 0
		.amdhsa_user_sgpr_queue_ptr 0
		.amdhsa_user_sgpr_kernarg_segment_ptr 1
		.amdhsa_user_sgpr_dispatch_id 0
		.amdhsa_user_sgpr_kernarg_preload_length 0
		.amdhsa_user_sgpr_kernarg_preload_offset 0
		.amdhsa_user_sgpr_private_segment_size 0
		.amdhsa_uses_dynamic_stack 0
		.amdhsa_enable_private_segment 0
		.amdhsa_system_sgpr_workgroup_id_x 1
		.amdhsa_system_sgpr_workgroup_id_y 0
		.amdhsa_system_sgpr_workgroup_id_z 0
		.amdhsa_system_sgpr_workgroup_info 0
		.amdhsa_system_vgpr_workitem_id 0
		.amdhsa_next_free_vgpr 1
		.amdhsa_next_free_sgpr 0
		.amdhsa_accum_offset 4
		.amdhsa_reserve_vcc 0
		.amdhsa_float_round_mode_32 0
		.amdhsa_float_round_mode_16_64 0
		.amdhsa_float_denorm_mode_32 3
		.amdhsa_float_denorm_mode_16_64 3
		.amdhsa_dx10_clamp 1
		.amdhsa_ieee_mode 1
		.amdhsa_fp16_overflow 0
		.amdhsa_tg_split 0
		.amdhsa_exception_fp_ieee_invalid_op 0
		.amdhsa_exception_fp_denorm_src 0
		.amdhsa_exception_fp_ieee_div_zero 0
		.amdhsa_exception_fp_ieee_overflow 0
		.amdhsa_exception_fp_ieee_underflow 0
		.amdhsa_exception_fp_ieee_inexact 0
		.amdhsa_exception_int_div_zero 0
	.end_amdhsa_kernel
	.section	.text._ZN7rocprim17ROCPRIM_400000_NS6detail17trampoline_kernelINS0_14default_configENS1_25transform_config_selectorItLb0EEEZNS1_14transform_implILb0ES3_S5_NS0_18transform_iteratorINS0_17counting_iteratorImlEEZNS1_24adjacent_difference_implIS3_Lb1ELb0EPtN6thrust23THRUST_200600_302600_NS16discard_iteratorINSD_11use_defaultEEENSD_5minusItEEEE10hipError_tPvRmT2_T3_mT4_P12ihipStream_tbEUlmE_tEESB_NS0_8identityIvEEEESJ_SM_SN_mSO_SQ_bEUlT_E_NS1_11comp_targetILNS1_3genE3ELNS1_11target_archE908ELNS1_3gpuE7ELNS1_3repE0EEENS1_30default_config_static_selectorELNS0_4arch9wavefront6targetE1EEEvT1_,"axG",@progbits,_ZN7rocprim17ROCPRIM_400000_NS6detail17trampoline_kernelINS0_14default_configENS1_25transform_config_selectorItLb0EEEZNS1_14transform_implILb0ES3_S5_NS0_18transform_iteratorINS0_17counting_iteratorImlEEZNS1_24adjacent_difference_implIS3_Lb1ELb0EPtN6thrust23THRUST_200600_302600_NS16discard_iteratorINSD_11use_defaultEEENSD_5minusItEEEE10hipError_tPvRmT2_T3_mT4_P12ihipStream_tbEUlmE_tEESB_NS0_8identityIvEEEESJ_SM_SN_mSO_SQ_bEUlT_E_NS1_11comp_targetILNS1_3genE3ELNS1_11target_archE908ELNS1_3gpuE7ELNS1_3repE0EEENS1_30default_config_static_selectorELNS0_4arch9wavefront6targetE1EEEvT1_,comdat
.Lfunc_end720:
	.size	_ZN7rocprim17ROCPRIM_400000_NS6detail17trampoline_kernelINS0_14default_configENS1_25transform_config_selectorItLb0EEEZNS1_14transform_implILb0ES3_S5_NS0_18transform_iteratorINS0_17counting_iteratorImlEEZNS1_24adjacent_difference_implIS3_Lb1ELb0EPtN6thrust23THRUST_200600_302600_NS16discard_iteratorINSD_11use_defaultEEENSD_5minusItEEEE10hipError_tPvRmT2_T3_mT4_P12ihipStream_tbEUlmE_tEESB_NS0_8identityIvEEEESJ_SM_SN_mSO_SQ_bEUlT_E_NS1_11comp_targetILNS1_3genE3ELNS1_11target_archE908ELNS1_3gpuE7ELNS1_3repE0EEENS1_30default_config_static_selectorELNS0_4arch9wavefront6targetE1EEEvT1_, .Lfunc_end720-_ZN7rocprim17ROCPRIM_400000_NS6detail17trampoline_kernelINS0_14default_configENS1_25transform_config_selectorItLb0EEEZNS1_14transform_implILb0ES3_S5_NS0_18transform_iteratorINS0_17counting_iteratorImlEEZNS1_24adjacent_difference_implIS3_Lb1ELb0EPtN6thrust23THRUST_200600_302600_NS16discard_iteratorINSD_11use_defaultEEENSD_5minusItEEEE10hipError_tPvRmT2_T3_mT4_P12ihipStream_tbEUlmE_tEESB_NS0_8identityIvEEEESJ_SM_SN_mSO_SQ_bEUlT_E_NS1_11comp_targetILNS1_3genE3ELNS1_11target_archE908ELNS1_3gpuE7ELNS1_3repE0EEENS1_30default_config_static_selectorELNS0_4arch9wavefront6targetE1EEEvT1_
                                        ; -- End function
	.section	.AMDGPU.csdata,"",@progbits
; Kernel info:
; codeLenInByte = 0
; NumSgprs: 6
; NumVgprs: 0
; NumAgprs: 0
; TotalNumVgprs: 0
; ScratchSize: 0
; MemoryBound: 0
; FloatMode: 240
; IeeeMode: 1
; LDSByteSize: 0 bytes/workgroup (compile time only)
; SGPRBlocks: 0
; VGPRBlocks: 0
; NumSGPRsForWavesPerEU: 6
; NumVGPRsForWavesPerEU: 1
; AccumOffset: 4
; Occupancy: 8
; WaveLimiterHint : 0
; COMPUTE_PGM_RSRC2:SCRATCH_EN: 0
; COMPUTE_PGM_RSRC2:USER_SGPR: 2
; COMPUTE_PGM_RSRC2:TRAP_HANDLER: 0
; COMPUTE_PGM_RSRC2:TGID_X_EN: 1
; COMPUTE_PGM_RSRC2:TGID_Y_EN: 0
; COMPUTE_PGM_RSRC2:TGID_Z_EN: 0
; COMPUTE_PGM_RSRC2:TIDIG_COMP_CNT: 0
; COMPUTE_PGM_RSRC3_GFX90A:ACCUM_OFFSET: 0
; COMPUTE_PGM_RSRC3_GFX90A:TG_SPLIT: 0
	.section	.text._ZN7rocprim17ROCPRIM_400000_NS6detail17trampoline_kernelINS0_14default_configENS1_25transform_config_selectorItLb0EEEZNS1_14transform_implILb0ES3_S5_NS0_18transform_iteratorINS0_17counting_iteratorImlEEZNS1_24adjacent_difference_implIS3_Lb1ELb0EPtN6thrust23THRUST_200600_302600_NS16discard_iteratorINSD_11use_defaultEEENSD_5minusItEEEE10hipError_tPvRmT2_T3_mT4_P12ihipStream_tbEUlmE_tEESB_NS0_8identityIvEEEESJ_SM_SN_mSO_SQ_bEUlT_E_NS1_11comp_targetILNS1_3genE2ELNS1_11target_archE906ELNS1_3gpuE6ELNS1_3repE0EEENS1_30default_config_static_selectorELNS0_4arch9wavefront6targetE1EEEvT1_,"axG",@progbits,_ZN7rocprim17ROCPRIM_400000_NS6detail17trampoline_kernelINS0_14default_configENS1_25transform_config_selectorItLb0EEEZNS1_14transform_implILb0ES3_S5_NS0_18transform_iteratorINS0_17counting_iteratorImlEEZNS1_24adjacent_difference_implIS3_Lb1ELb0EPtN6thrust23THRUST_200600_302600_NS16discard_iteratorINSD_11use_defaultEEENSD_5minusItEEEE10hipError_tPvRmT2_T3_mT4_P12ihipStream_tbEUlmE_tEESB_NS0_8identityIvEEEESJ_SM_SN_mSO_SQ_bEUlT_E_NS1_11comp_targetILNS1_3genE2ELNS1_11target_archE906ELNS1_3gpuE6ELNS1_3repE0EEENS1_30default_config_static_selectorELNS0_4arch9wavefront6targetE1EEEvT1_,comdat
	.protected	_ZN7rocprim17ROCPRIM_400000_NS6detail17trampoline_kernelINS0_14default_configENS1_25transform_config_selectorItLb0EEEZNS1_14transform_implILb0ES3_S5_NS0_18transform_iteratorINS0_17counting_iteratorImlEEZNS1_24adjacent_difference_implIS3_Lb1ELb0EPtN6thrust23THRUST_200600_302600_NS16discard_iteratorINSD_11use_defaultEEENSD_5minusItEEEE10hipError_tPvRmT2_T3_mT4_P12ihipStream_tbEUlmE_tEESB_NS0_8identityIvEEEESJ_SM_SN_mSO_SQ_bEUlT_E_NS1_11comp_targetILNS1_3genE2ELNS1_11target_archE906ELNS1_3gpuE6ELNS1_3repE0EEENS1_30default_config_static_selectorELNS0_4arch9wavefront6targetE1EEEvT1_ ; -- Begin function _ZN7rocprim17ROCPRIM_400000_NS6detail17trampoline_kernelINS0_14default_configENS1_25transform_config_selectorItLb0EEEZNS1_14transform_implILb0ES3_S5_NS0_18transform_iteratorINS0_17counting_iteratorImlEEZNS1_24adjacent_difference_implIS3_Lb1ELb0EPtN6thrust23THRUST_200600_302600_NS16discard_iteratorINSD_11use_defaultEEENSD_5minusItEEEE10hipError_tPvRmT2_T3_mT4_P12ihipStream_tbEUlmE_tEESB_NS0_8identityIvEEEESJ_SM_SN_mSO_SQ_bEUlT_E_NS1_11comp_targetILNS1_3genE2ELNS1_11target_archE906ELNS1_3gpuE6ELNS1_3repE0EEENS1_30default_config_static_selectorELNS0_4arch9wavefront6targetE1EEEvT1_
	.globl	_ZN7rocprim17ROCPRIM_400000_NS6detail17trampoline_kernelINS0_14default_configENS1_25transform_config_selectorItLb0EEEZNS1_14transform_implILb0ES3_S5_NS0_18transform_iteratorINS0_17counting_iteratorImlEEZNS1_24adjacent_difference_implIS3_Lb1ELb0EPtN6thrust23THRUST_200600_302600_NS16discard_iteratorINSD_11use_defaultEEENSD_5minusItEEEE10hipError_tPvRmT2_T3_mT4_P12ihipStream_tbEUlmE_tEESB_NS0_8identityIvEEEESJ_SM_SN_mSO_SQ_bEUlT_E_NS1_11comp_targetILNS1_3genE2ELNS1_11target_archE906ELNS1_3gpuE6ELNS1_3repE0EEENS1_30default_config_static_selectorELNS0_4arch9wavefront6targetE1EEEvT1_
	.p2align	8
	.type	_ZN7rocprim17ROCPRIM_400000_NS6detail17trampoline_kernelINS0_14default_configENS1_25transform_config_selectorItLb0EEEZNS1_14transform_implILb0ES3_S5_NS0_18transform_iteratorINS0_17counting_iteratorImlEEZNS1_24adjacent_difference_implIS3_Lb1ELb0EPtN6thrust23THRUST_200600_302600_NS16discard_iteratorINSD_11use_defaultEEENSD_5minusItEEEE10hipError_tPvRmT2_T3_mT4_P12ihipStream_tbEUlmE_tEESB_NS0_8identityIvEEEESJ_SM_SN_mSO_SQ_bEUlT_E_NS1_11comp_targetILNS1_3genE2ELNS1_11target_archE906ELNS1_3gpuE6ELNS1_3repE0EEENS1_30default_config_static_selectorELNS0_4arch9wavefront6targetE1EEEvT1_,@function
_ZN7rocprim17ROCPRIM_400000_NS6detail17trampoline_kernelINS0_14default_configENS1_25transform_config_selectorItLb0EEEZNS1_14transform_implILb0ES3_S5_NS0_18transform_iteratorINS0_17counting_iteratorImlEEZNS1_24adjacent_difference_implIS3_Lb1ELb0EPtN6thrust23THRUST_200600_302600_NS16discard_iteratorINSD_11use_defaultEEENSD_5minusItEEEE10hipError_tPvRmT2_T3_mT4_P12ihipStream_tbEUlmE_tEESB_NS0_8identityIvEEEESJ_SM_SN_mSO_SQ_bEUlT_E_NS1_11comp_targetILNS1_3genE2ELNS1_11target_archE906ELNS1_3gpuE6ELNS1_3repE0EEENS1_30default_config_static_selectorELNS0_4arch9wavefront6targetE1EEEvT1_: ; @_ZN7rocprim17ROCPRIM_400000_NS6detail17trampoline_kernelINS0_14default_configENS1_25transform_config_selectorItLb0EEEZNS1_14transform_implILb0ES3_S5_NS0_18transform_iteratorINS0_17counting_iteratorImlEEZNS1_24adjacent_difference_implIS3_Lb1ELb0EPtN6thrust23THRUST_200600_302600_NS16discard_iteratorINSD_11use_defaultEEENSD_5minusItEEEE10hipError_tPvRmT2_T3_mT4_P12ihipStream_tbEUlmE_tEESB_NS0_8identityIvEEEESJ_SM_SN_mSO_SQ_bEUlT_E_NS1_11comp_targetILNS1_3genE2ELNS1_11target_archE906ELNS1_3gpuE6ELNS1_3repE0EEENS1_30default_config_static_selectorELNS0_4arch9wavefront6targetE1EEEvT1_
; %bb.0:
	.section	.rodata,"a",@progbits
	.p2align	6, 0x0
	.amdhsa_kernel _ZN7rocprim17ROCPRIM_400000_NS6detail17trampoline_kernelINS0_14default_configENS1_25transform_config_selectorItLb0EEEZNS1_14transform_implILb0ES3_S5_NS0_18transform_iteratorINS0_17counting_iteratorImlEEZNS1_24adjacent_difference_implIS3_Lb1ELb0EPtN6thrust23THRUST_200600_302600_NS16discard_iteratorINSD_11use_defaultEEENSD_5minusItEEEE10hipError_tPvRmT2_T3_mT4_P12ihipStream_tbEUlmE_tEESB_NS0_8identityIvEEEESJ_SM_SN_mSO_SQ_bEUlT_E_NS1_11comp_targetILNS1_3genE2ELNS1_11target_archE906ELNS1_3gpuE6ELNS1_3repE0EEENS1_30default_config_static_selectorELNS0_4arch9wavefront6targetE1EEEvT1_
		.amdhsa_group_segment_fixed_size 0
		.amdhsa_private_segment_fixed_size 0
		.amdhsa_kernarg_size 56
		.amdhsa_user_sgpr_count 2
		.amdhsa_user_sgpr_dispatch_ptr 0
		.amdhsa_user_sgpr_queue_ptr 0
		.amdhsa_user_sgpr_kernarg_segment_ptr 1
		.amdhsa_user_sgpr_dispatch_id 0
		.amdhsa_user_sgpr_kernarg_preload_length 0
		.amdhsa_user_sgpr_kernarg_preload_offset 0
		.amdhsa_user_sgpr_private_segment_size 0
		.amdhsa_uses_dynamic_stack 0
		.amdhsa_enable_private_segment 0
		.amdhsa_system_sgpr_workgroup_id_x 1
		.amdhsa_system_sgpr_workgroup_id_y 0
		.amdhsa_system_sgpr_workgroup_id_z 0
		.amdhsa_system_sgpr_workgroup_info 0
		.amdhsa_system_vgpr_workitem_id 0
		.amdhsa_next_free_vgpr 1
		.amdhsa_next_free_sgpr 0
		.amdhsa_accum_offset 4
		.amdhsa_reserve_vcc 0
		.amdhsa_float_round_mode_32 0
		.amdhsa_float_round_mode_16_64 0
		.amdhsa_float_denorm_mode_32 3
		.amdhsa_float_denorm_mode_16_64 3
		.amdhsa_dx10_clamp 1
		.amdhsa_ieee_mode 1
		.amdhsa_fp16_overflow 0
		.amdhsa_tg_split 0
		.amdhsa_exception_fp_ieee_invalid_op 0
		.amdhsa_exception_fp_denorm_src 0
		.amdhsa_exception_fp_ieee_div_zero 0
		.amdhsa_exception_fp_ieee_overflow 0
		.amdhsa_exception_fp_ieee_underflow 0
		.amdhsa_exception_fp_ieee_inexact 0
		.amdhsa_exception_int_div_zero 0
	.end_amdhsa_kernel
	.section	.text._ZN7rocprim17ROCPRIM_400000_NS6detail17trampoline_kernelINS0_14default_configENS1_25transform_config_selectorItLb0EEEZNS1_14transform_implILb0ES3_S5_NS0_18transform_iteratorINS0_17counting_iteratorImlEEZNS1_24adjacent_difference_implIS3_Lb1ELb0EPtN6thrust23THRUST_200600_302600_NS16discard_iteratorINSD_11use_defaultEEENSD_5minusItEEEE10hipError_tPvRmT2_T3_mT4_P12ihipStream_tbEUlmE_tEESB_NS0_8identityIvEEEESJ_SM_SN_mSO_SQ_bEUlT_E_NS1_11comp_targetILNS1_3genE2ELNS1_11target_archE906ELNS1_3gpuE6ELNS1_3repE0EEENS1_30default_config_static_selectorELNS0_4arch9wavefront6targetE1EEEvT1_,"axG",@progbits,_ZN7rocprim17ROCPRIM_400000_NS6detail17trampoline_kernelINS0_14default_configENS1_25transform_config_selectorItLb0EEEZNS1_14transform_implILb0ES3_S5_NS0_18transform_iteratorINS0_17counting_iteratorImlEEZNS1_24adjacent_difference_implIS3_Lb1ELb0EPtN6thrust23THRUST_200600_302600_NS16discard_iteratorINSD_11use_defaultEEENSD_5minusItEEEE10hipError_tPvRmT2_T3_mT4_P12ihipStream_tbEUlmE_tEESB_NS0_8identityIvEEEESJ_SM_SN_mSO_SQ_bEUlT_E_NS1_11comp_targetILNS1_3genE2ELNS1_11target_archE906ELNS1_3gpuE6ELNS1_3repE0EEENS1_30default_config_static_selectorELNS0_4arch9wavefront6targetE1EEEvT1_,comdat
.Lfunc_end721:
	.size	_ZN7rocprim17ROCPRIM_400000_NS6detail17trampoline_kernelINS0_14default_configENS1_25transform_config_selectorItLb0EEEZNS1_14transform_implILb0ES3_S5_NS0_18transform_iteratorINS0_17counting_iteratorImlEEZNS1_24adjacent_difference_implIS3_Lb1ELb0EPtN6thrust23THRUST_200600_302600_NS16discard_iteratorINSD_11use_defaultEEENSD_5minusItEEEE10hipError_tPvRmT2_T3_mT4_P12ihipStream_tbEUlmE_tEESB_NS0_8identityIvEEEESJ_SM_SN_mSO_SQ_bEUlT_E_NS1_11comp_targetILNS1_3genE2ELNS1_11target_archE906ELNS1_3gpuE6ELNS1_3repE0EEENS1_30default_config_static_selectorELNS0_4arch9wavefront6targetE1EEEvT1_, .Lfunc_end721-_ZN7rocprim17ROCPRIM_400000_NS6detail17trampoline_kernelINS0_14default_configENS1_25transform_config_selectorItLb0EEEZNS1_14transform_implILb0ES3_S5_NS0_18transform_iteratorINS0_17counting_iteratorImlEEZNS1_24adjacent_difference_implIS3_Lb1ELb0EPtN6thrust23THRUST_200600_302600_NS16discard_iteratorINSD_11use_defaultEEENSD_5minusItEEEE10hipError_tPvRmT2_T3_mT4_P12ihipStream_tbEUlmE_tEESB_NS0_8identityIvEEEESJ_SM_SN_mSO_SQ_bEUlT_E_NS1_11comp_targetILNS1_3genE2ELNS1_11target_archE906ELNS1_3gpuE6ELNS1_3repE0EEENS1_30default_config_static_selectorELNS0_4arch9wavefront6targetE1EEEvT1_
                                        ; -- End function
	.section	.AMDGPU.csdata,"",@progbits
; Kernel info:
; codeLenInByte = 0
; NumSgprs: 6
; NumVgprs: 0
; NumAgprs: 0
; TotalNumVgprs: 0
; ScratchSize: 0
; MemoryBound: 0
; FloatMode: 240
; IeeeMode: 1
; LDSByteSize: 0 bytes/workgroup (compile time only)
; SGPRBlocks: 0
; VGPRBlocks: 0
; NumSGPRsForWavesPerEU: 6
; NumVGPRsForWavesPerEU: 1
; AccumOffset: 4
; Occupancy: 8
; WaveLimiterHint : 0
; COMPUTE_PGM_RSRC2:SCRATCH_EN: 0
; COMPUTE_PGM_RSRC2:USER_SGPR: 2
; COMPUTE_PGM_RSRC2:TRAP_HANDLER: 0
; COMPUTE_PGM_RSRC2:TGID_X_EN: 1
; COMPUTE_PGM_RSRC2:TGID_Y_EN: 0
; COMPUTE_PGM_RSRC2:TGID_Z_EN: 0
; COMPUTE_PGM_RSRC2:TIDIG_COMP_CNT: 0
; COMPUTE_PGM_RSRC3_GFX90A:ACCUM_OFFSET: 0
; COMPUTE_PGM_RSRC3_GFX90A:TG_SPLIT: 0
	.section	.text._ZN7rocprim17ROCPRIM_400000_NS6detail17trampoline_kernelINS0_14default_configENS1_25transform_config_selectorItLb0EEEZNS1_14transform_implILb0ES3_S5_NS0_18transform_iteratorINS0_17counting_iteratorImlEEZNS1_24adjacent_difference_implIS3_Lb1ELb0EPtN6thrust23THRUST_200600_302600_NS16discard_iteratorINSD_11use_defaultEEENSD_5minusItEEEE10hipError_tPvRmT2_T3_mT4_P12ihipStream_tbEUlmE_tEESB_NS0_8identityIvEEEESJ_SM_SN_mSO_SQ_bEUlT_E_NS1_11comp_targetILNS1_3genE10ELNS1_11target_archE1201ELNS1_3gpuE5ELNS1_3repE0EEENS1_30default_config_static_selectorELNS0_4arch9wavefront6targetE1EEEvT1_,"axG",@progbits,_ZN7rocprim17ROCPRIM_400000_NS6detail17trampoline_kernelINS0_14default_configENS1_25transform_config_selectorItLb0EEEZNS1_14transform_implILb0ES3_S5_NS0_18transform_iteratorINS0_17counting_iteratorImlEEZNS1_24adjacent_difference_implIS3_Lb1ELb0EPtN6thrust23THRUST_200600_302600_NS16discard_iteratorINSD_11use_defaultEEENSD_5minusItEEEE10hipError_tPvRmT2_T3_mT4_P12ihipStream_tbEUlmE_tEESB_NS0_8identityIvEEEESJ_SM_SN_mSO_SQ_bEUlT_E_NS1_11comp_targetILNS1_3genE10ELNS1_11target_archE1201ELNS1_3gpuE5ELNS1_3repE0EEENS1_30default_config_static_selectorELNS0_4arch9wavefront6targetE1EEEvT1_,comdat
	.protected	_ZN7rocprim17ROCPRIM_400000_NS6detail17trampoline_kernelINS0_14default_configENS1_25transform_config_selectorItLb0EEEZNS1_14transform_implILb0ES3_S5_NS0_18transform_iteratorINS0_17counting_iteratorImlEEZNS1_24adjacent_difference_implIS3_Lb1ELb0EPtN6thrust23THRUST_200600_302600_NS16discard_iteratorINSD_11use_defaultEEENSD_5minusItEEEE10hipError_tPvRmT2_T3_mT4_P12ihipStream_tbEUlmE_tEESB_NS0_8identityIvEEEESJ_SM_SN_mSO_SQ_bEUlT_E_NS1_11comp_targetILNS1_3genE10ELNS1_11target_archE1201ELNS1_3gpuE5ELNS1_3repE0EEENS1_30default_config_static_selectorELNS0_4arch9wavefront6targetE1EEEvT1_ ; -- Begin function _ZN7rocprim17ROCPRIM_400000_NS6detail17trampoline_kernelINS0_14default_configENS1_25transform_config_selectorItLb0EEEZNS1_14transform_implILb0ES3_S5_NS0_18transform_iteratorINS0_17counting_iteratorImlEEZNS1_24adjacent_difference_implIS3_Lb1ELb0EPtN6thrust23THRUST_200600_302600_NS16discard_iteratorINSD_11use_defaultEEENSD_5minusItEEEE10hipError_tPvRmT2_T3_mT4_P12ihipStream_tbEUlmE_tEESB_NS0_8identityIvEEEESJ_SM_SN_mSO_SQ_bEUlT_E_NS1_11comp_targetILNS1_3genE10ELNS1_11target_archE1201ELNS1_3gpuE5ELNS1_3repE0EEENS1_30default_config_static_selectorELNS0_4arch9wavefront6targetE1EEEvT1_
	.globl	_ZN7rocprim17ROCPRIM_400000_NS6detail17trampoline_kernelINS0_14default_configENS1_25transform_config_selectorItLb0EEEZNS1_14transform_implILb0ES3_S5_NS0_18transform_iteratorINS0_17counting_iteratorImlEEZNS1_24adjacent_difference_implIS3_Lb1ELb0EPtN6thrust23THRUST_200600_302600_NS16discard_iteratorINSD_11use_defaultEEENSD_5minusItEEEE10hipError_tPvRmT2_T3_mT4_P12ihipStream_tbEUlmE_tEESB_NS0_8identityIvEEEESJ_SM_SN_mSO_SQ_bEUlT_E_NS1_11comp_targetILNS1_3genE10ELNS1_11target_archE1201ELNS1_3gpuE5ELNS1_3repE0EEENS1_30default_config_static_selectorELNS0_4arch9wavefront6targetE1EEEvT1_
	.p2align	8
	.type	_ZN7rocprim17ROCPRIM_400000_NS6detail17trampoline_kernelINS0_14default_configENS1_25transform_config_selectorItLb0EEEZNS1_14transform_implILb0ES3_S5_NS0_18transform_iteratorINS0_17counting_iteratorImlEEZNS1_24adjacent_difference_implIS3_Lb1ELb0EPtN6thrust23THRUST_200600_302600_NS16discard_iteratorINSD_11use_defaultEEENSD_5minusItEEEE10hipError_tPvRmT2_T3_mT4_P12ihipStream_tbEUlmE_tEESB_NS0_8identityIvEEEESJ_SM_SN_mSO_SQ_bEUlT_E_NS1_11comp_targetILNS1_3genE10ELNS1_11target_archE1201ELNS1_3gpuE5ELNS1_3repE0EEENS1_30default_config_static_selectorELNS0_4arch9wavefront6targetE1EEEvT1_,@function
_ZN7rocprim17ROCPRIM_400000_NS6detail17trampoline_kernelINS0_14default_configENS1_25transform_config_selectorItLb0EEEZNS1_14transform_implILb0ES3_S5_NS0_18transform_iteratorINS0_17counting_iteratorImlEEZNS1_24adjacent_difference_implIS3_Lb1ELb0EPtN6thrust23THRUST_200600_302600_NS16discard_iteratorINSD_11use_defaultEEENSD_5minusItEEEE10hipError_tPvRmT2_T3_mT4_P12ihipStream_tbEUlmE_tEESB_NS0_8identityIvEEEESJ_SM_SN_mSO_SQ_bEUlT_E_NS1_11comp_targetILNS1_3genE10ELNS1_11target_archE1201ELNS1_3gpuE5ELNS1_3repE0EEENS1_30default_config_static_selectorELNS0_4arch9wavefront6targetE1EEEvT1_: ; @_ZN7rocprim17ROCPRIM_400000_NS6detail17trampoline_kernelINS0_14default_configENS1_25transform_config_selectorItLb0EEEZNS1_14transform_implILb0ES3_S5_NS0_18transform_iteratorINS0_17counting_iteratorImlEEZNS1_24adjacent_difference_implIS3_Lb1ELb0EPtN6thrust23THRUST_200600_302600_NS16discard_iteratorINSD_11use_defaultEEENSD_5minusItEEEE10hipError_tPvRmT2_T3_mT4_P12ihipStream_tbEUlmE_tEESB_NS0_8identityIvEEEESJ_SM_SN_mSO_SQ_bEUlT_E_NS1_11comp_targetILNS1_3genE10ELNS1_11target_archE1201ELNS1_3gpuE5ELNS1_3repE0EEENS1_30default_config_static_selectorELNS0_4arch9wavefront6targetE1EEEvT1_
; %bb.0:
	.section	.rodata,"a",@progbits
	.p2align	6, 0x0
	.amdhsa_kernel _ZN7rocprim17ROCPRIM_400000_NS6detail17trampoline_kernelINS0_14default_configENS1_25transform_config_selectorItLb0EEEZNS1_14transform_implILb0ES3_S5_NS0_18transform_iteratorINS0_17counting_iteratorImlEEZNS1_24adjacent_difference_implIS3_Lb1ELb0EPtN6thrust23THRUST_200600_302600_NS16discard_iteratorINSD_11use_defaultEEENSD_5minusItEEEE10hipError_tPvRmT2_T3_mT4_P12ihipStream_tbEUlmE_tEESB_NS0_8identityIvEEEESJ_SM_SN_mSO_SQ_bEUlT_E_NS1_11comp_targetILNS1_3genE10ELNS1_11target_archE1201ELNS1_3gpuE5ELNS1_3repE0EEENS1_30default_config_static_selectorELNS0_4arch9wavefront6targetE1EEEvT1_
		.amdhsa_group_segment_fixed_size 0
		.amdhsa_private_segment_fixed_size 0
		.amdhsa_kernarg_size 56
		.amdhsa_user_sgpr_count 2
		.amdhsa_user_sgpr_dispatch_ptr 0
		.amdhsa_user_sgpr_queue_ptr 0
		.amdhsa_user_sgpr_kernarg_segment_ptr 1
		.amdhsa_user_sgpr_dispatch_id 0
		.amdhsa_user_sgpr_kernarg_preload_length 0
		.amdhsa_user_sgpr_kernarg_preload_offset 0
		.amdhsa_user_sgpr_private_segment_size 0
		.amdhsa_uses_dynamic_stack 0
		.amdhsa_enable_private_segment 0
		.amdhsa_system_sgpr_workgroup_id_x 1
		.amdhsa_system_sgpr_workgroup_id_y 0
		.amdhsa_system_sgpr_workgroup_id_z 0
		.amdhsa_system_sgpr_workgroup_info 0
		.amdhsa_system_vgpr_workitem_id 0
		.amdhsa_next_free_vgpr 1
		.amdhsa_next_free_sgpr 0
		.amdhsa_accum_offset 4
		.amdhsa_reserve_vcc 0
		.amdhsa_float_round_mode_32 0
		.amdhsa_float_round_mode_16_64 0
		.amdhsa_float_denorm_mode_32 3
		.amdhsa_float_denorm_mode_16_64 3
		.amdhsa_dx10_clamp 1
		.amdhsa_ieee_mode 1
		.amdhsa_fp16_overflow 0
		.amdhsa_tg_split 0
		.amdhsa_exception_fp_ieee_invalid_op 0
		.amdhsa_exception_fp_denorm_src 0
		.amdhsa_exception_fp_ieee_div_zero 0
		.amdhsa_exception_fp_ieee_overflow 0
		.amdhsa_exception_fp_ieee_underflow 0
		.amdhsa_exception_fp_ieee_inexact 0
		.amdhsa_exception_int_div_zero 0
	.end_amdhsa_kernel
	.section	.text._ZN7rocprim17ROCPRIM_400000_NS6detail17trampoline_kernelINS0_14default_configENS1_25transform_config_selectorItLb0EEEZNS1_14transform_implILb0ES3_S5_NS0_18transform_iteratorINS0_17counting_iteratorImlEEZNS1_24adjacent_difference_implIS3_Lb1ELb0EPtN6thrust23THRUST_200600_302600_NS16discard_iteratorINSD_11use_defaultEEENSD_5minusItEEEE10hipError_tPvRmT2_T3_mT4_P12ihipStream_tbEUlmE_tEESB_NS0_8identityIvEEEESJ_SM_SN_mSO_SQ_bEUlT_E_NS1_11comp_targetILNS1_3genE10ELNS1_11target_archE1201ELNS1_3gpuE5ELNS1_3repE0EEENS1_30default_config_static_selectorELNS0_4arch9wavefront6targetE1EEEvT1_,"axG",@progbits,_ZN7rocprim17ROCPRIM_400000_NS6detail17trampoline_kernelINS0_14default_configENS1_25transform_config_selectorItLb0EEEZNS1_14transform_implILb0ES3_S5_NS0_18transform_iteratorINS0_17counting_iteratorImlEEZNS1_24adjacent_difference_implIS3_Lb1ELb0EPtN6thrust23THRUST_200600_302600_NS16discard_iteratorINSD_11use_defaultEEENSD_5minusItEEEE10hipError_tPvRmT2_T3_mT4_P12ihipStream_tbEUlmE_tEESB_NS0_8identityIvEEEESJ_SM_SN_mSO_SQ_bEUlT_E_NS1_11comp_targetILNS1_3genE10ELNS1_11target_archE1201ELNS1_3gpuE5ELNS1_3repE0EEENS1_30default_config_static_selectorELNS0_4arch9wavefront6targetE1EEEvT1_,comdat
.Lfunc_end722:
	.size	_ZN7rocprim17ROCPRIM_400000_NS6detail17trampoline_kernelINS0_14default_configENS1_25transform_config_selectorItLb0EEEZNS1_14transform_implILb0ES3_S5_NS0_18transform_iteratorINS0_17counting_iteratorImlEEZNS1_24adjacent_difference_implIS3_Lb1ELb0EPtN6thrust23THRUST_200600_302600_NS16discard_iteratorINSD_11use_defaultEEENSD_5minusItEEEE10hipError_tPvRmT2_T3_mT4_P12ihipStream_tbEUlmE_tEESB_NS0_8identityIvEEEESJ_SM_SN_mSO_SQ_bEUlT_E_NS1_11comp_targetILNS1_3genE10ELNS1_11target_archE1201ELNS1_3gpuE5ELNS1_3repE0EEENS1_30default_config_static_selectorELNS0_4arch9wavefront6targetE1EEEvT1_, .Lfunc_end722-_ZN7rocprim17ROCPRIM_400000_NS6detail17trampoline_kernelINS0_14default_configENS1_25transform_config_selectorItLb0EEEZNS1_14transform_implILb0ES3_S5_NS0_18transform_iteratorINS0_17counting_iteratorImlEEZNS1_24adjacent_difference_implIS3_Lb1ELb0EPtN6thrust23THRUST_200600_302600_NS16discard_iteratorINSD_11use_defaultEEENSD_5minusItEEEE10hipError_tPvRmT2_T3_mT4_P12ihipStream_tbEUlmE_tEESB_NS0_8identityIvEEEESJ_SM_SN_mSO_SQ_bEUlT_E_NS1_11comp_targetILNS1_3genE10ELNS1_11target_archE1201ELNS1_3gpuE5ELNS1_3repE0EEENS1_30default_config_static_selectorELNS0_4arch9wavefront6targetE1EEEvT1_
                                        ; -- End function
	.section	.AMDGPU.csdata,"",@progbits
; Kernel info:
; codeLenInByte = 0
; NumSgprs: 6
; NumVgprs: 0
; NumAgprs: 0
; TotalNumVgprs: 0
; ScratchSize: 0
; MemoryBound: 0
; FloatMode: 240
; IeeeMode: 1
; LDSByteSize: 0 bytes/workgroup (compile time only)
; SGPRBlocks: 0
; VGPRBlocks: 0
; NumSGPRsForWavesPerEU: 6
; NumVGPRsForWavesPerEU: 1
; AccumOffset: 4
; Occupancy: 8
; WaveLimiterHint : 0
; COMPUTE_PGM_RSRC2:SCRATCH_EN: 0
; COMPUTE_PGM_RSRC2:USER_SGPR: 2
; COMPUTE_PGM_RSRC2:TRAP_HANDLER: 0
; COMPUTE_PGM_RSRC2:TGID_X_EN: 1
; COMPUTE_PGM_RSRC2:TGID_Y_EN: 0
; COMPUTE_PGM_RSRC2:TGID_Z_EN: 0
; COMPUTE_PGM_RSRC2:TIDIG_COMP_CNT: 0
; COMPUTE_PGM_RSRC3_GFX90A:ACCUM_OFFSET: 0
; COMPUTE_PGM_RSRC3_GFX90A:TG_SPLIT: 0
	.section	.text._ZN7rocprim17ROCPRIM_400000_NS6detail17trampoline_kernelINS0_14default_configENS1_25transform_config_selectorItLb0EEEZNS1_14transform_implILb0ES3_S5_NS0_18transform_iteratorINS0_17counting_iteratorImlEEZNS1_24adjacent_difference_implIS3_Lb1ELb0EPtN6thrust23THRUST_200600_302600_NS16discard_iteratorINSD_11use_defaultEEENSD_5minusItEEEE10hipError_tPvRmT2_T3_mT4_P12ihipStream_tbEUlmE_tEESB_NS0_8identityIvEEEESJ_SM_SN_mSO_SQ_bEUlT_E_NS1_11comp_targetILNS1_3genE10ELNS1_11target_archE1200ELNS1_3gpuE4ELNS1_3repE0EEENS1_30default_config_static_selectorELNS0_4arch9wavefront6targetE1EEEvT1_,"axG",@progbits,_ZN7rocprim17ROCPRIM_400000_NS6detail17trampoline_kernelINS0_14default_configENS1_25transform_config_selectorItLb0EEEZNS1_14transform_implILb0ES3_S5_NS0_18transform_iteratorINS0_17counting_iteratorImlEEZNS1_24adjacent_difference_implIS3_Lb1ELb0EPtN6thrust23THRUST_200600_302600_NS16discard_iteratorINSD_11use_defaultEEENSD_5minusItEEEE10hipError_tPvRmT2_T3_mT4_P12ihipStream_tbEUlmE_tEESB_NS0_8identityIvEEEESJ_SM_SN_mSO_SQ_bEUlT_E_NS1_11comp_targetILNS1_3genE10ELNS1_11target_archE1200ELNS1_3gpuE4ELNS1_3repE0EEENS1_30default_config_static_selectorELNS0_4arch9wavefront6targetE1EEEvT1_,comdat
	.protected	_ZN7rocprim17ROCPRIM_400000_NS6detail17trampoline_kernelINS0_14default_configENS1_25transform_config_selectorItLb0EEEZNS1_14transform_implILb0ES3_S5_NS0_18transform_iteratorINS0_17counting_iteratorImlEEZNS1_24adjacent_difference_implIS3_Lb1ELb0EPtN6thrust23THRUST_200600_302600_NS16discard_iteratorINSD_11use_defaultEEENSD_5minusItEEEE10hipError_tPvRmT2_T3_mT4_P12ihipStream_tbEUlmE_tEESB_NS0_8identityIvEEEESJ_SM_SN_mSO_SQ_bEUlT_E_NS1_11comp_targetILNS1_3genE10ELNS1_11target_archE1200ELNS1_3gpuE4ELNS1_3repE0EEENS1_30default_config_static_selectorELNS0_4arch9wavefront6targetE1EEEvT1_ ; -- Begin function _ZN7rocprim17ROCPRIM_400000_NS6detail17trampoline_kernelINS0_14default_configENS1_25transform_config_selectorItLb0EEEZNS1_14transform_implILb0ES3_S5_NS0_18transform_iteratorINS0_17counting_iteratorImlEEZNS1_24adjacent_difference_implIS3_Lb1ELb0EPtN6thrust23THRUST_200600_302600_NS16discard_iteratorINSD_11use_defaultEEENSD_5minusItEEEE10hipError_tPvRmT2_T3_mT4_P12ihipStream_tbEUlmE_tEESB_NS0_8identityIvEEEESJ_SM_SN_mSO_SQ_bEUlT_E_NS1_11comp_targetILNS1_3genE10ELNS1_11target_archE1200ELNS1_3gpuE4ELNS1_3repE0EEENS1_30default_config_static_selectorELNS0_4arch9wavefront6targetE1EEEvT1_
	.globl	_ZN7rocprim17ROCPRIM_400000_NS6detail17trampoline_kernelINS0_14default_configENS1_25transform_config_selectorItLb0EEEZNS1_14transform_implILb0ES3_S5_NS0_18transform_iteratorINS0_17counting_iteratorImlEEZNS1_24adjacent_difference_implIS3_Lb1ELb0EPtN6thrust23THRUST_200600_302600_NS16discard_iteratorINSD_11use_defaultEEENSD_5minusItEEEE10hipError_tPvRmT2_T3_mT4_P12ihipStream_tbEUlmE_tEESB_NS0_8identityIvEEEESJ_SM_SN_mSO_SQ_bEUlT_E_NS1_11comp_targetILNS1_3genE10ELNS1_11target_archE1200ELNS1_3gpuE4ELNS1_3repE0EEENS1_30default_config_static_selectorELNS0_4arch9wavefront6targetE1EEEvT1_
	.p2align	8
	.type	_ZN7rocprim17ROCPRIM_400000_NS6detail17trampoline_kernelINS0_14default_configENS1_25transform_config_selectorItLb0EEEZNS1_14transform_implILb0ES3_S5_NS0_18transform_iteratorINS0_17counting_iteratorImlEEZNS1_24adjacent_difference_implIS3_Lb1ELb0EPtN6thrust23THRUST_200600_302600_NS16discard_iteratorINSD_11use_defaultEEENSD_5minusItEEEE10hipError_tPvRmT2_T3_mT4_P12ihipStream_tbEUlmE_tEESB_NS0_8identityIvEEEESJ_SM_SN_mSO_SQ_bEUlT_E_NS1_11comp_targetILNS1_3genE10ELNS1_11target_archE1200ELNS1_3gpuE4ELNS1_3repE0EEENS1_30default_config_static_selectorELNS0_4arch9wavefront6targetE1EEEvT1_,@function
_ZN7rocprim17ROCPRIM_400000_NS6detail17trampoline_kernelINS0_14default_configENS1_25transform_config_selectorItLb0EEEZNS1_14transform_implILb0ES3_S5_NS0_18transform_iteratorINS0_17counting_iteratorImlEEZNS1_24adjacent_difference_implIS3_Lb1ELb0EPtN6thrust23THRUST_200600_302600_NS16discard_iteratorINSD_11use_defaultEEENSD_5minusItEEEE10hipError_tPvRmT2_T3_mT4_P12ihipStream_tbEUlmE_tEESB_NS0_8identityIvEEEESJ_SM_SN_mSO_SQ_bEUlT_E_NS1_11comp_targetILNS1_3genE10ELNS1_11target_archE1200ELNS1_3gpuE4ELNS1_3repE0EEENS1_30default_config_static_selectorELNS0_4arch9wavefront6targetE1EEEvT1_: ; @_ZN7rocprim17ROCPRIM_400000_NS6detail17trampoline_kernelINS0_14default_configENS1_25transform_config_selectorItLb0EEEZNS1_14transform_implILb0ES3_S5_NS0_18transform_iteratorINS0_17counting_iteratorImlEEZNS1_24adjacent_difference_implIS3_Lb1ELb0EPtN6thrust23THRUST_200600_302600_NS16discard_iteratorINSD_11use_defaultEEENSD_5minusItEEEE10hipError_tPvRmT2_T3_mT4_P12ihipStream_tbEUlmE_tEESB_NS0_8identityIvEEEESJ_SM_SN_mSO_SQ_bEUlT_E_NS1_11comp_targetILNS1_3genE10ELNS1_11target_archE1200ELNS1_3gpuE4ELNS1_3repE0EEENS1_30default_config_static_selectorELNS0_4arch9wavefront6targetE1EEEvT1_
; %bb.0:
	.section	.rodata,"a",@progbits
	.p2align	6, 0x0
	.amdhsa_kernel _ZN7rocprim17ROCPRIM_400000_NS6detail17trampoline_kernelINS0_14default_configENS1_25transform_config_selectorItLb0EEEZNS1_14transform_implILb0ES3_S5_NS0_18transform_iteratorINS0_17counting_iteratorImlEEZNS1_24adjacent_difference_implIS3_Lb1ELb0EPtN6thrust23THRUST_200600_302600_NS16discard_iteratorINSD_11use_defaultEEENSD_5minusItEEEE10hipError_tPvRmT2_T3_mT4_P12ihipStream_tbEUlmE_tEESB_NS0_8identityIvEEEESJ_SM_SN_mSO_SQ_bEUlT_E_NS1_11comp_targetILNS1_3genE10ELNS1_11target_archE1200ELNS1_3gpuE4ELNS1_3repE0EEENS1_30default_config_static_selectorELNS0_4arch9wavefront6targetE1EEEvT1_
		.amdhsa_group_segment_fixed_size 0
		.amdhsa_private_segment_fixed_size 0
		.amdhsa_kernarg_size 56
		.amdhsa_user_sgpr_count 2
		.amdhsa_user_sgpr_dispatch_ptr 0
		.amdhsa_user_sgpr_queue_ptr 0
		.amdhsa_user_sgpr_kernarg_segment_ptr 1
		.amdhsa_user_sgpr_dispatch_id 0
		.amdhsa_user_sgpr_kernarg_preload_length 0
		.amdhsa_user_sgpr_kernarg_preload_offset 0
		.amdhsa_user_sgpr_private_segment_size 0
		.amdhsa_uses_dynamic_stack 0
		.amdhsa_enable_private_segment 0
		.amdhsa_system_sgpr_workgroup_id_x 1
		.amdhsa_system_sgpr_workgroup_id_y 0
		.amdhsa_system_sgpr_workgroup_id_z 0
		.amdhsa_system_sgpr_workgroup_info 0
		.amdhsa_system_vgpr_workitem_id 0
		.amdhsa_next_free_vgpr 1
		.amdhsa_next_free_sgpr 0
		.amdhsa_accum_offset 4
		.amdhsa_reserve_vcc 0
		.amdhsa_float_round_mode_32 0
		.amdhsa_float_round_mode_16_64 0
		.amdhsa_float_denorm_mode_32 3
		.amdhsa_float_denorm_mode_16_64 3
		.amdhsa_dx10_clamp 1
		.amdhsa_ieee_mode 1
		.amdhsa_fp16_overflow 0
		.amdhsa_tg_split 0
		.amdhsa_exception_fp_ieee_invalid_op 0
		.amdhsa_exception_fp_denorm_src 0
		.amdhsa_exception_fp_ieee_div_zero 0
		.amdhsa_exception_fp_ieee_overflow 0
		.amdhsa_exception_fp_ieee_underflow 0
		.amdhsa_exception_fp_ieee_inexact 0
		.amdhsa_exception_int_div_zero 0
	.end_amdhsa_kernel
	.section	.text._ZN7rocprim17ROCPRIM_400000_NS6detail17trampoline_kernelINS0_14default_configENS1_25transform_config_selectorItLb0EEEZNS1_14transform_implILb0ES3_S5_NS0_18transform_iteratorINS0_17counting_iteratorImlEEZNS1_24adjacent_difference_implIS3_Lb1ELb0EPtN6thrust23THRUST_200600_302600_NS16discard_iteratorINSD_11use_defaultEEENSD_5minusItEEEE10hipError_tPvRmT2_T3_mT4_P12ihipStream_tbEUlmE_tEESB_NS0_8identityIvEEEESJ_SM_SN_mSO_SQ_bEUlT_E_NS1_11comp_targetILNS1_3genE10ELNS1_11target_archE1200ELNS1_3gpuE4ELNS1_3repE0EEENS1_30default_config_static_selectorELNS0_4arch9wavefront6targetE1EEEvT1_,"axG",@progbits,_ZN7rocprim17ROCPRIM_400000_NS6detail17trampoline_kernelINS0_14default_configENS1_25transform_config_selectorItLb0EEEZNS1_14transform_implILb0ES3_S5_NS0_18transform_iteratorINS0_17counting_iteratorImlEEZNS1_24adjacent_difference_implIS3_Lb1ELb0EPtN6thrust23THRUST_200600_302600_NS16discard_iteratorINSD_11use_defaultEEENSD_5minusItEEEE10hipError_tPvRmT2_T3_mT4_P12ihipStream_tbEUlmE_tEESB_NS0_8identityIvEEEESJ_SM_SN_mSO_SQ_bEUlT_E_NS1_11comp_targetILNS1_3genE10ELNS1_11target_archE1200ELNS1_3gpuE4ELNS1_3repE0EEENS1_30default_config_static_selectorELNS0_4arch9wavefront6targetE1EEEvT1_,comdat
.Lfunc_end723:
	.size	_ZN7rocprim17ROCPRIM_400000_NS6detail17trampoline_kernelINS0_14default_configENS1_25transform_config_selectorItLb0EEEZNS1_14transform_implILb0ES3_S5_NS0_18transform_iteratorINS0_17counting_iteratorImlEEZNS1_24adjacent_difference_implIS3_Lb1ELb0EPtN6thrust23THRUST_200600_302600_NS16discard_iteratorINSD_11use_defaultEEENSD_5minusItEEEE10hipError_tPvRmT2_T3_mT4_P12ihipStream_tbEUlmE_tEESB_NS0_8identityIvEEEESJ_SM_SN_mSO_SQ_bEUlT_E_NS1_11comp_targetILNS1_3genE10ELNS1_11target_archE1200ELNS1_3gpuE4ELNS1_3repE0EEENS1_30default_config_static_selectorELNS0_4arch9wavefront6targetE1EEEvT1_, .Lfunc_end723-_ZN7rocprim17ROCPRIM_400000_NS6detail17trampoline_kernelINS0_14default_configENS1_25transform_config_selectorItLb0EEEZNS1_14transform_implILb0ES3_S5_NS0_18transform_iteratorINS0_17counting_iteratorImlEEZNS1_24adjacent_difference_implIS3_Lb1ELb0EPtN6thrust23THRUST_200600_302600_NS16discard_iteratorINSD_11use_defaultEEENSD_5minusItEEEE10hipError_tPvRmT2_T3_mT4_P12ihipStream_tbEUlmE_tEESB_NS0_8identityIvEEEESJ_SM_SN_mSO_SQ_bEUlT_E_NS1_11comp_targetILNS1_3genE10ELNS1_11target_archE1200ELNS1_3gpuE4ELNS1_3repE0EEENS1_30default_config_static_selectorELNS0_4arch9wavefront6targetE1EEEvT1_
                                        ; -- End function
	.section	.AMDGPU.csdata,"",@progbits
; Kernel info:
; codeLenInByte = 0
; NumSgprs: 6
; NumVgprs: 0
; NumAgprs: 0
; TotalNumVgprs: 0
; ScratchSize: 0
; MemoryBound: 0
; FloatMode: 240
; IeeeMode: 1
; LDSByteSize: 0 bytes/workgroup (compile time only)
; SGPRBlocks: 0
; VGPRBlocks: 0
; NumSGPRsForWavesPerEU: 6
; NumVGPRsForWavesPerEU: 1
; AccumOffset: 4
; Occupancy: 8
; WaveLimiterHint : 0
; COMPUTE_PGM_RSRC2:SCRATCH_EN: 0
; COMPUTE_PGM_RSRC2:USER_SGPR: 2
; COMPUTE_PGM_RSRC2:TRAP_HANDLER: 0
; COMPUTE_PGM_RSRC2:TGID_X_EN: 1
; COMPUTE_PGM_RSRC2:TGID_Y_EN: 0
; COMPUTE_PGM_RSRC2:TGID_Z_EN: 0
; COMPUTE_PGM_RSRC2:TIDIG_COMP_CNT: 0
; COMPUTE_PGM_RSRC3_GFX90A:ACCUM_OFFSET: 0
; COMPUTE_PGM_RSRC3_GFX90A:TG_SPLIT: 0
	.section	.text._ZN7rocprim17ROCPRIM_400000_NS6detail17trampoline_kernelINS0_14default_configENS1_25transform_config_selectorItLb0EEEZNS1_14transform_implILb0ES3_S5_NS0_18transform_iteratorINS0_17counting_iteratorImlEEZNS1_24adjacent_difference_implIS3_Lb1ELb0EPtN6thrust23THRUST_200600_302600_NS16discard_iteratorINSD_11use_defaultEEENSD_5minusItEEEE10hipError_tPvRmT2_T3_mT4_P12ihipStream_tbEUlmE_tEESB_NS0_8identityIvEEEESJ_SM_SN_mSO_SQ_bEUlT_E_NS1_11comp_targetILNS1_3genE9ELNS1_11target_archE1100ELNS1_3gpuE3ELNS1_3repE0EEENS1_30default_config_static_selectorELNS0_4arch9wavefront6targetE1EEEvT1_,"axG",@progbits,_ZN7rocprim17ROCPRIM_400000_NS6detail17trampoline_kernelINS0_14default_configENS1_25transform_config_selectorItLb0EEEZNS1_14transform_implILb0ES3_S5_NS0_18transform_iteratorINS0_17counting_iteratorImlEEZNS1_24adjacent_difference_implIS3_Lb1ELb0EPtN6thrust23THRUST_200600_302600_NS16discard_iteratorINSD_11use_defaultEEENSD_5minusItEEEE10hipError_tPvRmT2_T3_mT4_P12ihipStream_tbEUlmE_tEESB_NS0_8identityIvEEEESJ_SM_SN_mSO_SQ_bEUlT_E_NS1_11comp_targetILNS1_3genE9ELNS1_11target_archE1100ELNS1_3gpuE3ELNS1_3repE0EEENS1_30default_config_static_selectorELNS0_4arch9wavefront6targetE1EEEvT1_,comdat
	.protected	_ZN7rocprim17ROCPRIM_400000_NS6detail17trampoline_kernelINS0_14default_configENS1_25transform_config_selectorItLb0EEEZNS1_14transform_implILb0ES3_S5_NS0_18transform_iteratorINS0_17counting_iteratorImlEEZNS1_24adjacent_difference_implIS3_Lb1ELb0EPtN6thrust23THRUST_200600_302600_NS16discard_iteratorINSD_11use_defaultEEENSD_5minusItEEEE10hipError_tPvRmT2_T3_mT4_P12ihipStream_tbEUlmE_tEESB_NS0_8identityIvEEEESJ_SM_SN_mSO_SQ_bEUlT_E_NS1_11comp_targetILNS1_3genE9ELNS1_11target_archE1100ELNS1_3gpuE3ELNS1_3repE0EEENS1_30default_config_static_selectorELNS0_4arch9wavefront6targetE1EEEvT1_ ; -- Begin function _ZN7rocprim17ROCPRIM_400000_NS6detail17trampoline_kernelINS0_14default_configENS1_25transform_config_selectorItLb0EEEZNS1_14transform_implILb0ES3_S5_NS0_18transform_iteratorINS0_17counting_iteratorImlEEZNS1_24adjacent_difference_implIS3_Lb1ELb0EPtN6thrust23THRUST_200600_302600_NS16discard_iteratorINSD_11use_defaultEEENSD_5minusItEEEE10hipError_tPvRmT2_T3_mT4_P12ihipStream_tbEUlmE_tEESB_NS0_8identityIvEEEESJ_SM_SN_mSO_SQ_bEUlT_E_NS1_11comp_targetILNS1_3genE9ELNS1_11target_archE1100ELNS1_3gpuE3ELNS1_3repE0EEENS1_30default_config_static_selectorELNS0_4arch9wavefront6targetE1EEEvT1_
	.globl	_ZN7rocprim17ROCPRIM_400000_NS6detail17trampoline_kernelINS0_14default_configENS1_25transform_config_selectorItLb0EEEZNS1_14transform_implILb0ES3_S5_NS0_18transform_iteratorINS0_17counting_iteratorImlEEZNS1_24adjacent_difference_implIS3_Lb1ELb0EPtN6thrust23THRUST_200600_302600_NS16discard_iteratorINSD_11use_defaultEEENSD_5minusItEEEE10hipError_tPvRmT2_T3_mT4_P12ihipStream_tbEUlmE_tEESB_NS0_8identityIvEEEESJ_SM_SN_mSO_SQ_bEUlT_E_NS1_11comp_targetILNS1_3genE9ELNS1_11target_archE1100ELNS1_3gpuE3ELNS1_3repE0EEENS1_30default_config_static_selectorELNS0_4arch9wavefront6targetE1EEEvT1_
	.p2align	8
	.type	_ZN7rocprim17ROCPRIM_400000_NS6detail17trampoline_kernelINS0_14default_configENS1_25transform_config_selectorItLb0EEEZNS1_14transform_implILb0ES3_S5_NS0_18transform_iteratorINS0_17counting_iteratorImlEEZNS1_24adjacent_difference_implIS3_Lb1ELb0EPtN6thrust23THRUST_200600_302600_NS16discard_iteratorINSD_11use_defaultEEENSD_5minusItEEEE10hipError_tPvRmT2_T3_mT4_P12ihipStream_tbEUlmE_tEESB_NS0_8identityIvEEEESJ_SM_SN_mSO_SQ_bEUlT_E_NS1_11comp_targetILNS1_3genE9ELNS1_11target_archE1100ELNS1_3gpuE3ELNS1_3repE0EEENS1_30default_config_static_selectorELNS0_4arch9wavefront6targetE1EEEvT1_,@function
_ZN7rocprim17ROCPRIM_400000_NS6detail17trampoline_kernelINS0_14default_configENS1_25transform_config_selectorItLb0EEEZNS1_14transform_implILb0ES3_S5_NS0_18transform_iteratorINS0_17counting_iteratorImlEEZNS1_24adjacent_difference_implIS3_Lb1ELb0EPtN6thrust23THRUST_200600_302600_NS16discard_iteratorINSD_11use_defaultEEENSD_5minusItEEEE10hipError_tPvRmT2_T3_mT4_P12ihipStream_tbEUlmE_tEESB_NS0_8identityIvEEEESJ_SM_SN_mSO_SQ_bEUlT_E_NS1_11comp_targetILNS1_3genE9ELNS1_11target_archE1100ELNS1_3gpuE3ELNS1_3repE0EEENS1_30default_config_static_selectorELNS0_4arch9wavefront6targetE1EEEvT1_: ; @_ZN7rocprim17ROCPRIM_400000_NS6detail17trampoline_kernelINS0_14default_configENS1_25transform_config_selectorItLb0EEEZNS1_14transform_implILb0ES3_S5_NS0_18transform_iteratorINS0_17counting_iteratorImlEEZNS1_24adjacent_difference_implIS3_Lb1ELb0EPtN6thrust23THRUST_200600_302600_NS16discard_iteratorINSD_11use_defaultEEENSD_5minusItEEEE10hipError_tPvRmT2_T3_mT4_P12ihipStream_tbEUlmE_tEESB_NS0_8identityIvEEEESJ_SM_SN_mSO_SQ_bEUlT_E_NS1_11comp_targetILNS1_3genE9ELNS1_11target_archE1100ELNS1_3gpuE3ELNS1_3repE0EEENS1_30default_config_static_selectorELNS0_4arch9wavefront6targetE1EEEvT1_
; %bb.0:
	.section	.rodata,"a",@progbits
	.p2align	6, 0x0
	.amdhsa_kernel _ZN7rocprim17ROCPRIM_400000_NS6detail17trampoline_kernelINS0_14default_configENS1_25transform_config_selectorItLb0EEEZNS1_14transform_implILb0ES3_S5_NS0_18transform_iteratorINS0_17counting_iteratorImlEEZNS1_24adjacent_difference_implIS3_Lb1ELb0EPtN6thrust23THRUST_200600_302600_NS16discard_iteratorINSD_11use_defaultEEENSD_5minusItEEEE10hipError_tPvRmT2_T3_mT4_P12ihipStream_tbEUlmE_tEESB_NS0_8identityIvEEEESJ_SM_SN_mSO_SQ_bEUlT_E_NS1_11comp_targetILNS1_3genE9ELNS1_11target_archE1100ELNS1_3gpuE3ELNS1_3repE0EEENS1_30default_config_static_selectorELNS0_4arch9wavefront6targetE1EEEvT1_
		.amdhsa_group_segment_fixed_size 0
		.amdhsa_private_segment_fixed_size 0
		.amdhsa_kernarg_size 56
		.amdhsa_user_sgpr_count 2
		.amdhsa_user_sgpr_dispatch_ptr 0
		.amdhsa_user_sgpr_queue_ptr 0
		.amdhsa_user_sgpr_kernarg_segment_ptr 1
		.amdhsa_user_sgpr_dispatch_id 0
		.amdhsa_user_sgpr_kernarg_preload_length 0
		.amdhsa_user_sgpr_kernarg_preload_offset 0
		.amdhsa_user_sgpr_private_segment_size 0
		.amdhsa_uses_dynamic_stack 0
		.amdhsa_enable_private_segment 0
		.amdhsa_system_sgpr_workgroup_id_x 1
		.amdhsa_system_sgpr_workgroup_id_y 0
		.amdhsa_system_sgpr_workgroup_id_z 0
		.amdhsa_system_sgpr_workgroup_info 0
		.amdhsa_system_vgpr_workitem_id 0
		.amdhsa_next_free_vgpr 1
		.amdhsa_next_free_sgpr 0
		.amdhsa_accum_offset 4
		.amdhsa_reserve_vcc 0
		.amdhsa_float_round_mode_32 0
		.amdhsa_float_round_mode_16_64 0
		.amdhsa_float_denorm_mode_32 3
		.amdhsa_float_denorm_mode_16_64 3
		.amdhsa_dx10_clamp 1
		.amdhsa_ieee_mode 1
		.amdhsa_fp16_overflow 0
		.amdhsa_tg_split 0
		.amdhsa_exception_fp_ieee_invalid_op 0
		.amdhsa_exception_fp_denorm_src 0
		.amdhsa_exception_fp_ieee_div_zero 0
		.amdhsa_exception_fp_ieee_overflow 0
		.amdhsa_exception_fp_ieee_underflow 0
		.amdhsa_exception_fp_ieee_inexact 0
		.amdhsa_exception_int_div_zero 0
	.end_amdhsa_kernel
	.section	.text._ZN7rocprim17ROCPRIM_400000_NS6detail17trampoline_kernelINS0_14default_configENS1_25transform_config_selectorItLb0EEEZNS1_14transform_implILb0ES3_S5_NS0_18transform_iteratorINS0_17counting_iteratorImlEEZNS1_24adjacent_difference_implIS3_Lb1ELb0EPtN6thrust23THRUST_200600_302600_NS16discard_iteratorINSD_11use_defaultEEENSD_5minusItEEEE10hipError_tPvRmT2_T3_mT4_P12ihipStream_tbEUlmE_tEESB_NS0_8identityIvEEEESJ_SM_SN_mSO_SQ_bEUlT_E_NS1_11comp_targetILNS1_3genE9ELNS1_11target_archE1100ELNS1_3gpuE3ELNS1_3repE0EEENS1_30default_config_static_selectorELNS0_4arch9wavefront6targetE1EEEvT1_,"axG",@progbits,_ZN7rocprim17ROCPRIM_400000_NS6detail17trampoline_kernelINS0_14default_configENS1_25transform_config_selectorItLb0EEEZNS1_14transform_implILb0ES3_S5_NS0_18transform_iteratorINS0_17counting_iteratorImlEEZNS1_24adjacent_difference_implIS3_Lb1ELb0EPtN6thrust23THRUST_200600_302600_NS16discard_iteratorINSD_11use_defaultEEENSD_5minusItEEEE10hipError_tPvRmT2_T3_mT4_P12ihipStream_tbEUlmE_tEESB_NS0_8identityIvEEEESJ_SM_SN_mSO_SQ_bEUlT_E_NS1_11comp_targetILNS1_3genE9ELNS1_11target_archE1100ELNS1_3gpuE3ELNS1_3repE0EEENS1_30default_config_static_selectorELNS0_4arch9wavefront6targetE1EEEvT1_,comdat
.Lfunc_end724:
	.size	_ZN7rocprim17ROCPRIM_400000_NS6detail17trampoline_kernelINS0_14default_configENS1_25transform_config_selectorItLb0EEEZNS1_14transform_implILb0ES3_S5_NS0_18transform_iteratorINS0_17counting_iteratorImlEEZNS1_24adjacent_difference_implIS3_Lb1ELb0EPtN6thrust23THRUST_200600_302600_NS16discard_iteratorINSD_11use_defaultEEENSD_5minusItEEEE10hipError_tPvRmT2_T3_mT4_P12ihipStream_tbEUlmE_tEESB_NS0_8identityIvEEEESJ_SM_SN_mSO_SQ_bEUlT_E_NS1_11comp_targetILNS1_3genE9ELNS1_11target_archE1100ELNS1_3gpuE3ELNS1_3repE0EEENS1_30default_config_static_selectorELNS0_4arch9wavefront6targetE1EEEvT1_, .Lfunc_end724-_ZN7rocprim17ROCPRIM_400000_NS6detail17trampoline_kernelINS0_14default_configENS1_25transform_config_selectorItLb0EEEZNS1_14transform_implILb0ES3_S5_NS0_18transform_iteratorINS0_17counting_iteratorImlEEZNS1_24adjacent_difference_implIS3_Lb1ELb0EPtN6thrust23THRUST_200600_302600_NS16discard_iteratorINSD_11use_defaultEEENSD_5minusItEEEE10hipError_tPvRmT2_T3_mT4_P12ihipStream_tbEUlmE_tEESB_NS0_8identityIvEEEESJ_SM_SN_mSO_SQ_bEUlT_E_NS1_11comp_targetILNS1_3genE9ELNS1_11target_archE1100ELNS1_3gpuE3ELNS1_3repE0EEENS1_30default_config_static_selectorELNS0_4arch9wavefront6targetE1EEEvT1_
                                        ; -- End function
	.section	.AMDGPU.csdata,"",@progbits
; Kernel info:
; codeLenInByte = 0
; NumSgprs: 6
; NumVgprs: 0
; NumAgprs: 0
; TotalNumVgprs: 0
; ScratchSize: 0
; MemoryBound: 0
; FloatMode: 240
; IeeeMode: 1
; LDSByteSize: 0 bytes/workgroup (compile time only)
; SGPRBlocks: 0
; VGPRBlocks: 0
; NumSGPRsForWavesPerEU: 6
; NumVGPRsForWavesPerEU: 1
; AccumOffset: 4
; Occupancy: 8
; WaveLimiterHint : 0
; COMPUTE_PGM_RSRC2:SCRATCH_EN: 0
; COMPUTE_PGM_RSRC2:USER_SGPR: 2
; COMPUTE_PGM_RSRC2:TRAP_HANDLER: 0
; COMPUTE_PGM_RSRC2:TGID_X_EN: 1
; COMPUTE_PGM_RSRC2:TGID_Y_EN: 0
; COMPUTE_PGM_RSRC2:TGID_Z_EN: 0
; COMPUTE_PGM_RSRC2:TIDIG_COMP_CNT: 0
; COMPUTE_PGM_RSRC3_GFX90A:ACCUM_OFFSET: 0
; COMPUTE_PGM_RSRC3_GFX90A:TG_SPLIT: 0
	.section	.text._ZN7rocprim17ROCPRIM_400000_NS6detail17trampoline_kernelINS0_14default_configENS1_25transform_config_selectorItLb0EEEZNS1_14transform_implILb0ES3_S5_NS0_18transform_iteratorINS0_17counting_iteratorImlEEZNS1_24adjacent_difference_implIS3_Lb1ELb0EPtN6thrust23THRUST_200600_302600_NS16discard_iteratorINSD_11use_defaultEEENSD_5minusItEEEE10hipError_tPvRmT2_T3_mT4_P12ihipStream_tbEUlmE_tEESB_NS0_8identityIvEEEESJ_SM_SN_mSO_SQ_bEUlT_E_NS1_11comp_targetILNS1_3genE8ELNS1_11target_archE1030ELNS1_3gpuE2ELNS1_3repE0EEENS1_30default_config_static_selectorELNS0_4arch9wavefront6targetE1EEEvT1_,"axG",@progbits,_ZN7rocprim17ROCPRIM_400000_NS6detail17trampoline_kernelINS0_14default_configENS1_25transform_config_selectorItLb0EEEZNS1_14transform_implILb0ES3_S5_NS0_18transform_iteratorINS0_17counting_iteratorImlEEZNS1_24adjacent_difference_implIS3_Lb1ELb0EPtN6thrust23THRUST_200600_302600_NS16discard_iteratorINSD_11use_defaultEEENSD_5minusItEEEE10hipError_tPvRmT2_T3_mT4_P12ihipStream_tbEUlmE_tEESB_NS0_8identityIvEEEESJ_SM_SN_mSO_SQ_bEUlT_E_NS1_11comp_targetILNS1_3genE8ELNS1_11target_archE1030ELNS1_3gpuE2ELNS1_3repE0EEENS1_30default_config_static_selectorELNS0_4arch9wavefront6targetE1EEEvT1_,comdat
	.protected	_ZN7rocprim17ROCPRIM_400000_NS6detail17trampoline_kernelINS0_14default_configENS1_25transform_config_selectorItLb0EEEZNS1_14transform_implILb0ES3_S5_NS0_18transform_iteratorINS0_17counting_iteratorImlEEZNS1_24adjacent_difference_implIS3_Lb1ELb0EPtN6thrust23THRUST_200600_302600_NS16discard_iteratorINSD_11use_defaultEEENSD_5minusItEEEE10hipError_tPvRmT2_T3_mT4_P12ihipStream_tbEUlmE_tEESB_NS0_8identityIvEEEESJ_SM_SN_mSO_SQ_bEUlT_E_NS1_11comp_targetILNS1_3genE8ELNS1_11target_archE1030ELNS1_3gpuE2ELNS1_3repE0EEENS1_30default_config_static_selectorELNS0_4arch9wavefront6targetE1EEEvT1_ ; -- Begin function _ZN7rocprim17ROCPRIM_400000_NS6detail17trampoline_kernelINS0_14default_configENS1_25transform_config_selectorItLb0EEEZNS1_14transform_implILb0ES3_S5_NS0_18transform_iteratorINS0_17counting_iteratorImlEEZNS1_24adjacent_difference_implIS3_Lb1ELb0EPtN6thrust23THRUST_200600_302600_NS16discard_iteratorINSD_11use_defaultEEENSD_5minusItEEEE10hipError_tPvRmT2_T3_mT4_P12ihipStream_tbEUlmE_tEESB_NS0_8identityIvEEEESJ_SM_SN_mSO_SQ_bEUlT_E_NS1_11comp_targetILNS1_3genE8ELNS1_11target_archE1030ELNS1_3gpuE2ELNS1_3repE0EEENS1_30default_config_static_selectorELNS0_4arch9wavefront6targetE1EEEvT1_
	.globl	_ZN7rocprim17ROCPRIM_400000_NS6detail17trampoline_kernelINS0_14default_configENS1_25transform_config_selectorItLb0EEEZNS1_14transform_implILb0ES3_S5_NS0_18transform_iteratorINS0_17counting_iteratorImlEEZNS1_24adjacent_difference_implIS3_Lb1ELb0EPtN6thrust23THRUST_200600_302600_NS16discard_iteratorINSD_11use_defaultEEENSD_5minusItEEEE10hipError_tPvRmT2_T3_mT4_P12ihipStream_tbEUlmE_tEESB_NS0_8identityIvEEEESJ_SM_SN_mSO_SQ_bEUlT_E_NS1_11comp_targetILNS1_3genE8ELNS1_11target_archE1030ELNS1_3gpuE2ELNS1_3repE0EEENS1_30default_config_static_selectorELNS0_4arch9wavefront6targetE1EEEvT1_
	.p2align	8
	.type	_ZN7rocprim17ROCPRIM_400000_NS6detail17trampoline_kernelINS0_14default_configENS1_25transform_config_selectorItLb0EEEZNS1_14transform_implILb0ES3_S5_NS0_18transform_iteratorINS0_17counting_iteratorImlEEZNS1_24adjacent_difference_implIS3_Lb1ELb0EPtN6thrust23THRUST_200600_302600_NS16discard_iteratorINSD_11use_defaultEEENSD_5minusItEEEE10hipError_tPvRmT2_T3_mT4_P12ihipStream_tbEUlmE_tEESB_NS0_8identityIvEEEESJ_SM_SN_mSO_SQ_bEUlT_E_NS1_11comp_targetILNS1_3genE8ELNS1_11target_archE1030ELNS1_3gpuE2ELNS1_3repE0EEENS1_30default_config_static_selectorELNS0_4arch9wavefront6targetE1EEEvT1_,@function
_ZN7rocprim17ROCPRIM_400000_NS6detail17trampoline_kernelINS0_14default_configENS1_25transform_config_selectorItLb0EEEZNS1_14transform_implILb0ES3_S5_NS0_18transform_iteratorINS0_17counting_iteratorImlEEZNS1_24adjacent_difference_implIS3_Lb1ELb0EPtN6thrust23THRUST_200600_302600_NS16discard_iteratorINSD_11use_defaultEEENSD_5minusItEEEE10hipError_tPvRmT2_T3_mT4_P12ihipStream_tbEUlmE_tEESB_NS0_8identityIvEEEESJ_SM_SN_mSO_SQ_bEUlT_E_NS1_11comp_targetILNS1_3genE8ELNS1_11target_archE1030ELNS1_3gpuE2ELNS1_3repE0EEENS1_30default_config_static_selectorELNS0_4arch9wavefront6targetE1EEEvT1_: ; @_ZN7rocprim17ROCPRIM_400000_NS6detail17trampoline_kernelINS0_14default_configENS1_25transform_config_selectorItLb0EEEZNS1_14transform_implILb0ES3_S5_NS0_18transform_iteratorINS0_17counting_iteratorImlEEZNS1_24adjacent_difference_implIS3_Lb1ELb0EPtN6thrust23THRUST_200600_302600_NS16discard_iteratorINSD_11use_defaultEEENSD_5minusItEEEE10hipError_tPvRmT2_T3_mT4_P12ihipStream_tbEUlmE_tEESB_NS0_8identityIvEEEESJ_SM_SN_mSO_SQ_bEUlT_E_NS1_11comp_targetILNS1_3genE8ELNS1_11target_archE1030ELNS1_3gpuE2ELNS1_3repE0EEENS1_30default_config_static_selectorELNS0_4arch9wavefront6targetE1EEEvT1_
; %bb.0:
	.section	.rodata,"a",@progbits
	.p2align	6, 0x0
	.amdhsa_kernel _ZN7rocprim17ROCPRIM_400000_NS6detail17trampoline_kernelINS0_14default_configENS1_25transform_config_selectorItLb0EEEZNS1_14transform_implILb0ES3_S5_NS0_18transform_iteratorINS0_17counting_iteratorImlEEZNS1_24adjacent_difference_implIS3_Lb1ELb0EPtN6thrust23THRUST_200600_302600_NS16discard_iteratorINSD_11use_defaultEEENSD_5minusItEEEE10hipError_tPvRmT2_T3_mT4_P12ihipStream_tbEUlmE_tEESB_NS0_8identityIvEEEESJ_SM_SN_mSO_SQ_bEUlT_E_NS1_11comp_targetILNS1_3genE8ELNS1_11target_archE1030ELNS1_3gpuE2ELNS1_3repE0EEENS1_30default_config_static_selectorELNS0_4arch9wavefront6targetE1EEEvT1_
		.amdhsa_group_segment_fixed_size 0
		.amdhsa_private_segment_fixed_size 0
		.amdhsa_kernarg_size 56
		.amdhsa_user_sgpr_count 2
		.amdhsa_user_sgpr_dispatch_ptr 0
		.amdhsa_user_sgpr_queue_ptr 0
		.amdhsa_user_sgpr_kernarg_segment_ptr 1
		.amdhsa_user_sgpr_dispatch_id 0
		.amdhsa_user_sgpr_kernarg_preload_length 0
		.amdhsa_user_sgpr_kernarg_preload_offset 0
		.amdhsa_user_sgpr_private_segment_size 0
		.amdhsa_uses_dynamic_stack 0
		.amdhsa_enable_private_segment 0
		.amdhsa_system_sgpr_workgroup_id_x 1
		.amdhsa_system_sgpr_workgroup_id_y 0
		.amdhsa_system_sgpr_workgroup_id_z 0
		.amdhsa_system_sgpr_workgroup_info 0
		.amdhsa_system_vgpr_workitem_id 0
		.amdhsa_next_free_vgpr 1
		.amdhsa_next_free_sgpr 0
		.amdhsa_accum_offset 4
		.amdhsa_reserve_vcc 0
		.amdhsa_float_round_mode_32 0
		.amdhsa_float_round_mode_16_64 0
		.amdhsa_float_denorm_mode_32 3
		.amdhsa_float_denorm_mode_16_64 3
		.amdhsa_dx10_clamp 1
		.amdhsa_ieee_mode 1
		.amdhsa_fp16_overflow 0
		.amdhsa_tg_split 0
		.amdhsa_exception_fp_ieee_invalid_op 0
		.amdhsa_exception_fp_denorm_src 0
		.amdhsa_exception_fp_ieee_div_zero 0
		.amdhsa_exception_fp_ieee_overflow 0
		.amdhsa_exception_fp_ieee_underflow 0
		.amdhsa_exception_fp_ieee_inexact 0
		.amdhsa_exception_int_div_zero 0
	.end_amdhsa_kernel
	.section	.text._ZN7rocprim17ROCPRIM_400000_NS6detail17trampoline_kernelINS0_14default_configENS1_25transform_config_selectorItLb0EEEZNS1_14transform_implILb0ES3_S5_NS0_18transform_iteratorINS0_17counting_iteratorImlEEZNS1_24adjacent_difference_implIS3_Lb1ELb0EPtN6thrust23THRUST_200600_302600_NS16discard_iteratorINSD_11use_defaultEEENSD_5minusItEEEE10hipError_tPvRmT2_T3_mT4_P12ihipStream_tbEUlmE_tEESB_NS0_8identityIvEEEESJ_SM_SN_mSO_SQ_bEUlT_E_NS1_11comp_targetILNS1_3genE8ELNS1_11target_archE1030ELNS1_3gpuE2ELNS1_3repE0EEENS1_30default_config_static_selectorELNS0_4arch9wavefront6targetE1EEEvT1_,"axG",@progbits,_ZN7rocprim17ROCPRIM_400000_NS6detail17trampoline_kernelINS0_14default_configENS1_25transform_config_selectorItLb0EEEZNS1_14transform_implILb0ES3_S5_NS0_18transform_iteratorINS0_17counting_iteratorImlEEZNS1_24adjacent_difference_implIS3_Lb1ELb0EPtN6thrust23THRUST_200600_302600_NS16discard_iteratorINSD_11use_defaultEEENSD_5minusItEEEE10hipError_tPvRmT2_T3_mT4_P12ihipStream_tbEUlmE_tEESB_NS0_8identityIvEEEESJ_SM_SN_mSO_SQ_bEUlT_E_NS1_11comp_targetILNS1_3genE8ELNS1_11target_archE1030ELNS1_3gpuE2ELNS1_3repE0EEENS1_30default_config_static_selectorELNS0_4arch9wavefront6targetE1EEEvT1_,comdat
.Lfunc_end725:
	.size	_ZN7rocprim17ROCPRIM_400000_NS6detail17trampoline_kernelINS0_14default_configENS1_25transform_config_selectorItLb0EEEZNS1_14transform_implILb0ES3_S5_NS0_18transform_iteratorINS0_17counting_iteratorImlEEZNS1_24adjacent_difference_implIS3_Lb1ELb0EPtN6thrust23THRUST_200600_302600_NS16discard_iteratorINSD_11use_defaultEEENSD_5minusItEEEE10hipError_tPvRmT2_T3_mT4_P12ihipStream_tbEUlmE_tEESB_NS0_8identityIvEEEESJ_SM_SN_mSO_SQ_bEUlT_E_NS1_11comp_targetILNS1_3genE8ELNS1_11target_archE1030ELNS1_3gpuE2ELNS1_3repE0EEENS1_30default_config_static_selectorELNS0_4arch9wavefront6targetE1EEEvT1_, .Lfunc_end725-_ZN7rocprim17ROCPRIM_400000_NS6detail17trampoline_kernelINS0_14default_configENS1_25transform_config_selectorItLb0EEEZNS1_14transform_implILb0ES3_S5_NS0_18transform_iteratorINS0_17counting_iteratorImlEEZNS1_24adjacent_difference_implIS3_Lb1ELb0EPtN6thrust23THRUST_200600_302600_NS16discard_iteratorINSD_11use_defaultEEENSD_5minusItEEEE10hipError_tPvRmT2_T3_mT4_P12ihipStream_tbEUlmE_tEESB_NS0_8identityIvEEEESJ_SM_SN_mSO_SQ_bEUlT_E_NS1_11comp_targetILNS1_3genE8ELNS1_11target_archE1030ELNS1_3gpuE2ELNS1_3repE0EEENS1_30default_config_static_selectorELNS0_4arch9wavefront6targetE1EEEvT1_
                                        ; -- End function
	.section	.AMDGPU.csdata,"",@progbits
; Kernel info:
; codeLenInByte = 0
; NumSgprs: 6
; NumVgprs: 0
; NumAgprs: 0
; TotalNumVgprs: 0
; ScratchSize: 0
; MemoryBound: 0
; FloatMode: 240
; IeeeMode: 1
; LDSByteSize: 0 bytes/workgroup (compile time only)
; SGPRBlocks: 0
; VGPRBlocks: 0
; NumSGPRsForWavesPerEU: 6
; NumVGPRsForWavesPerEU: 1
; AccumOffset: 4
; Occupancy: 8
; WaveLimiterHint : 0
; COMPUTE_PGM_RSRC2:SCRATCH_EN: 0
; COMPUTE_PGM_RSRC2:USER_SGPR: 2
; COMPUTE_PGM_RSRC2:TRAP_HANDLER: 0
; COMPUTE_PGM_RSRC2:TGID_X_EN: 1
; COMPUTE_PGM_RSRC2:TGID_Y_EN: 0
; COMPUTE_PGM_RSRC2:TGID_Z_EN: 0
; COMPUTE_PGM_RSRC2:TIDIG_COMP_CNT: 0
; COMPUTE_PGM_RSRC3_GFX90A:ACCUM_OFFSET: 0
; COMPUTE_PGM_RSRC3_GFX90A:TG_SPLIT: 0
	.section	.text._ZN7rocprim17ROCPRIM_400000_NS6detail17trampoline_kernelINS0_14default_configENS1_35adjacent_difference_config_selectorILb1EtEEZNS1_24adjacent_difference_implIS3_Lb1ELb0EPtN6thrust23THRUST_200600_302600_NS16discard_iteratorINS9_11use_defaultEEENS9_5minusItEEEE10hipError_tPvRmT2_T3_mT4_P12ihipStream_tbEUlT_E_NS1_11comp_targetILNS1_3genE0ELNS1_11target_archE4294967295ELNS1_3gpuE0ELNS1_3repE0EEENS1_30default_config_static_selectorELNS0_4arch9wavefront6targetE1EEEvT1_,"axG",@progbits,_ZN7rocprim17ROCPRIM_400000_NS6detail17trampoline_kernelINS0_14default_configENS1_35adjacent_difference_config_selectorILb1EtEEZNS1_24adjacent_difference_implIS3_Lb1ELb0EPtN6thrust23THRUST_200600_302600_NS16discard_iteratorINS9_11use_defaultEEENS9_5minusItEEEE10hipError_tPvRmT2_T3_mT4_P12ihipStream_tbEUlT_E_NS1_11comp_targetILNS1_3genE0ELNS1_11target_archE4294967295ELNS1_3gpuE0ELNS1_3repE0EEENS1_30default_config_static_selectorELNS0_4arch9wavefront6targetE1EEEvT1_,comdat
	.protected	_ZN7rocprim17ROCPRIM_400000_NS6detail17trampoline_kernelINS0_14default_configENS1_35adjacent_difference_config_selectorILb1EtEEZNS1_24adjacent_difference_implIS3_Lb1ELb0EPtN6thrust23THRUST_200600_302600_NS16discard_iteratorINS9_11use_defaultEEENS9_5minusItEEEE10hipError_tPvRmT2_T3_mT4_P12ihipStream_tbEUlT_E_NS1_11comp_targetILNS1_3genE0ELNS1_11target_archE4294967295ELNS1_3gpuE0ELNS1_3repE0EEENS1_30default_config_static_selectorELNS0_4arch9wavefront6targetE1EEEvT1_ ; -- Begin function _ZN7rocprim17ROCPRIM_400000_NS6detail17trampoline_kernelINS0_14default_configENS1_35adjacent_difference_config_selectorILb1EtEEZNS1_24adjacent_difference_implIS3_Lb1ELb0EPtN6thrust23THRUST_200600_302600_NS16discard_iteratorINS9_11use_defaultEEENS9_5minusItEEEE10hipError_tPvRmT2_T3_mT4_P12ihipStream_tbEUlT_E_NS1_11comp_targetILNS1_3genE0ELNS1_11target_archE4294967295ELNS1_3gpuE0ELNS1_3repE0EEENS1_30default_config_static_selectorELNS0_4arch9wavefront6targetE1EEEvT1_
	.globl	_ZN7rocprim17ROCPRIM_400000_NS6detail17trampoline_kernelINS0_14default_configENS1_35adjacent_difference_config_selectorILb1EtEEZNS1_24adjacent_difference_implIS3_Lb1ELb0EPtN6thrust23THRUST_200600_302600_NS16discard_iteratorINS9_11use_defaultEEENS9_5minusItEEEE10hipError_tPvRmT2_T3_mT4_P12ihipStream_tbEUlT_E_NS1_11comp_targetILNS1_3genE0ELNS1_11target_archE4294967295ELNS1_3gpuE0ELNS1_3repE0EEENS1_30default_config_static_selectorELNS0_4arch9wavefront6targetE1EEEvT1_
	.p2align	8
	.type	_ZN7rocprim17ROCPRIM_400000_NS6detail17trampoline_kernelINS0_14default_configENS1_35adjacent_difference_config_selectorILb1EtEEZNS1_24adjacent_difference_implIS3_Lb1ELb0EPtN6thrust23THRUST_200600_302600_NS16discard_iteratorINS9_11use_defaultEEENS9_5minusItEEEE10hipError_tPvRmT2_T3_mT4_P12ihipStream_tbEUlT_E_NS1_11comp_targetILNS1_3genE0ELNS1_11target_archE4294967295ELNS1_3gpuE0ELNS1_3repE0EEENS1_30default_config_static_selectorELNS0_4arch9wavefront6targetE1EEEvT1_,@function
_ZN7rocprim17ROCPRIM_400000_NS6detail17trampoline_kernelINS0_14default_configENS1_35adjacent_difference_config_selectorILb1EtEEZNS1_24adjacent_difference_implIS3_Lb1ELb0EPtN6thrust23THRUST_200600_302600_NS16discard_iteratorINS9_11use_defaultEEENS9_5minusItEEEE10hipError_tPvRmT2_T3_mT4_P12ihipStream_tbEUlT_E_NS1_11comp_targetILNS1_3genE0ELNS1_11target_archE4294967295ELNS1_3gpuE0ELNS1_3repE0EEENS1_30default_config_static_selectorELNS0_4arch9wavefront6targetE1EEEvT1_: ; @_ZN7rocprim17ROCPRIM_400000_NS6detail17trampoline_kernelINS0_14default_configENS1_35adjacent_difference_config_selectorILb1EtEEZNS1_24adjacent_difference_implIS3_Lb1ELb0EPtN6thrust23THRUST_200600_302600_NS16discard_iteratorINS9_11use_defaultEEENS9_5minusItEEEE10hipError_tPvRmT2_T3_mT4_P12ihipStream_tbEUlT_E_NS1_11comp_targetILNS1_3genE0ELNS1_11target_archE4294967295ELNS1_3gpuE0ELNS1_3repE0EEENS1_30default_config_static_selectorELNS0_4arch9wavefront6targetE1EEEvT1_
; %bb.0:
	.section	.rodata,"a",@progbits
	.p2align	6, 0x0
	.amdhsa_kernel _ZN7rocprim17ROCPRIM_400000_NS6detail17trampoline_kernelINS0_14default_configENS1_35adjacent_difference_config_selectorILb1EtEEZNS1_24adjacent_difference_implIS3_Lb1ELb0EPtN6thrust23THRUST_200600_302600_NS16discard_iteratorINS9_11use_defaultEEENS9_5minusItEEEE10hipError_tPvRmT2_T3_mT4_P12ihipStream_tbEUlT_E_NS1_11comp_targetILNS1_3genE0ELNS1_11target_archE4294967295ELNS1_3gpuE0ELNS1_3repE0EEENS1_30default_config_static_selectorELNS0_4arch9wavefront6targetE1EEEvT1_
		.amdhsa_group_segment_fixed_size 0
		.amdhsa_private_segment_fixed_size 0
		.amdhsa_kernarg_size 64
		.amdhsa_user_sgpr_count 2
		.amdhsa_user_sgpr_dispatch_ptr 0
		.amdhsa_user_sgpr_queue_ptr 0
		.amdhsa_user_sgpr_kernarg_segment_ptr 1
		.amdhsa_user_sgpr_dispatch_id 0
		.amdhsa_user_sgpr_kernarg_preload_length 0
		.amdhsa_user_sgpr_kernarg_preload_offset 0
		.amdhsa_user_sgpr_private_segment_size 0
		.amdhsa_uses_dynamic_stack 0
		.amdhsa_enable_private_segment 0
		.amdhsa_system_sgpr_workgroup_id_x 1
		.amdhsa_system_sgpr_workgroup_id_y 0
		.amdhsa_system_sgpr_workgroup_id_z 0
		.amdhsa_system_sgpr_workgroup_info 0
		.amdhsa_system_vgpr_workitem_id 0
		.amdhsa_next_free_vgpr 1
		.amdhsa_next_free_sgpr 0
		.amdhsa_accum_offset 4
		.amdhsa_reserve_vcc 0
		.amdhsa_float_round_mode_32 0
		.amdhsa_float_round_mode_16_64 0
		.amdhsa_float_denorm_mode_32 3
		.amdhsa_float_denorm_mode_16_64 3
		.amdhsa_dx10_clamp 1
		.amdhsa_ieee_mode 1
		.amdhsa_fp16_overflow 0
		.amdhsa_tg_split 0
		.amdhsa_exception_fp_ieee_invalid_op 0
		.amdhsa_exception_fp_denorm_src 0
		.amdhsa_exception_fp_ieee_div_zero 0
		.amdhsa_exception_fp_ieee_overflow 0
		.amdhsa_exception_fp_ieee_underflow 0
		.amdhsa_exception_fp_ieee_inexact 0
		.amdhsa_exception_int_div_zero 0
	.end_amdhsa_kernel
	.section	.text._ZN7rocprim17ROCPRIM_400000_NS6detail17trampoline_kernelINS0_14default_configENS1_35adjacent_difference_config_selectorILb1EtEEZNS1_24adjacent_difference_implIS3_Lb1ELb0EPtN6thrust23THRUST_200600_302600_NS16discard_iteratorINS9_11use_defaultEEENS9_5minusItEEEE10hipError_tPvRmT2_T3_mT4_P12ihipStream_tbEUlT_E_NS1_11comp_targetILNS1_3genE0ELNS1_11target_archE4294967295ELNS1_3gpuE0ELNS1_3repE0EEENS1_30default_config_static_selectorELNS0_4arch9wavefront6targetE1EEEvT1_,"axG",@progbits,_ZN7rocprim17ROCPRIM_400000_NS6detail17trampoline_kernelINS0_14default_configENS1_35adjacent_difference_config_selectorILb1EtEEZNS1_24adjacent_difference_implIS3_Lb1ELb0EPtN6thrust23THRUST_200600_302600_NS16discard_iteratorINS9_11use_defaultEEENS9_5minusItEEEE10hipError_tPvRmT2_T3_mT4_P12ihipStream_tbEUlT_E_NS1_11comp_targetILNS1_3genE0ELNS1_11target_archE4294967295ELNS1_3gpuE0ELNS1_3repE0EEENS1_30default_config_static_selectorELNS0_4arch9wavefront6targetE1EEEvT1_,comdat
.Lfunc_end726:
	.size	_ZN7rocprim17ROCPRIM_400000_NS6detail17trampoline_kernelINS0_14default_configENS1_35adjacent_difference_config_selectorILb1EtEEZNS1_24adjacent_difference_implIS3_Lb1ELb0EPtN6thrust23THRUST_200600_302600_NS16discard_iteratorINS9_11use_defaultEEENS9_5minusItEEEE10hipError_tPvRmT2_T3_mT4_P12ihipStream_tbEUlT_E_NS1_11comp_targetILNS1_3genE0ELNS1_11target_archE4294967295ELNS1_3gpuE0ELNS1_3repE0EEENS1_30default_config_static_selectorELNS0_4arch9wavefront6targetE1EEEvT1_, .Lfunc_end726-_ZN7rocprim17ROCPRIM_400000_NS6detail17trampoline_kernelINS0_14default_configENS1_35adjacent_difference_config_selectorILb1EtEEZNS1_24adjacent_difference_implIS3_Lb1ELb0EPtN6thrust23THRUST_200600_302600_NS16discard_iteratorINS9_11use_defaultEEENS9_5minusItEEEE10hipError_tPvRmT2_T3_mT4_P12ihipStream_tbEUlT_E_NS1_11comp_targetILNS1_3genE0ELNS1_11target_archE4294967295ELNS1_3gpuE0ELNS1_3repE0EEENS1_30default_config_static_selectorELNS0_4arch9wavefront6targetE1EEEvT1_
                                        ; -- End function
	.section	.AMDGPU.csdata,"",@progbits
; Kernel info:
; codeLenInByte = 0
; NumSgprs: 6
; NumVgprs: 0
; NumAgprs: 0
; TotalNumVgprs: 0
; ScratchSize: 0
; MemoryBound: 0
; FloatMode: 240
; IeeeMode: 1
; LDSByteSize: 0 bytes/workgroup (compile time only)
; SGPRBlocks: 0
; VGPRBlocks: 0
; NumSGPRsForWavesPerEU: 6
; NumVGPRsForWavesPerEU: 1
; AccumOffset: 4
; Occupancy: 8
; WaveLimiterHint : 0
; COMPUTE_PGM_RSRC2:SCRATCH_EN: 0
; COMPUTE_PGM_RSRC2:USER_SGPR: 2
; COMPUTE_PGM_RSRC2:TRAP_HANDLER: 0
; COMPUTE_PGM_RSRC2:TGID_X_EN: 1
; COMPUTE_PGM_RSRC2:TGID_Y_EN: 0
; COMPUTE_PGM_RSRC2:TGID_Z_EN: 0
; COMPUTE_PGM_RSRC2:TIDIG_COMP_CNT: 0
; COMPUTE_PGM_RSRC3_GFX90A:ACCUM_OFFSET: 0
; COMPUTE_PGM_RSRC3_GFX90A:TG_SPLIT: 0
	.section	.text._ZN7rocprim17ROCPRIM_400000_NS6detail17trampoline_kernelINS0_14default_configENS1_35adjacent_difference_config_selectorILb1EtEEZNS1_24adjacent_difference_implIS3_Lb1ELb0EPtN6thrust23THRUST_200600_302600_NS16discard_iteratorINS9_11use_defaultEEENS9_5minusItEEEE10hipError_tPvRmT2_T3_mT4_P12ihipStream_tbEUlT_E_NS1_11comp_targetILNS1_3genE10ELNS1_11target_archE1201ELNS1_3gpuE5ELNS1_3repE0EEENS1_30default_config_static_selectorELNS0_4arch9wavefront6targetE1EEEvT1_,"axG",@progbits,_ZN7rocprim17ROCPRIM_400000_NS6detail17trampoline_kernelINS0_14default_configENS1_35adjacent_difference_config_selectorILb1EtEEZNS1_24adjacent_difference_implIS3_Lb1ELb0EPtN6thrust23THRUST_200600_302600_NS16discard_iteratorINS9_11use_defaultEEENS9_5minusItEEEE10hipError_tPvRmT2_T3_mT4_P12ihipStream_tbEUlT_E_NS1_11comp_targetILNS1_3genE10ELNS1_11target_archE1201ELNS1_3gpuE5ELNS1_3repE0EEENS1_30default_config_static_selectorELNS0_4arch9wavefront6targetE1EEEvT1_,comdat
	.protected	_ZN7rocprim17ROCPRIM_400000_NS6detail17trampoline_kernelINS0_14default_configENS1_35adjacent_difference_config_selectorILb1EtEEZNS1_24adjacent_difference_implIS3_Lb1ELb0EPtN6thrust23THRUST_200600_302600_NS16discard_iteratorINS9_11use_defaultEEENS9_5minusItEEEE10hipError_tPvRmT2_T3_mT4_P12ihipStream_tbEUlT_E_NS1_11comp_targetILNS1_3genE10ELNS1_11target_archE1201ELNS1_3gpuE5ELNS1_3repE0EEENS1_30default_config_static_selectorELNS0_4arch9wavefront6targetE1EEEvT1_ ; -- Begin function _ZN7rocprim17ROCPRIM_400000_NS6detail17trampoline_kernelINS0_14default_configENS1_35adjacent_difference_config_selectorILb1EtEEZNS1_24adjacent_difference_implIS3_Lb1ELb0EPtN6thrust23THRUST_200600_302600_NS16discard_iteratorINS9_11use_defaultEEENS9_5minusItEEEE10hipError_tPvRmT2_T3_mT4_P12ihipStream_tbEUlT_E_NS1_11comp_targetILNS1_3genE10ELNS1_11target_archE1201ELNS1_3gpuE5ELNS1_3repE0EEENS1_30default_config_static_selectorELNS0_4arch9wavefront6targetE1EEEvT1_
	.globl	_ZN7rocprim17ROCPRIM_400000_NS6detail17trampoline_kernelINS0_14default_configENS1_35adjacent_difference_config_selectorILb1EtEEZNS1_24adjacent_difference_implIS3_Lb1ELb0EPtN6thrust23THRUST_200600_302600_NS16discard_iteratorINS9_11use_defaultEEENS9_5minusItEEEE10hipError_tPvRmT2_T3_mT4_P12ihipStream_tbEUlT_E_NS1_11comp_targetILNS1_3genE10ELNS1_11target_archE1201ELNS1_3gpuE5ELNS1_3repE0EEENS1_30default_config_static_selectorELNS0_4arch9wavefront6targetE1EEEvT1_
	.p2align	8
	.type	_ZN7rocprim17ROCPRIM_400000_NS6detail17trampoline_kernelINS0_14default_configENS1_35adjacent_difference_config_selectorILb1EtEEZNS1_24adjacent_difference_implIS3_Lb1ELb0EPtN6thrust23THRUST_200600_302600_NS16discard_iteratorINS9_11use_defaultEEENS9_5minusItEEEE10hipError_tPvRmT2_T3_mT4_P12ihipStream_tbEUlT_E_NS1_11comp_targetILNS1_3genE10ELNS1_11target_archE1201ELNS1_3gpuE5ELNS1_3repE0EEENS1_30default_config_static_selectorELNS0_4arch9wavefront6targetE1EEEvT1_,@function
_ZN7rocprim17ROCPRIM_400000_NS6detail17trampoline_kernelINS0_14default_configENS1_35adjacent_difference_config_selectorILb1EtEEZNS1_24adjacent_difference_implIS3_Lb1ELb0EPtN6thrust23THRUST_200600_302600_NS16discard_iteratorINS9_11use_defaultEEENS9_5minusItEEEE10hipError_tPvRmT2_T3_mT4_P12ihipStream_tbEUlT_E_NS1_11comp_targetILNS1_3genE10ELNS1_11target_archE1201ELNS1_3gpuE5ELNS1_3repE0EEENS1_30default_config_static_selectorELNS0_4arch9wavefront6targetE1EEEvT1_: ; @_ZN7rocprim17ROCPRIM_400000_NS6detail17trampoline_kernelINS0_14default_configENS1_35adjacent_difference_config_selectorILb1EtEEZNS1_24adjacent_difference_implIS3_Lb1ELb0EPtN6thrust23THRUST_200600_302600_NS16discard_iteratorINS9_11use_defaultEEENS9_5minusItEEEE10hipError_tPvRmT2_T3_mT4_P12ihipStream_tbEUlT_E_NS1_11comp_targetILNS1_3genE10ELNS1_11target_archE1201ELNS1_3gpuE5ELNS1_3repE0EEENS1_30default_config_static_selectorELNS0_4arch9wavefront6targetE1EEEvT1_
; %bb.0:
	.section	.rodata,"a",@progbits
	.p2align	6, 0x0
	.amdhsa_kernel _ZN7rocprim17ROCPRIM_400000_NS6detail17trampoline_kernelINS0_14default_configENS1_35adjacent_difference_config_selectorILb1EtEEZNS1_24adjacent_difference_implIS3_Lb1ELb0EPtN6thrust23THRUST_200600_302600_NS16discard_iteratorINS9_11use_defaultEEENS9_5minusItEEEE10hipError_tPvRmT2_T3_mT4_P12ihipStream_tbEUlT_E_NS1_11comp_targetILNS1_3genE10ELNS1_11target_archE1201ELNS1_3gpuE5ELNS1_3repE0EEENS1_30default_config_static_selectorELNS0_4arch9wavefront6targetE1EEEvT1_
		.amdhsa_group_segment_fixed_size 0
		.amdhsa_private_segment_fixed_size 0
		.amdhsa_kernarg_size 64
		.amdhsa_user_sgpr_count 2
		.amdhsa_user_sgpr_dispatch_ptr 0
		.amdhsa_user_sgpr_queue_ptr 0
		.amdhsa_user_sgpr_kernarg_segment_ptr 1
		.amdhsa_user_sgpr_dispatch_id 0
		.amdhsa_user_sgpr_kernarg_preload_length 0
		.amdhsa_user_sgpr_kernarg_preload_offset 0
		.amdhsa_user_sgpr_private_segment_size 0
		.amdhsa_uses_dynamic_stack 0
		.amdhsa_enable_private_segment 0
		.amdhsa_system_sgpr_workgroup_id_x 1
		.amdhsa_system_sgpr_workgroup_id_y 0
		.amdhsa_system_sgpr_workgroup_id_z 0
		.amdhsa_system_sgpr_workgroup_info 0
		.amdhsa_system_vgpr_workitem_id 0
		.amdhsa_next_free_vgpr 1
		.amdhsa_next_free_sgpr 0
		.amdhsa_accum_offset 4
		.amdhsa_reserve_vcc 0
		.amdhsa_float_round_mode_32 0
		.amdhsa_float_round_mode_16_64 0
		.amdhsa_float_denorm_mode_32 3
		.amdhsa_float_denorm_mode_16_64 3
		.amdhsa_dx10_clamp 1
		.amdhsa_ieee_mode 1
		.amdhsa_fp16_overflow 0
		.amdhsa_tg_split 0
		.amdhsa_exception_fp_ieee_invalid_op 0
		.amdhsa_exception_fp_denorm_src 0
		.amdhsa_exception_fp_ieee_div_zero 0
		.amdhsa_exception_fp_ieee_overflow 0
		.amdhsa_exception_fp_ieee_underflow 0
		.amdhsa_exception_fp_ieee_inexact 0
		.amdhsa_exception_int_div_zero 0
	.end_amdhsa_kernel
	.section	.text._ZN7rocprim17ROCPRIM_400000_NS6detail17trampoline_kernelINS0_14default_configENS1_35adjacent_difference_config_selectorILb1EtEEZNS1_24adjacent_difference_implIS3_Lb1ELb0EPtN6thrust23THRUST_200600_302600_NS16discard_iteratorINS9_11use_defaultEEENS9_5minusItEEEE10hipError_tPvRmT2_T3_mT4_P12ihipStream_tbEUlT_E_NS1_11comp_targetILNS1_3genE10ELNS1_11target_archE1201ELNS1_3gpuE5ELNS1_3repE0EEENS1_30default_config_static_selectorELNS0_4arch9wavefront6targetE1EEEvT1_,"axG",@progbits,_ZN7rocprim17ROCPRIM_400000_NS6detail17trampoline_kernelINS0_14default_configENS1_35adjacent_difference_config_selectorILb1EtEEZNS1_24adjacent_difference_implIS3_Lb1ELb0EPtN6thrust23THRUST_200600_302600_NS16discard_iteratorINS9_11use_defaultEEENS9_5minusItEEEE10hipError_tPvRmT2_T3_mT4_P12ihipStream_tbEUlT_E_NS1_11comp_targetILNS1_3genE10ELNS1_11target_archE1201ELNS1_3gpuE5ELNS1_3repE0EEENS1_30default_config_static_selectorELNS0_4arch9wavefront6targetE1EEEvT1_,comdat
.Lfunc_end727:
	.size	_ZN7rocprim17ROCPRIM_400000_NS6detail17trampoline_kernelINS0_14default_configENS1_35adjacent_difference_config_selectorILb1EtEEZNS1_24adjacent_difference_implIS3_Lb1ELb0EPtN6thrust23THRUST_200600_302600_NS16discard_iteratorINS9_11use_defaultEEENS9_5minusItEEEE10hipError_tPvRmT2_T3_mT4_P12ihipStream_tbEUlT_E_NS1_11comp_targetILNS1_3genE10ELNS1_11target_archE1201ELNS1_3gpuE5ELNS1_3repE0EEENS1_30default_config_static_selectorELNS0_4arch9wavefront6targetE1EEEvT1_, .Lfunc_end727-_ZN7rocprim17ROCPRIM_400000_NS6detail17trampoline_kernelINS0_14default_configENS1_35adjacent_difference_config_selectorILb1EtEEZNS1_24adjacent_difference_implIS3_Lb1ELb0EPtN6thrust23THRUST_200600_302600_NS16discard_iteratorINS9_11use_defaultEEENS9_5minusItEEEE10hipError_tPvRmT2_T3_mT4_P12ihipStream_tbEUlT_E_NS1_11comp_targetILNS1_3genE10ELNS1_11target_archE1201ELNS1_3gpuE5ELNS1_3repE0EEENS1_30default_config_static_selectorELNS0_4arch9wavefront6targetE1EEEvT1_
                                        ; -- End function
	.section	.AMDGPU.csdata,"",@progbits
; Kernel info:
; codeLenInByte = 0
; NumSgprs: 6
; NumVgprs: 0
; NumAgprs: 0
; TotalNumVgprs: 0
; ScratchSize: 0
; MemoryBound: 0
; FloatMode: 240
; IeeeMode: 1
; LDSByteSize: 0 bytes/workgroup (compile time only)
; SGPRBlocks: 0
; VGPRBlocks: 0
; NumSGPRsForWavesPerEU: 6
; NumVGPRsForWavesPerEU: 1
; AccumOffset: 4
; Occupancy: 8
; WaveLimiterHint : 0
; COMPUTE_PGM_RSRC2:SCRATCH_EN: 0
; COMPUTE_PGM_RSRC2:USER_SGPR: 2
; COMPUTE_PGM_RSRC2:TRAP_HANDLER: 0
; COMPUTE_PGM_RSRC2:TGID_X_EN: 1
; COMPUTE_PGM_RSRC2:TGID_Y_EN: 0
; COMPUTE_PGM_RSRC2:TGID_Z_EN: 0
; COMPUTE_PGM_RSRC2:TIDIG_COMP_CNT: 0
; COMPUTE_PGM_RSRC3_GFX90A:ACCUM_OFFSET: 0
; COMPUTE_PGM_RSRC3_GFX90A:TG_SPLIT: 0
	.section	.text._ZN7rocprim17ROCPRIM_400000_NS6detail17trampoline_kernelINS0_14default_configENS1_35adjacent_difference_config_selectorILb1EtEEZNS1_24adjacent_difference_implIS3_Lb1ELb0EPtN6thrust23THRUST_200600_302600_NS16discard_iteratorINS9_11use_defaultEEENS9_5minusItEEEE10hipError_tPvRmT2_T3_mT4_P12ihipStream_tbEUlT_E_NS1_11comp_targetILNS1_3genE5ELNS1_11target_archE942ELNS1_3gpuE9ELNS1_3repE0EEENS1_30default_config_static_selectorELNS0_4arch9wavefront6targetE1EEEvT1_,"axG",@progbits,_ZN7rocprim17ROCPRIM_400000_NS6detail17trampoline_kernelINS0_14default_configENS1_35adjacent_difference_config_selectorILb1EtEEZNS1_24adjacent_difference_implIS3_Lb1ELb0EPtN6thrust23THRUST_200600_302600_NS16discard_iteratorINS9_11use_defaultEEENS9_5minusItEEEE10hipError_tPvRmT2_T3_mT4_P12ihipStream_tbEUlT_E_NS1_11comp_targetILNS1_3genE5ELNS1_11target_archE942ELNS1_3gpuE9ELNS1_3repE0EEENS1_30default_config_static_selectorELNS0_4arch9wavefront6targetE1EEEvT1_,comdat
	.protected	_ZN7rocprim17ROCPRIM_400000_NS6detail17trampoline_kernelINS0_14default_configENS1_35adjacent_difference_config_selectorILb1EtEEZNS1_24adjacent_difference_implIS3_Lb1ELb0EPtN6thrust23THRUST_200600_302600_NS16discard_iteratorINS9_11use_defaultEEENS9_5minusItEEEE10hipError_tPvRmT2_T3_mT4_P12ihipStream_tbEUlT_E_NS1_11comp_targetILNS1_3genE5ELNS1_11target_archE942ELNS1_3gpuE9ELNS1_3repE0EEENS1_30default_config_static_selectorELNS0_4arch9wavefront6targetE1EEEvT1_ ; -- Begin function _ZN7rocprim17ROCPRIM_400000_NS6detail17trampoline_kernelINS0_14default_configENS1_35adjacent_difference_config_selectorILb1EtEEZNS1_24adjacent_difference_implIS3_Lb1ELb0EPtN6thrust23THRUST_200600_302600_NS16discard_iteratorINS9_11use_defaultEEENS9_5minusItEEEE10hipError_tPvRmT2_T3_mT4_P12ihipStream_tbEUlT_E_NS1_11comp_targetILNS1_3genE5ELNS1_11target_archE942ELNS1_3gpuE9ELNS1_3repE0EEENS1_30default_config_static_selectorELNS0_4arch9wavefront6targetE1EEEvT1_
	.globl	_ZN7rocprim17ROCPRIM_400000_NS6detail17trampoline_kernelINS0_14default_configENS1_35adjacent_difference_config_selectorILb1EtEEZNS1_24adjacent_difference_implIS3_Lb1ELb0EPtN6thrust23THRUST_200600_302600_NS16discard_iteratorINS9_11use_defaultEEENS9_5minusItEEEE10hipError_tPvRmT2_T3_mT4_P12ihipStream_tbEUlT_E_NS1_11comp_targetILNS1_3genE5ELNS1_11target_archE942ELNS1_3gpuE9ELNS1_3repE0EEENS1_30default_config_static_selectorELNS0_4arch9wavefront6targetE1EEEvT1_
	.p2align	8
	.type	_ZN7rocprim17ROCPRIM_400000_NS6detail17trampoline_kernelINS0_14default_configENS1_35adjacent_difference_config_selectorILb1EtEEZNS1_24adjacent_difference_implIS3_Lb1ELb0EPtN6thrust23THRUST_200600_302600_NS16discard_iteratorINS9_11use_defaultEEENS9_5minusItEEEE10hipError_tPvRmT2_T3_mT4_P12ihipStream_tbEUlT_E_NS1_11comp_targetILNS1_3genE5ELNS1_11target_archE942ELNS1_3gpuE9ELNS1_3repE0EEENS1_30default_config_static_selectorELNS0_4arch9wavefront6targetE1EEEvT1_,@function
_ZN7rocprim17ROCPRIM_400000_NS6detail17trampoline_kernelINS0_14default_configENS1_35adjacent_difference_config_selectorILb1EtEEZNS1_24adjacent_difference_implIS3_Lb1ELb0EPtN6thrust23THRUST_200600_302600_NS16discard_iteratorINS9_11use_defaultEEENS9_5minusItEEEE10hipError_tPvRmT2_T3_mT4_P12ihipStream_tbEUlT_E_NS1_11comp_targetILNS1_3genE5ELNS1_11target_archE942ELNS1_3gpuE9ELNS1_3repE0EEENS1_30default_config_static_selectorELNS0_4arch9wavefront6targetE1EEEvT1_: ; @_ZN7rocprim17ROCPRIM_400000_NS6detail17trampoline_kernelINS0_14default_configENS1_35adjacent_difference_config_selectorILb1EtEEZNS1_24adjacent_difference_implIS3_Lb1ELb0EPtN6thrust23THRUST_200600_302600_NS16discard_iteratorINS9_11use_defaultEEENS9_5minusItEEEE10hipError_tPvRmT2_T3_mT4_P12ihipStream_tbEUlT_E_NS1_11comp_targetILNS1_3genE5ELNS1_11target_archE942ELNS1_3gpuE9ELNS1_3repE0EEENS1_30default_config_static_selectorELNS0_4arch9wavefront6targetE1EEEvT1_
; %bb.0:
	s_load_dwordx4 s[8:11], s[0:1], 0x0
	s_load_dwordx2 s[14:15], s[0:1], 0x20
	s_load_dwordx4 s[4:7], s[0:1], 0x30
	v_bfrev_b32_e32 v1, 1
	s_mov_b32 s3, 0
	s_waitcnt lgkmcnt(0)
	s_lshl_b64 s[0:1], s[10:11], 1
	s_add_u32 s18, s8, s0
	s_addc_u32 s19, s9, s1
	s_mov_b32 s1, 0x90841c60
	s_add_u32 s1, 0x230, s1
	s_addc_u32 s8, 0, 0
	v_add_co_u32_e32 v1, vcc, s1, v1
	s_cmp_lg_u64 vcc, 0
	v_readfirstlane_b32 s9, v1
	s_addc_u32 s1, s8, 0x210841
	s_mul_hi_u32 s12, s9, 0xfffff840
	s_mul_i32 s8, s1, 0xfffff840
	s_sub_i32 s12, s12, s9
	s_add_i32 s12, s12, s8
	s_mul_i32 s16, s9, 0xfffff840
	s_mul_hi_u32 s8, s9, s12
	s_mul_i32 s13, s9, s12
	s_mul_hi_u32 s9, s9, s16
	s_add_u32 s9, s9, s13
	s_addc_u32 s8, 0, s8
	s_mul_hi_u32 s17, s1, s16
	s_mul_i32 s16, s1, s16
	s_add_u32 s9, s9, s16
	s_mul_hi_u32 s13, s1, s12
	s_addc_u32 s8, s8, s17
	s_addc_u32 s9, s13, 0
	s_mul_i32 s12, s1, s12
	s_add_u32 s8, s8, s12
	s_addc_u32 s9, 0, s9
	v_add_co_u32_e32 v1, vcc, s8, v1
	s_cmp_lg_u64 vcc, 0
	s_addc_u32 s1, s1, s9
	v_readfirstlane_b32 s12, v1
	s_mul_i32 s9, s14, s1
	s_mul_hi_u32 s13, s14, s12
	s_mul_hi_u32 s8, s14, s1
	s_add_u32 s9, s13, s9
	s_addc_u32 s8, 0, s8
	s_mul_hi_u32 s16, s15, s12
	s_mul_i32 s12, s15, s12
	s_add_u32 s9, s9, s12
	s_mul_hi_u32 s13, s15, s1
	s_addc_u32 s8, s8, s16
	s_addc_u32 s9, s13, 0
	s_mul_i32 s1, s15, s1
	s_add_u32 s8, s8, s1
	s_addc_u32 s1, 0, s9
	s_add_u32 s9, s8, 1
	s_addc_u32 s12, s1, 0
	s_add_u32 s13, s8, 2
	s_mul_i32 s17, s1, 0x7c0
	s_mul_hi_u32 s20, s8, 0x7c0
	s_addc_u32 s16, s1, 0
	s_add_i32 s20, s20, s17
	s_mul_i32 s17, s8, 0x7c0
	v_mov_b32_e32 v1, s17
	v_sub_co_u32_e32 v1, vcc, s14, v1
	s_movk_i32 s0, 0x7c0
	s_cmp_lg_u64 vcc, 0
	s_subb_u32 s17, s15, s20
	v_subrev_co_u32_e32 v2, vcc, s0, v1
	s_cmp_lg_u64 vcc, 0
	s_subb_u32 s0, s17, 0
	v_readfirstlane_b32 s20, v2
	s_cmpk_gt_u32 s20, 0x7bf
	s_cselect_b32 s20, -1, 0
	s_cmp_eq_u32 s0, 0
	s_cselect_b32 s0, s20, -1
	s_cmp_lg_u32 s0, 0
	s_cselect_b32 s0, s13, s9
	s_cselect_b32 s9, s16, s12
	v_readfirstlane_b32 s12, v1
	s_cmpk_gt_u32 s12, 0x7bf
	s_cselect_b32 s12, -1, 0
	s_cmp_eq_u32 s17, 0
	s_cselect_b32 s12, s12, -1
	s_cmp_lg_u32 s12, 0
	s_cselect_b32 s1, s9, s1
	s_cselect_b32 s0, s0, s8
	s_mul_i32 s8, s1, 0x7c0
	s_mul_hi_u32 s9, s0, 0x7c0
	s_add_i32 s9, s9, s8
	s_mul_i32 s8, s0, 0x7c0
	s_sub_u32 s8, s14, s8
	s_subb_u32 s9, s15, s9
	s_cmp_lg_u64 s[8:9], 0
	s_cselect_b64 s[8:9], -1, 0
	v_cndmask_b32_e64 v2, 0, 1, s[8:9]
	v_mov_b32_e32 v3, s3
	v_lshl_add_u64 v[14:15], s[0:1], 0, v[2:3]
	s_add_u32 s8, s6, s2
	s_addc_u32 s9, s7, 0
	v_lshl_add_u64 v[22:23], v[14:15], 0, -1
	v_cmp_ge_u64_e64 s[0:1], s[8:9], v[22:23]
	s_mul_i32 s10, s2, 0x7c0
	s_movk_i32 s11, 0xf840
	s_mov_b64 s[12:13], -1
	s_and_b64 vcc, exec, s[0:1]
	s_cbranch_vccz .LBB728_64
; %bb.1:
	v_mul_lo_u32 v1, v22, s11
	s_mov_b32 s11, s3
	s_lshl_b64 s[12:13], s[10:11], 1
	v_add_u32_e32 v2, s14, v1
	s_add_u32 s12, s18, s12
	s_addc_u32 s13, s19, s13
	v_cmp_lt_u32_e32 vcc, v0, v2
                                        ; implicit-def: $vgpr1
	s_and_saveexec_b64 s[16:17], vcc
	s_cbranch_execz .LBB728_3
; %bb.2:
	v_lshlrev_b32_e32 v1, 1, v0
	global_load_ushort v1, v1, s[12:13]
.LBB728_3:
	s_or_b64 exec, exec, s[16:17]
	v_or_b32_e32 v3, 64, v0
	v_cmp_lt_u32_e32 vcc, v3, v2
                                        ; implicit-def: $vgpr3
	s_and_saveexec_b64 s[16:17], vcc
	s_cbranch_execz .LBB728_5
; %bb.4:
	v_lshlrev_b32_e32 v3, 1, v0
	global_load_ushort v3, v3, s[12:13] offset:128
.LBB728_5:
	s_or_b64 exec, exec, s[16:17]
	v_or_b32_e32 v4, 0x80, v0
	v_cmp_lt_u32_e32 vcc, v4, v2
                                        ; implicit-def: $vgpr4
	s_and_saveexec_b64 s[16:17], vcc
	s_cbranch_execz .LBB728_7
; %bb.6:
	v_lshlrev_b32_e32 v4, 1, v0
	global_load_ushort v4, v4, s[12:13] offset:256
.LBB728_7:
	s_or_b64 exec, exec, s[16:17]
	v_or_b32_e32 v5, 0xc0, v0
	v_cmp_lt_u32_e32 vcc, v5, v2
                                        ; implicit-def: $vgpr5
	s_and_saveexec_b64 s[16:17], vcc
	s_cbranch_execz .LBB728_9
; %bb.8:
	v_lshlrev_b32_e32 v5, 1, v0
	global_load_ushort v5, v5, s[12:13] offset:384
.LBB728_9:
	s_or_b64 exec, exec, s[16:17]
	v_or_b32_e32 v6, 0x100, v0
	v_cmp_lt_u32_e32 vcc, v6, v2
                                        ; implicit-def: $vgpr6
	s_and_saveexec_b64 s[16:17], vcc
	s_cbranch_execz .LBB728_11
; %bb.10:
	v_lshlrev_b32_e32 v6, 1, v0
	global_load_ushort v6, v6, s[12:13] offset:512
.LBB728_11:
	s_or_b64 exec, exec, s[16:17]
	v_or_b32_e32 v7, 0x140, v0
	v_cmp_lt_u32_e32 vcc, v7, v2
                                        ; implicit-def: $vgpr7
	s_and_saveexec_b64 s[16:17], vcc
	s_cbranch_execz .LBB728_13
; %bb.12:
	v_lshlrev_b32_e32 v7, 1, v0
	global_load_ushort v7, v7, s[12:13] offset:640
.LBB728_13:
	s_or_b64 exec, exec, s[16:17]
	v_or_b32_e32 v8, 0x180, v0
	v_cmp_lt_u32_e32 vcc, v8, v2
                                        ; implicit-def: $vgpr8
	s_and_saveexec_b64 s[16:17], vcc
	s_cbranch_execz .LBB728_15
; %bb.14:
	v_lshlrev_b32_e32 v8, 1, v0
	global_load_ushort v8, v8, s[12:13] offset:768
.LBB728_15:
	s_or_b64 exec, exec, s[16:17]
	v_or_b32_e32 v9, 0x1c0, v0
	v_cmp_lt_u32_e32 vcc, v9, v2
                                        ; implicit-def: $vgpr9
	s_and_saveexec_b64 s[16:17], vcc
	s_cbranch_execz .LBB728_17
; %bb.16:
	v_lshlrev_b32_e32 v9, 1, v0
	global_load_ushort v9, v9, s[12:13] offset:896
.LBB728_17:
	s_or_b64 exec, exec, s[16:17]
	v_or_b32_e32 v10, 0x200, v0
	v_cmp_lt_u32_e32 vcc, v10, v2
                                        ; implicit-def: $vgpr10
	s_and_saveexec_b64 s[16:17], vcc
	s_cbranch_execz .LBB728_19
; %bb.18:
	v_lshlrev_b32_e32 v10, 1, v0
	global_load_ushort v10, v10, s[12:13] offset:1024
.LBB728_19:
	s_or_b64 exec, exec, s[16:17]
	v_or_b32_e32 v11, 0x240, v0
	v_cmp_lt_u32_e32 vcc, v11, v2
                                        ; implicit-def: $vgpr11
	s_and_saveexec_b64 s[16:17], vcc
	s_cbranch_execz .LBB728_21
; %bb.20:
	v_lshlrev_b32_e32 v11, 1, v0
	global_load_ushort v11, v11, s[12:13] offset:1152
.LBB728_21:
	s_or_b64 exec, exec, s[16:17]
	v_or_b32_e32 v12, 0x280, v0
	v_cmp_lt_u32_e32 vcc, v12, v2
                                        ; implicit-def: $vgpr12
	s_and_saveexec_b64 s[16:17], vcc
	s_cbranch_execz .LBB728_23
; %bb.22:
	v_lshlrev_b32_e32 v12, 1, v0
	global_load_ushort v12, v12, s[12:13] offset:1280
.LBB728_23:
	s_or_b64 exec, exec, s[16:17]
	v_or_b32_e32 v13, 0x2c0, v0
	v_cmp_lt_u32_e32 vcc, v13, v2
                                        ; implicit-def: $vgpr13
	s_and_saveexec_b64 s[16:17], vcc
	s_cbranch_execz .LBB728_25
; %bb.24:
	v_lshlrev_b32_e32 v13, 1, v0
	global_load_ushort v13, v13, s[12:13] offset:1408
.LBB728_25:
	s_or_b64 exec, exec, s[16:17]
	v_or_b32_e32 v16, 0x300, v0
	v_cmp_lt_u32_e32 vcc, v16, v2
                                        ; implicit-def: $vgpr16
	s_and_saveexec_b64 s[16:17], vcc
	s_cbranch_execz .LBB728_27
; %bb.26:
	v_lshlrev_b32_e32 v16, 1, v0
	global_load_ushort v16, v16, s[12:13] offset:1536
.LBB728_27:
	s_or_b64 exec, exec, s[16:17]
	v_or_b32_e32 v17, 0x340, v0
	v_cmp_lt_u32_e32 vcc, v17, v2
                                        ; implicit-def: $vgpr17
	s_and_saveexec_b64 s[16:17], vcc
	s_cbranch_execz .LBB728_29
; %bb.28:
	v_lshlrev_b32_e32 v17, 1, v0
	global_load_ushort v17, v17, s[12:13] offset:1664
.LBB728_29:
	s_or_b64 exec, exec, s[16:17]
	v_or_b32_e32 v18, 0x380, v0
	v_cmp_lt_u32_e32 vcc, v18, v2
                                        ; implicit-def: $vgpr18
	s_and_saveexec_b64 s[16:17], vcc
	s_cbranch_execz .LBB728_31
; %bb.30:
	v_lshlrev_b32_e32 v18, 1, v0
	global_load_ushort v18, v18, s[12:13] offset:1792
.LBB728_31:
	s_or_b64 exec, exec, s[16:17]
	v_or_b32_e32 v19, 0x3c0, v0
	v_cmp_lt_u32_e32 vcc, v19, v2
                                        ; implicit-def: $vgpr19
	s_and_saveexec_b64 s[16:17], vcc
	s_cbranch_execz .LBB728_33
; %bb.32:
	v_lshlrev_b32_e32 v19, 1, v0
	global_load_ushort v19, v19, s[12:13] offset:1920
.LBB728_33:
	s_or_b64 exec, exec, s[16:17]
	v_or_b32_e32 v20, 0x400, v0
	v_cmp_lt_u32_e32 vcc, v20, v2
                                        ; implicit-def: $vgpr20
	s_and_saveexec_b64 s[16:17], vcc
	s_cbranch_execz .LBB728_35
; %bb.34:
	v_lshlrev_b32_e32 v20, 1, v0
	global_load_ushort v20, v20, s[12:13] offset:2048
.LBB728_35:
	s_or_b64 exec, exec, s[16:17]
	v_or_b32_e32 v21, 0x440, v0
	v_cmp_lt_u32_e32 vcc, v21, v2
                                        ; implicit-def: $vgpr21
	s_and_saveexec_b64 s[16:17], vcc
	s_cbranch_execz .LBB728_37
; %bb.36:
	v_lshlrev_b32_e32 v21, 1, v0
	global_load_ushort v21, v21, s[12:13] offset:2176
.LBB728_37:
	s_or_b64 exec, exec, s[16:17]
	v_or_b32_e32 v24, 0x480, v0
	v_cmp_lt_u32_e32 vcc, v24, v2
                                        ; implicit-def: $vgpr24
	s_and_saveexec_b64 s[16:17], vcc
	s_cbranch_execz .LBB728_39
; %bb.38:
	v_lshlrev_b32_e32 v24, 1, v0
	global_load_ushort v24, v24, s[12:13] offset:2304
.LBB728_39:
	s_or_b64 exec, exec, s[16:17]
	v_or_b32_e32 v25, 0x4c0, v0
	v_cmp_lt_u32_e32 vcc, v25, v2
                                        ; implicit-def: $vgpr25
	s_and_saveexec_b64 s[16:17], vcc
	s_cbranch_execz .LBB728_41
; %bb.40:
	v_lshlrev_b32_e32 v25, 1, v0
	global_load_ushort v25, v25, s[12:13] offset:2432
.LBB728_41:
	s_or_b64 exec, exec, s[16:17]
	v_or_b32_e32 v26, 0x500, v0
	v_cmp_lt_u32_e32 vcc, v26, v2
                                        ; implicit-def: $vgpr26
	s_and_saveexec_b64 s[16:17], vcc
	s_cbranch_execz .LBB728_43
; %bb.42:
	v_lshlrev_b32_e32 v26, 1, v0
	global_load_ushort v26, v26, s[12:13] offset:2560
.LBB728_43:
	s_or_b64 exec, exec, s[16:17]
	v_or_b32_e32 v27, 0x540, v0
	v_cmp_lt_u32_e32 vcc, v27, v2
                                        ; implicit-def: $vgpr27
	s_and_saveexec_b64 s[16:17], vcc
	s_cbranch_execz .LBB728_45
; %bb.44:
	v_lshlrev_b32_e32 v27, 1, v0
	global_load_ushort v27, v27, s[12:13] offset:2688
.LBB728_45:
	s_or_b64 exec, exec, s[16:17]
	v_or_b32_e32 v28, 0x580, v0
	v_cmp_lt_u32_e32 vcc, v28, v2
                                        ; implicit-def: $vgpr28
	s_and_saveexec_b64 s[16:17], vcc
	s_cbranch_execz .LBB728_47
; %bb.46:
	v_lshlrev_b32_e32 v28, 1, v0
	global_load_ushort v28, v28, s[12:13] offset:2816
.LBB728_47:
	s_or_b64 exec, exec, s[16:17]
	v_or_b32_e32 v29, 0x5c0, v0
	v_cmp_lt_u32_e32 vcc, v29, v2
                                        ; implicit-def: $vgpr29
	s_and_saveexec_b64 s[16:17], vcc
	s_cbranch_execz .LBB728_49
; %bb.48:
	v_lshlrev_b32_e32 v29, 1, v0
	global_load_ushort v29, v29, s[12:13] offset:2944
.LBB728_49:
	s_or_b64 exec, exec, s[16:17]
	v_or_b32_e32 v30, 0x600, v0
	v_cmp_lt_u32_e32 vcc, v30, v2
                                        ; implicit-def: $vgpr30
	s_and_saveexec_b64 s[16:17], vcc
	s_cbranch_execz .LBB728_51
; %bb.50:
	v_lshlrev_b32_e32 v30, 1, v0
	global_load_ushort v30, v30, s[12:13] offset:3072
.LBB728_51:
	s_or_b64 exec, exec, s[16:17]
	v_or_b32_e32 v31, 0x640, v0
	v_cmp_lt_u32_e32 vcc, v31, v2
                                        ; implicit-def: $vgpr31
	s_and_saveexec_b64 s[16:17], vcc
	s_cbranch_execz .LBB728_53
; %bb.52:
	v_lshlrev_b32_e32 v31, 1, v0
	global_load_ushort v31, v31, s[12:13] offset:3200
.LBB728_53:
	s_or_b64 exec, exec, s[16:17]
	v_or_b32_e32 v32, 0x680, v0
	v_cmp_lt_u32_e32 vcc, v32, v2
                                        ; implicit-def: $vgpr32
	s_and_saveexec_b64 s[16:17], vcc
	s_cbranch_execz .LBB728_55
; %bb.54:
	v_lshlrev_b32_e32 v32, 1, v0
	global_load_ushort v32, v32, s[12:13] offset:3328
.LBB728_55:
	s_or_b64 exec, exec, s[16:17]
	v_or_b32_e32 v33, 0x6c0, v0
	v_cmp_lt_u32_e32 vcc, v33, v2
                                        ; implicit-def: $vgpr33
	s_and_saveexec_b64 s[16:17], vcc
	s_cbranch_execz .LBB728_57
; %bb.56:
	v_lshlrev_b32_e32 v33, 1, v0
	global_load_ushort v33, v33, s[12:13] offset:3456
.LBB728_57:
	s_or_b64 exec, exec, s[16:17]
	v_or_b32_e32 v34, 0x700, v0
	v_cmp_lt_u32_e32 vcc, v34, v2
                                        ; implicit-def: $vgpr34
	s_and_saveexec_b64 s[16:17], vcc
	s_cbranch_execz .LBB728_59
; %bb.58:
	v_lshlrev_b32_e32 v34, 1, v0
	global_load_ushort v34, v34, s[12:13] offset:3584
.LBB728_59:
	s_or_b64 exec, exec, s[16:17]
	v_or_b32_e32 v35, 0x740, v0
	v_cmp_lt_u32_e32 vcc, v35, v2
                                        ; implicit-def: $vgpr35
	s_and_saveexec_b64 s[16:17], vcc
	s_cbranch_execz .LBB728_61
; %bb.60:
	v_lshlrev_b32_e32 v35, 1, v0
	global_load_ushort v35, v35, s[12:13] offset:3712
.LBB728_61:
	s_or_b64 exec, exec, s[16:17]
	v_or_b32_e32 v36, 0x780, v0
	v_cmp_lt_u32_e32 vcc, v36, v2
                                        ; implicit-def: $vgpr2
	s_and_saveexec_b64 s[16:17], vcc
	s_cbranch_execz .LBB728_63
; %bb.62:
	v_lshlrev_b32_e32 v2, 1, v0
	global_load_ushort v2, v2, s[12:13] offset:3840
.LBB728_63:
	s_or_b64 exec, exec, s[16:17]
	v_lshlrev_b32_e32 v36, 1, v0
	s_mov_b64 s[12:13], 0
	s_waitcnt vmcnt(0)
	ds_write_b16 v36, v1
	ds_write_b16 v36, v3 offset:128
	ds_write_b16 v36, v4 offset:256
	;; [unrolled: 1-line block ×30, first 2 shown]
	s_waitcnt lgkmcnt(0)
	; wave barrier
.LBB728_64:
	s_and_b64 vcc, exec, s[12:13]
	v_lshlrev_b32_e32 v24, 1, v0
	s_cbranch_vccz .LBB728_66
; %bb.65:
	s_mov_b32 s11, 0
	s_lshl_b64 s[10:11], s[10:11], 1
	s_add_u32 s10, s18, s10
	s_addc_u32 s11, s19, s11
	global_load_ushort v1, v24, s[10:11]
	global_load_ushort v2, v24, s[10:11] offset:128
	global_load_ushort v3, v24, s[10:11] offset:256
	global_load_ushort v4, v24, s[10:11] offset:384
	global_load_ushort v5, v24, s[10:11] offset:512
	global_load_ushort v6, v24, s[10:11] offset:640
	global_load_ushort v7, v24, s[10:11] offset:768
	global_load_ushort v8, v24, s[10:11] offset:896
	global_load_ushort v9, v24, s[10:11] offset:1024
	global_load_ushort v10, v24, s[10:11] offset:1152
	global_load_ushort v11, v24, s[10:11] offset:1280
	global_load_ushort v12, v24, s[10:11] offset:1408
	global_load_ushort v13, v24, s[10:11] offset:1536
	global_load_ushort v16, v24, s[10:11] offset:1664
	global_load_ushort v17, v24, s[10:11] offset:1792
	global_load_ushort v18, v24, s[10:11] offset:1920
	global_load_ushort v19, v24, s[10:11] offset:2048
	global_load_ushort v20, v24, s[10:11] offset:2176
	global_load_ushort v21, v24, s[10:11] offset:2304
	global_load_ushort v25, v24, s[10:11] offset:2432
	global_load_ushort v26, v24, s[10:11] offset:2560
	global_load_ushort v27, v24, s[10:11] offset:2688
	global_load_ushort v28, v24, s[10:11] offset:2816
	global_load_ushort v29, v24, s[10:11] offset:2944
	global_load_ushort v30, v24, s[10:11] offset:3072
	global_load_ushort v31, v24, s[10:11] offset:3200
	global_load_ushort v32, v24, s[10:11] offset:3328
	global_load_ushort v33, v24, s[10:11] offset:3456
	global_load_ushort v34, v24, s[10:11] offset:3584
	global_load_ushort v35, v24, s[10:11] offset:3712
	global_load_ushort v36, v24, s[10:11] offset:3840
	s_waitcnt vmcnt(30)
	ds_write_b16 v24, v1
	s_waitcnt vmcnt(29)
	ds_write_b16 v24, v2 offset:128
	s_waitcnt vmcnt(28)
	ds_write_b16 v24, v3 offset:256
	;; [unrolled: 2-line block ×30, first 2 shown]
	s_waitcnt lgkmcnt(0)
	; wave barrier
.LBB728_66:
	v_mul_u32_u24_e32 v1, 31, v0
	v_lshlrev_b32_e32 v1, 1, v1
	s_waitcnt lgkmcnt(0)
	ds_read_b96 v[10:12], v1
	ds_read_b64 v[20:21], v1 offset:12
	ds_read_b96 v[6:8], v1 offset:20
	ds_read_b64 v[18:19], v1 offset:32
	ds_read_b96 v[2:4], v1 offset:40
	ds_read_b64 v[16:17], v1 offset:52
	ds_read_u16 v1, v1 offset:60
	s_waitcnt lgkmcnt(6)
	v_alignbit_b32 v13, v12, v11, 16
	v_alignbit_b32 v11, v11, v10, 16
	v_lshrrev_b32_e32 v12, 16, v12
	s_waitcnt lgkmcnt(4)
	v_alignbit_b32 v9, v8, v7, 16
	v_alignbit_b32 v7, v7, v6, 16
	v_lshrrev_b32_e32 v8, 16, v8
	;; [unrolled: 4-line block ×3, first 2 shown]
	s_cmp_eq_u64 s[8:9], 0
	s_waitcnt lgkmcnt(0)
	; wave barrier
	s_waitcnt lgkmcnt(0)
	s_cbranch_scc1 .LBB728_71
; %bb.67:
	s_lshl_b64 s[6:7], s[6:7], 1
	s_add_u32 s4, s4, s6
	s_addc_u32 s5, s5, s7
	s_lshl_b64 s[2:3], s[2:3], 1
	s_add_u32 s2, s4, s2
	s_addc_u32 s3, s5, s3
	v_mov_b32_e32 v25, 0
	global_load_ushort v42, v25, s[2:3] offset:-2
	v_cmp_eq_u64_e32 vcc, s[8:9], v[22:23]
	s_cbranch_vccnz .LBB728_72
; %bb.68:
	v_cmp_ne_u32_e32 vcc, 0, v0
	s_waitcnt vmcnt(0)
	v_mov_b32_e32 v22, v42
	ds_write_b16 v24, v1
	s_waitcnt lgkmcnt(0)
	; wave barrier
	s_waitcnt lgkmcnt(0)
	s_and_saveexec_b64 s[2:3], vcc
	s_cbranch_execz .LBB728_70
; %bb.69:
	v_add_u32_e32 v22, -2, v24
	ds_read_u16 v22, v22
.LBB728_70:
	s_or_b64 exec, exec, s[2:3]
	s_mov_b32 s2, 0x5040100
	s_waitcnt lgkmcnt(0)
	v_sub_u16_e32 v28, v10, v22
	v_perm_b32 v30, v11, v10, s2
	v_alignbit_b32 v31, v13, v11, 16
	v_lshrrev_b32_e32 v29, 16, v13
	v_perm_b32 v32, v20, v12, s2
	v_alignbit_b32 v34, v21, v20, 16
	v_lshrrev_b32_e32 v27, 16, v21
	v_perm_b32 v33, v7, v6, s2
	v_alignbit_b32 v35, v9, v7, 16
	v_lshrrev_b32_e32 v26, 16, v9
	v_perm_b32 v36, v18, v8, s2
	v_alignbit_b32 v39, v19, v18, 16
	v_lshrrev_b32_e32 v25, 16, v19
	v_perm_b32 v37, v3, v2, s2
	v_alignbit_b32 v40, v5, v3, 16
	v_lshrrev_b32_e32 v23, 16, v5
	v_perm_b32 v38, v16, v4, s2
	v_alignbit_b32 v41, v17, v16, 16
	v_lshrrev_b32_e32 v22, 16, v17
	s_branch .LBB728_76
.LBB728_71:
                                        ; implicit-def: $vgpr41
                                        ; implicit-def: $vgpr38
                                        ; implicit-def: $vgpr40
                                        ; implicit-def: $vgpr37
                                        ; implicit-def: $vgpr39
                                        ; implicit-def: $vgpr36
                                        ; implicit-def: $vgpr35
                                        ; implicit-def: $vgpr33
                                        ; implicit-def: $vgpr34
                                        ; implicit-def: $vgpr32
                                        ; implicit-def: $vgpr31
                                        ; implicit-def: $vgpr30
                                        ; implicit-def: $vgpr28
                                        ; implicit-def: $vgpr29
                                        ; implicit-def: $vgpr27
                                        ; implicit-def: $vgpr26
                                        ; implicit-def: $vgpr25
                                        ; implicit-def: $vgpr23
                                        ; implicit-def: $vgpr22
	s_branch .LBB728_77
.LBB728_72:
                                        ; implicit-def: $vgpr41
                                        ; implicit-def: $vgpr38
                                        ; implicit-def: $vgpr40
                                        ; implicit-def: $vgpr37
                                        ; implicit-def: $vgpr39
                                        ; implicit-def: $vgpr36
                                        ; implicit-def: $vgpr35
                                        ; implicit-def: $vgpr33
                                        ; implicit-def: $vgpr34
                                        ; implicit-def: $vgpr32
                                        ; implicit-def: $vgpr31
                                        ; implicit-def: $vgpr30
                                        ; implicit-def: $vgpr28
                                        ; implicit-def: $vgpr29
                                        ; implicit-def: $vgpr27
                                        ; implicit-def: $vgpr26
                                        ; implicit-def: $vgpr25
                                        ; implicit-def: $vgpr23
                                        ; implicit-def: $vgpr22
	s_cbranch_execz .LBB728_76
; %bb.73:
	v_mul_u32_u24_e32 v28, 31, v0
	v_cmp_ne_u32_e32 vcc, 0, v0
	ds_write_b16 v24, v1
	s_waitcnt lgkmcnt(0)
	; wave barrier
	s_waitcnt lgkmcnt(0)
	s_and_saveexec_b64 s[2:3], vcc
	s_cbranch_execz .LBB728_75
; %bb.74:
	v_add_u32_e32 v22, -2, v24
	s_waitcnt vmcnt(0)
	ds_read_u16 v42, v22
.LBB728_75:
	s_or_b64 exec, exec, s[2:3]
	s_mul_i32 s2, s8, 0xfffff840
	s_add_i32 s2, s2, s14
	v_add_u32_e32 v22, 30, v28
	v_lshrrev_b32_e32 v23, 16, v17
	v_cmp_gt_u32_e32 vcc, s2, v22
	v_add_u32_e32 v25, 29, v28
	v_lshrrev_b32_e32 v29, 16, v16
	v_cndmask_b32_e32 v22, 0, v23, vcc
	v_add_u32_e32 v23, 28, v28
	v_cmp_gt_u32_e32 vcc, s2, v23
	v_add_u32_e32 v26, 26, v28
	v_add_u32_e32 v27, 27, v28
	v_cndmask_b32_e32 v41, 0, v29, vcc
	v_cmp_gt_u32_e32 vcc, s2, v25
	v_add_u32_e32 v23, 25, v28
	v_lshrrev_b32_e32 v25, 16, v5
	v_cndmask_b32_e32 v43, 0, v17, vcc
	v_cmp_gt_u32_e32 vcc, s2, v26
	v_add_u32_e32 v26, 24, v28
	v_lshrrev_b32_e32 v30, 16, v3
	v_cndmask_b32_e32 v38, 0, v4, vcc
	v_cmp_gt_u32_e32 vcc, s2, v27
	v_add_u32_e32 v27, 21, v28
	v_add_u32_e32 v29, 22, v28
	v_cndmask_b32_e32 v44, 0, v16, vcc
	v_cmp_gt_u32_e32 vcc, s2, v23
	v_lshrrev_b32_e32 v31, 16, v18
	v_lshrrev_b32_e32 v32, 16, v7
	v_cndmask_b32_e32 v23, 0, v25, vcc
	v_add_u32_e32 v25, 23, v28
	v_cmp_gt_u32_e32 vcc, s2, v25
	v_add_u32_e32 v25, 20, v28
	v_lshrrev_b32_e32 v34, 16, v20
	v_cndmask_b32_e32 v40, 0, v30, vcc
	v_cmp_gt_u32_e32 vcc, s2, v26
	v_lshrrev_b32_e32 v26, 16, v19
	v_add_u32_e32 v30, 17, v28
	v_cndmask_b32_e32 v45, 0, v5, vcc
	v_cmp_gt_u32_e32 vcc, s2, v27
	v_add_u32_e32 v27, 19, v28
	v_lshrrev_b32_e32 v55, 16, v11
	v_cndmask_b32_e32 v37, 0, v2, vcc
	v_cmp_gt_u32_e32 vcc, s2, v29
	v_add_u32_e32 v29, 16, v28
	v_add_u32_e32 v53, 1, v28
	v_cndmask_b32_e32 v46, 0, v3, vcc
	v_cmp_gt_u32_e32 vcc, s2, v25
	v_add_u32_e32 v54, 2, v28
	s_nop 0
	v_cndmask_b32_e32 v25, 0, v26, vcc
	v_add_u32_e32 v26, 18, v28
	v_cmp_gt_u32_e32 vcc, s2, v26
	v_add_u32_e32 v26, 15, v28
	s_nop 0
	v_cndmask_b32_e32 v39, 0, v31, vcc
	v_cmp_gt_u32_e32 vcc, s2, v27
	v_lshrrev_b32_e32 v27, 16, v9
	v_add_u32_e32 v31, 12, v28
	v_cndmask_b32_e32 v47, 0, v19, vcc
	v_cmp_gt_u32_e32 vcc, s2, v29
	v_add_u32_e32 v29, 14, v28
	s_nop 0
	v_cndmask_b32_e32 v36, 0, v8, vcc
	v_cmp_gt_u32_e32 vcc, s2, v30
	v_add_u32_e32 v30, 11, v28
	s_nop 0
	v_cndmask_b32_e32 v48, 0, v18, vcc
	v_cmp_gt_u32_e32 vcc, s2, v26
	s_nop 1
	v_cndmask_b32_e32 v26, 0, v27, vcc
	v_add_u32_e32 v27, 13, v28
	v_cmp_gt_u32_e32 vcc, s2, v27
	v_add_u32_e32 v27, 10, v28
	s_nop 0
	v_cndmask_b32_e32 v35, 0, v32, vcc
	v_cmp_gt_u32_e32 vcc, s2, v29
	v_lshrrev_b32_e32 v29, 16, v21
	v_add_u32_e32 v32, 7, v28
	v_cndmask_b32_e32 v49, 0, v9, vcc
	v_cmp_gt_u32_e32 vcc, s2, v30
	v_add_u32_e32 v30, 9, v28
	s_nop 0
	v_cndmask_b32_e32 v33, 0, v6, vcc
	v_cmp_gt_u32_e32 vcc, s2, v31
	v_add_u32_e32 v31, 6, v28
	s_nop 0
	v_cndmask_b32_e32 v50, 0, v7, vcc
	v_cmp_gt_u32_e32 vcc, s2, v27
	s_nop 1
	v_cndmask_b32_e32 v27, 0, v29, vcc
	v_add_u32_e32 v29, 8, v28
	v_cmp_gt_u32_e32 vcc, s2, v29
	v_add_u32_e32 v29, 5, v28
	s_nop 0
	v_cndmask_b32_e32 v34, 0, v34, vcc
	v_cmp_gt_u32_e32 vcc, s2, v30
	v_lshrrev_b32_e32 v30, 16, v13
	s_nop 0
	v_cndmask_b32_e32 v51, 0, v21, vcc
	v_cmp_gt_u32_e32 vcc, s2, v31
	v_add_u32_e32 v31, 4, v28
	s_nop 0
	v_cndmask_b32_e32 v52, 0, v12, vcc
	v_cmp_gt_u32_e32 vcc, s2, v32
	s_nop 1
	v_cndmask_b32_e32 v32, 0, v20, vcc
	v_cmp_gt_u32_e32 vcc, s2, v29
	s_nop 1
	v_cndmask_b32_e32 v29, 0, v30, vcc
	v_add_u32_e32 v30, 3, v28
	v_cmp_gt_u32_e32 vcc, s2, v30
	s_nop 1
	v_cndmask_b32_e32 v55, 0, v55, vcc
	v_cmp_gt_u32_e32 vcc, s2, v31
	s_nop 1
	v_cndmask_b32_e32 v31, 0, v13, vcc
	;; [unrolled: 3-line block ×4, first 2 shown]
	v_cmp_gt_u32_e32 vcc, s2, v28
	s_mov_b32 s2, 0x5040100
	v_perm_b32 v30, v53, v30, s2
	s_waitcnt vmcnt(0) lgkmcnt(0)
	v_cndmask_b32_e32 v28, 0, v42, vcc
	v_sub_u16_e32 v28, v10, v28
	v_perm_b32 v31, v31, v55, s2
	v_perm_b32 v32, v32, v52, s2
	;; [unrolled: 1-line block ×11, first 2 shown]
.LBB728_76:
	s_cbranch_execnz .LBB728_86
.LBB728_77:
	v_cmp_eq_u64_e32 vcc, 1, v[14:15]
	v_cmp_ne_u32_e64 s[2:3], 0, v0
	s_cbranch_vccnz .LBB728_81
; %bb.78:
	s_mov_b32 s6, 0x5040100
	v_mov_b32_e32 v14, 0
	v_mov_b32_e32 v28, v10
	ds_write_b16 v24, v1
	s_waitcnt lgkmcnt(0)
	; wave barrier
	s_waitcnt lgkmcnt(0)
	s_and_saveexec_b64 s[4:5], s[2:3]
	s_cbranch_execz .LBB728_80
; %bb.79:
	v_add_u32_e32 v14, -2, v24
	ds_read_u16 v14, v14
	s_waitcnt lgkmcnt(0)
	v_sub_u16_e32 v28, v10, v14
	v_mov_b32_e32 v14, v0
.LBB728_80:
	s_or_b64 exec, exec, s[4:5]
	v_perm_b32 v30, v11, v10, s6
	v_alignbit_b32 v31, v13, v11, 16
	v_lshrrev_b32_e32 v29, 16, v13
	v_perm_b32 v32, v20, v12, s6
	v_alignbit_b32 v34, v21, v20, 16
	v_lshrrev_b32_e32 v27, 16, v21
	;; [unrolled: 3-line block ×6, first 2 shown]
	s_cbranch_execz .LBB728_82
	s_branch .LBB728_85
.LBB728_81:
                                        ; implicit-def: $vgpr41
                                        ; implicit-def: $vgpr38
                                        ; implicit-def: $vgpr40
                                        ; implicit-def: $vgpr37
                                        ; implicit-def: $vgpr39
                                        ; implicit-def: $vgpr36
                                        ; implicit-def: $vgpr35
                                        ; implicit-def: $vgpr33
                                        ; implicit-def: $vgpr34
                                        ; implicit-def: $vgpr32
                                        ; implicit-def: $vgpr31
                                        ; implicit-def: $vgpr30
                                        ; implicit-def: $vgpr28
                                        ; implicit-def: $vgpr29
                                        ; implicit-def: $vgpr27
                                        ; implicit-def: $vgpr26
                                        ; implicit-def: $vgpr25
                                        ; implicit-def: $vgpr23
                                        ; implicit-def: $vgpr22
                                        ; implicit-def: $vgpr14
.LBB728_82:
	v_mad_u32_u24 v14, v0, 31, 30
	v_cmp_gt_u32_e32 vcc, s14, v14
	v_mad_u32_u24 v14, v0, 31, 29
	v_mad_u32_u24 v15, v0, 31, 28
	v_cmp_gt_u32_e64 s[2:3], s14, v14
	v_mad_u32_u24 v23, v0, 31, 26
	v_lshrrev_b32_e32 v26, 16, v16
	v_cndmask_b32_e64 v14, 0, v17, s[2:3]
	v_cmp_gt_u32_e64 s[2:3], s14, v15
	v_mad_u32_u24 v25, v0, 31, 27
	v_mad_u32_u24 v27, v0, 31, 21
	v_cndmask_b32_e64 v15, 0, v26, s[2:3]
	v_cmp_gt_u32_e64 s[2:3], s14, v23
	v_mad_u32_u24 v26, v0, 31, 23
	v_lshrrev_b32_e32 v30, 16, v3
	v_cndmask_b32_e64 v28, 0, v4, s[2:3]
	v_cmp_gt_u32_e64 s[2:3], s14, v25
	v_mad_u32_u24 v25, v0, 31, 24
	v_cmp_gt_u32_e64 s[4:5], s14, v25
	v_mad_u32_u24 v29, v0, 31, 22
	v_lshrrev_b32_e32 v31, 16, v18
	v_cndmask_b32_e64 v40, 0, v5, s[4:5]
	v_cmp_gt_u32_e64 s[4:5], s14, v26
	v_mad_u32_u24 v26, v0, 31, 19
	v_cmp_gt_u32_e64 s[6:7], s14, v26
	v_cndmask_b32_e64 v41, 0, v30, s[4:5]
	v_cmp_gt_u32_e64 s[4:5], s14, v27
	v_mad_u32_u24 v27, v0, 31, 18
	v_cndmask_b32_e64 v39, 0, v19, s[6:7]
	v_cndmask_b32_e64 v37, 0, v2, s[4:5]
	v_cmp_gt_u32_e64 s[4:5], s14, v29
	v_mad_u32_u24 v29, v0, 31, 16
	v_cmp_gt_u32_e64 s[6:7], s14, v27
	v_mad_u32_u24 v27, v0, 31, 14
	v_mad_u32_u24 v30, v0, 31, 17
	v_cndmask_b32_e64 v43, 0, v31, s[6:7]
	v_cmp_gt_u32_e64 s[6:7], s14, v29
	v_mad_u32_u24 v29, v0, 31, 13
	v_cmp_gt_u32_e64 s[8:9], s14, v27
	v_cndmask_b32_e64 v36, 0, v8, s[6:7]
	v_cmp_gt_u32_e64 s[6:7], s14, v30
	v_mad_u32_u24 v30, v0, 31, 11
	v_lshrrev_b32_e32 v32, 16, v7
	v_cndmask_b32_e64 v35, 0, v9, s[8:9]
	v_cmp_gt_u32_e64 s[8:9], s14, v29
	v_mad_u32_u24 v29, v0, 31, 9
	v_cmp_gt_u32_e64 s[10:11], s14, v29
	v_cndmask_b32_e64 v45, 0, v32, s[8:9]
	v_cmp_gt_u32_e64 s[8:9], s14, v30
	v_mad_u32_u24 v30, v0, 31, 8
	v_mad_u32_u24 v31, v0, 31, 12
	v_cndmask_b32_e64 v34, 0, v21, s[10:11]
	v_cmp_gt_u32_e64 s[10:11], s14, v30
	v_mad_u32_u24 v30, v0, 31, 4
	v_cndmask_b32_e64 v33, 0, v6, s[8:9]
	v_cmp_gt_u32_e64 s[8:9], s14, v31
	v_mad_u32_u24 v31, v0, 31, 6
	v_lshrrev_b32_e32 v32, 16, v20
	v_mad_u32_u24 v49, v0, 31, 3
	v_cmp_gt_u32_e64 s[12:13], s14, v30
	v_cndmask_b32_e64 v47, 0, v32, s[10:11]
	v_cmp_gt_u32_e64 s[10:11], s14, v31
	v_mad_u32_u24 v50, v0, 31, 1
	v_lshrrev_b32_e32 v53, 16, v11
	v_cndmask_b32_e64 v31, 0, v13, s[12:13]
	v_cmp_gt_u32_e64 s[12:13], s14, v49
	v_mad_u32_u24 v48, v0, 31, 7
	v_mad_u32_u24 v52, v0, 31, 2
	v_cndmask_b32_e64 v49, 0, v53, s[12:13]
	v_cmp_gt_u32_e64 s[12:13], s14, v50
	v_mul_u32_u24_e32 v51, 31, v0
	v_mad_u32_u24 v23, v0, 31, 25
	v_mad_u32_u24 v25, v0, 31, 20
	;; [unrolled: 1-line block ×4, first 2 shown]
	v_cndmask_b32_e64 v32, 0, v12, s[10:11]
	v_cmp_gt_u32_e64 s[10:11], s14, v48
	v_mad_u32_u24 v29, v0, 31, 5
	v_cndmask_b32_e64 v30, 0, v10, s[12:13]
	v_cmp_gt_u32_e64 s[12:13], s14, v52
	v_cndmask_b32_e64 v38, 0, v16, s[2:3]
	v_cmp_gt_u32_e64 s[2:3], s14, v23
	s_waitcnt vmcnt(0)
	v_cndmask_b32_e64 v42, 0, v3, s[4:5]
	v_cmp_gt_u32_e64 s[4:5], s14, v25
	v_cndmask_b32_e64 v44, 0, v18, s[6:7]
	v_cmp_gt_u32_e64 s[6:7], s14, v26
	;; [unrolled: 2-line block ×4, first 2 shown]
	v_cndmask_b32_e64 v50, 0, v11, s[12:13]
	v_cmp_ne_u32_e64 s[12:13], 0, v0
	v_cmp_gt_u32_e64 s[14:15], s14, v51
	v_lshrrev_b32_e32 v22, 16, v17
	v_lshrrev_b32_e32 v23, 16, v5
	;; [unrolled: 1-line block ×6, first 2 shown]
	s_and_b64 s[16:17], s[12:13], s[14:15]
	s_mov_b32 s14, 0x5040100
	ds_write_b16 v24, v1
	s_waitcnt lgkmcnt(0)
	; wave barrier
	s_waitcnt lgkmcnt(0)
	s_and_saveexec_b64 s[12:13], s[16:17]
	s_cbranch_execz .LBB728_84
; %bb.83:
	v_add_u32_e32 v24, -2, v24
	ds_read_u16 v24, v24
	s_waitcnt lgkmcnt(0)
	v_sub_u16_e32 v10, v10, v24
.LBB728_84:
	s_or_b64 exec, exec, s[12:13]
	v_cndmask_b32_e32 v22, 0, v22, vcc
	v_cndmask_b32_e64 v23, 0, v23, s[2:3]
	v_cndmask_b32_e64 v25, 0, v25, s[4:5]
	;; [unrolled: 1-line block ×5, first 2 shown]
	v_perm_b32 v30, v50, v30, s14
	v_perm_b32 v31, v31, v49, s14
	;; [unrolled: 1-line block ×12, first 2 shown]
	v_mov_b32_e32 v28, v10
	v_mov_b32_e32 v14, v0
.LBB728_85:
	v_mov_b32_e32 v0, v14
.LBB728_86:
	v_pk_sub_i16 v13, v13, v31
	v_pk_sub_i16 v14, v11, v30
	v_sub_u16_e32 v12, v12, v29
	s_mov_b32 s2, 0x5040100
	v_pk_sub_i16 v11, v21, v34
	v_pk_sub_i16 v10, v20, v32
	v_sub_u16_e32 v15, v6, v27
	v_pk_sub_i16 v9, v9, v35
	v_pk_sub_i16 v20, v7, v33
	v_sub_u16_e32 v8, v8, v26
	;; [unrolled: 3-line block ×3, first 2 shown]
	v_pk_sub_i16 v19, v5, v40
	v_sub_u16_e32 v21, v4, v23
	v_pk_sub_i16 v5, v17, v41
	v_pk_sub_i16 v4, v16, v38
	v_sub_u16_e32 v16, v1, v22
	v_mul_u32_u24_e32 v17, 62, v0
	v_alignbit_b32 v2, v12, v13, 16
	v_alignbit_b32 v1, v13, v14, 16
	v_perm_b32 v0, v14, v28, s2
	v_pk_sub_i16 v3, v3, v37
	s_waitcnt lgkmcnt(0)
	; wave barrier
	ds_write_b96 v17, v[0:2]
	ds_write_b64 v17, v[10:11] offset:12
	v_perm_b32 v0, v20, v15, s2
	v_alignbit_b32 v2, v8, v9, 16
	v_alignbit_b32 v1, v9, v20, 16
	ds_write_b96 v17, v[0:2] offset:20
	ds_write_b64 v17, v[6:7] offset:32
	v_perm_b32 v0, v3, v18, s2
	v_alignbit_b32 v2, v21, v19, 16
	v_alignbit_b32 v1, v19, v3, 16
	s_mov_b64 s[2:3], -1
	s_and_b64 vcc, exec, s[0:1]
	ds_write_b96 v17, v[0:2] offset:40
	ds_write_b64 v17, v[4:5] offset:52
	ds_write_b16 v17, v16 offset:60
	s_waitcnt lgkmcnt(0)
	s_cbranch_vccnz .LBB728_89
; %bb.87:
	s_andn2_b64 vcc, exec, s[2:3]
	s_cbranch_vccz .LBB728_90
.LBB728_88:
	s_endpgm
.LBB728_89:
	; wave barrier
	s_cbranch_execnz .LBB728_88
.LBB728_90:
	; wave barrier
	s_endpgm
	.section	.rodata,"a",@progbits
	.p2align	6, 0x0
	.amdhsa_kernel _ZN7rocprim17ROCPRIM_400000_NS6detail17trampoline_kernelINS0_14default_configENS1_35adjacent_difference_config_selectorILb1EtEEZNS1_24adjacent_difference_implIS3_Lb1ELb0EPtN6thrust23THRUST_200600_302600_NS16discard_iteratorINS9_11use_defaultEEENS9_5minusItEEEE10hipError_tPvRmT2_T3_mT4_P12ihipStream_tbEUlT_E_NS1_11comp_targetILNS1_3genE5ELNS1_11target_archE942ELNS1_3gpuE9ELNS1_3repE0EEENS1_30default_config_static_selectorELNS0_4arch9wavefront6targetE1EEEvT1_
		.amdhsa_group_segment_fixed_size 3968
		.amdhsa_private_segment_fixed_size 0
		.amdhsa_kernarg_size 64
		.amdhsa_user_sgpr_count 2
		.amdhsa_user_sgpr_dispatch_ptr 0
		.amdhsa_user_sgpr_queue_ptr 0
		.amdhsa_user_sgpr_kernarg_segment_ptr 1
		.amdhsa_user_sgpr_dispatch_id 0
		.amdhsa_user_sgpr_kernarg_preload_length 0
		.amdhsa_user_sgpr_kernarg_preload_offset 0
		.amdhsa_user_sgpr_private_segment_size 0
		.amdhsa_uses_dynamic_stack 0
		.amdhsa_enable_private_segment 0
		.amdhsa_system_sgpr_workgroup_id_x 1
		.amdhsa_system_sgpr_workgroup_id_y 0
		.amdhsa_system_sgpr_workgroup_id_z 0
		.amdhsa_system_sgpr_workgroup_info 0
		.amdhsa_system_vgpr_workitem_id 0
		.amdhsa_next_free_vgpr 56
		.amdhsa_next_free_sgpr 21
		.amdhsa_accum_offset 56
		.amdhsa_reserve_vcc 1
		.amdhsa_float_round_mode_32 0
		.amdhsa_float_round_mode_16_64 0
		.amdhsa_float_denorm_mode_32 3
		.amdhsa_float_denorm_mode_16_64 3
		.amdhsa_dx10_clamp 1
		.amdhsa_ieee_mode 1
		.amdhsa_fp16_overflow 0
		.amdhsa_tg_split 0
		.amdhsa_exception_fp_ieee_invalid_op 0
		.amdhsa_exception_fp_denorm_src 0
		.amdhsa_exception_fp_ieee_div_zero 0
		.amdhsa_exception_fp_ieee_overflow 0
		.amdhsa_exception_fp_ieee_underflow 0
		.amdhsa_exception_fp_ieee_inexact 0
		.amdhsa_exception_int_div_zero 0
	.end_amdhsa_kernel
	.section	.text._ZN7rocprim17ROCPRIM_400000_NS6detail17trampoline_kernelINS0_14default_configENS1_35adjacent_difference_config_selectorILb1EtEEZNS1_24adjacent_difference_implIS3_Lb1ELb0EPtN6thrust23THRUST_200600_302600_NS16discard_iteratorINS9_11use_defaultEEENS9_5minusItEEEE10hipError_tPvRmT2_T3_mT4_P12ihipStream_tbEUlT_E_NS1_11comp_targetILNS1_3genE5ELNS1_11target_archE942ELNS1_3gpuE9ELNS1_3repE0EEENS1_30default_config_static_selectorELNS0_4arch9wavefront6targetE1EEEvT1_,"axG",@progbits,_ZN7rocprim17ROCPRIM_400000_NS6detail17trampoline_kernelINS0_14default_configENS1_35adjacent_difference_config_selectorILb1EtEEZNS1_24adjacent_difference_implIS3_Lb1ELb0EPtN6thrust23THRUST_200600_302600_NS16discard_iteratorINS9_11use_defaultEEENS9_5minusItEEEE10hipError_tPvRmT2_T3_mT4_P12ihipStream_tbEUlT_E_NS1_11comp_targetILNS1_3genE5ELNS1_11target_archE942ELNS1_3gpuE9ELNS1_3repE0EEENS1_30default_config_static_selectorELNS0_4arch9wavefront6targetE1EEEvT1_,comdat
.Lfunc_end728:
	.size	_ZN7rocprim17ROCPRIM_400000_NS6detail17trampoline_kernelINS0_14default_configENS1_35adjacent_difference_config_selectorILb1EtEEZNS1_24adjacent_difference_implIS3_Lb1ELb0EPtN6thrust23THRUST_200600_302600_NS16discard_iteratorINS9_11use_defaultEEENS9_5minusItEEEE10hipError_tPvRmT2_T3_mT4_P12ihipStream_tbEUlT_E_NS1_11comp_targetILNS1_3genE5ELNS1_11target_archE942ELNS1_3gpuE9ELNS1_3repE0EEENS1_30default_config_static_selectorELNS0_4arch9wavefront6targetE1EEEvT1_, .Lfunc_end728-_ZN7rocprim17ROCPRIM_400000_NS6detail17trampoline_kernelINS0_14default_configENS1_35adjacent_difference_config_selectorILb1EtEEZNS1_24adjacent_difference_implIS3_Lb1ELb0EPtN6thrust23THRUST_200600_302600_NS16discard_iteratorINS9_11use_defaultEEENS9_5minusItEEEE10hipError_tPvRmT2_T3_mT4_P12ihipStream_tbEUlT_E_NS1_11comp_targetILNS1_3genE5ELNS1_11target_archE942ELNS1_3gpuE9ELNS1_3repE0EEENS1_30default_config_static_selectorELNS0_4arch9wavefront6targetE1EEEvT1_
                                        ; -- End function
	.section	.AMDGPU.csdata,"",@progbits
; Kernel info:
; codeLenInByte = 5080
; NumSgprs: 27
; NumVgprs: 56
; NumAgprs: 0
; TotalNumVgprs: 56
; ScratchSize: 0
; MemoryBound: 0
; FloatMode: 240
; IeeeMode: 1
; LDSByteSize: 3968 bytes/workgroup (compile time only)
; SGPRBlocks: 3
; VGPRBlocks: 6
; NumSGPRsForWavesPerEU: 27
; NumVGPRsForWavesPerEU: 56
; AccumOffset: 56
; Occupancy: 4
; WaveLimiterHint : 1
; COMPUTE_PGM_RSRC2:SCRATCH_EN: 0
; COMPUTE_PGM_RSRC2:USER_SGPR: 2
; COMPUTE_PGM_RSRC2:TRAP_HANDLER: 0
; COMPUTE_PGM_RSRC2:TGID_X_EN: 1
; COMPUTE_PGM_RSRC2:TGID_Y_EN: 0
; COMPUTE_PGM_RSRC2:TGID_Z_EN: 0
; COMPUTE_PGM_RSRC2:TIDIG_COMP_CNT: 0
; COMPUTE_PGM_RSRC3_GFX90A:ACCUM_OFFSET: 13
; COMPUTE_PGM_RSRC3_GFX90A:TG_SPLIT: 0
	.section	.text._ZN7rocprim17ROCPRIM_400000_NS6detail17trampoline_kernelINS0_14default_configENS1_35adjacent_difference_config_selectorILb1EtEEZNS1_24adjacent_difference_implIS3_Lb1ELb0EPtN6thrust23THRUST_200600_302600_NS16discard_iteratorINS9_11use_defaultEEENS9_5minusItEEEE10hipError_tPvRmT2_T3_mT4_P12ihipStream_tbEUlT_E_NS1_11comp_targetILNS1_3genE4ELNS1_11target_archE910ELNS1_3gpuE8ELNS1_3repE0EEENS1_30default_config_static_selectorELNS0_4arch9wavefront6targetE1EEEvT1_,"axG",@progbits,_ZN7rocprim17ROCPRIM_400000_NS6detail17trampoline_kernelINS0_14default_configENS1_35adjacent_difference_config_selectorILb1EtEEZNS1_24adjacent_difference_implIS3_Lb1ELb0EPtN6thrust23THRUST_200600_302600_NS16discard_iteratorINS9_11use_defaultEEENS9_5minusItEEEE10hipError_tPvRmT2_T3_mT4_P12ihipStream_tbEUlT_E_NS1_11comp_targetILNS1_3genE4ELNS1_11target_archE910ELNS1_3gpuE8ELNS1_3repE0EEENS1_30default_config_static_selectorELNS0_4arch9wavefront6targetE1EEEvT1_,comdat
	.protected	_ZN7rocprim17ROCPRIM_400000_NS6detail17trampoline_kernelINS0_14default_configENS1_35adjacent_difference_config_selectorILb1EtEEZNS1_24adjacent_difference_implIS3_Lb1ELb0EPtN6thrust23THRUST_200600_302600_NS16discard_iteratorINS9_11use_defaultEEENS9_5minusItEEEE10hipError_tPvRmT2_T3_mT4_P12ihipStream_tbEUlT_E_NS1_11comp_targetILNS1_3genE4ELNS1_11target_archE910ELNS1_3gpuE8ELNS1_3repE0EEENS1_30default_config_static_selectorELNS0_4arch9wavefront6targetE1EEEvT1_ ; -- Begin function _ZN7rocprim17ROCPRIM_400000_NS6detail17trampoline_kernelINS0_14default_configENS1_35adjacent_difference_config_selectorILb1EtEEZNS1_24adjacent_difference_implIS3_Lb1ELb0EPtN6thrust23THRUST_200600_302600_NS16discard_iteratorINS9_11use_defaultEEENS9_5minusItEEEE10hipError_tPvRmT2_T3_mT4_P12ihipStream_tbEUlT_E_NS1_11comp_targetILNS1_3genE4ELNS1_11target_archE910ELNS1_3gpuE8ELNS1_3repE0EEENS1_30default_config_static_selectorELNS0_4arch9wavefront6targetE1EEEvT1_
	.globl	_ZN7rocprim17ROCPRIM_400000_NS6detail17trampoline_kernelINS0_14default_configENS1_35adjacent_difference_config_selectorILb1EtEEZNS1_24adjacent_difference_implIS3_Lb1ELb0EPtN6thrust23THRUST_200600_302600_NS16discard_iteratorINS9_11use_defaultEEENS9_5minusItEEEE10hipError_tPvRmT2_T3_mT4_P12ihipStream_tbEUlT_E_NS1_11comp_targetILNS1_3genE4ELNS1_11target_archE910ELNS1_3gpuE8ELNS1_3repE0EEENS1_30default_config_static_selectorELNS0_4arch9wavefront6targetE1EEEvT1_
	.p2align	8
	.type	_ZN7rocprim17ROCPRIM_400000_NS6detail17trampoline_kernelINS0_14default_configENS1_35adjacent_difference_config_selectorILb1EtEEZNS1_24adjacent_difference_implIS3_Lb1ELb0EPtN6thrust23THRUST_200600_302600_NS16discard_iteratorINS9_11use_defaultEEENS9_5minusItEEEE10hipError_tPvRmT2_T3_mT4_P12ihipStream_tbEUlT_E_NS1_11comp_targetILNS1_3genE4ELNS1_11target_archE910ELNS1_3gpuE8ELNS1_3repE0EEENS1_30default_config_static_selectorELNS0_4arch9wavefront6targetE1EEEvT1_,@function
_ZN7rocprim17ROCPRIM_400000_NS6detail17trampoline_kernelINS0_14default_configENS1_35adjacent_difference_config_selectorILb1EtEEZNS1_24adjacent_difference_implIS3_Lb1ELb0EPtN6thrust23THRUST_200600_302600_NS16discard_iteratorINS9_11use_defaultEEENS9_5minusItEEEE10hipError_tPvRmT2_T3_mT4_P12ihipStream_tbEUlT_E_NS1_11comp_targetILNS1_3genE4ELNS1_11target_archE910ELNS1_3gpuE8ELNS1_3repE0EEENS1_30default_config_static_selectorELNS0_4arch9wavefront6targetE1EEEvT1_: ; @_ZN7rocprim17ROCPRIM_400000_NS6detail17trampoline_kernelINS0_14default_configENS1_35adjacent_difference_config_selectorILb1EtEEZNS1_24adjacent_difference_implIS3_Lb1ELb0EPtN6thrust23THRUST_200600_302600_NS16discard_iteratorINS9_11use_defaultEEENS9_5minusItEEEE10hipError_tPvRmT2_T3_mT4_P12ihipStream_tbEUlT_E_NS1_11comp_targetILNS1_3genE4ELNS1_11target_archE910ELNS1_3gpuE8ELNS1_3repE0EEENS1_30default_config_static_selectorELNS0_4arch9wavefront6targetE1EEEvT1_
; %bb.0:
	.section	.rodata,"a",@progbits
	.p2align	6, 0x0
	.amdhsa_kernel _ZN7rocprim17ROCPRIM_400000_NS6detail17trampoline_kernelINS0_14default_configENS1_35adjacent_difference_config_selectorILb1EtEEZNS1_24adjacent_difference_implIS3_Lb1ELb0EPtN6thrust23THRUST_200600_302600_NS16discard_iteratorINS9_11use_defaultEEENS9_5minusItEEEE10hipError_tPvRmT2_T3_mT4_P12ihipStream_tbEUlT_E_NS1_11comp_targetILNS1_3genE4ELNS1_11target_archE910ELNS1_3gpuE8ELNS1_3repE0EEENS1_30default_config_static_selectorELNS0_4arch9wavefront6targetE1EEEvT1_
		.amdhsa_group_segment_fixed_size 0
		.amdhsa_private_segment_fixed_size 0
		.amdhsa_kernarg_size 64
		.amdhsa_user_sgpr_count 2
		.amdhsa_user_sgpr_dispatch_ptr 0
		.amdhsa_user_sgpr_queue_ptr 0
		.amdhsa_user_sgpr_kernarg_segment_ptr 1
		.amdhsa_user_sgpr_dispatch_id 0
		.amdhsa_user_sgpr_kernarg_preload_length 0
		.amdhsa_user_sgpr_kernarg_preload_offset 0
		.amdhsa_user_sgpr_private_segment_size 0
		.amdhsa_uses_dynamic_stack 0
		.amdhsa_enable_private_segment 0
		.amdhsa_system_sgpr_workgroup_id_x 1
		.amdhsa_system_sgpr_workgroup_id_y 0
		.amdhsa_system_sgpr_workgroup_id_z 0
		.amdhsa_system_sgpr_workgroup_info 0
		.amdhsa_system_vgpr_workitem_id 0
		.amdhsa_next_free_vgpr 1
		.amdhsa_next_free_sgpr 0
		.amdhsa_accum_offset 4
		.amdhsa_reserve_vcc 0
		.amdhsa_float_round_mode_32 0
		.amdhsa_float_round_mode_16_64 0
		.amdhsa_float_denorm_mode_32 3
		.amdhsa_float_denorm_mode_16_64 3
		.amdhsa_dx10_clamp 1
		.amdhsa_ieee_mode 1
		.amdhsa_fp16_overflow 0
		.amdhsa_tg_split 0
		.amdhsa_exception_fp_ieee_invalid_op 0
		.amdhsa_exception_fp_denorm_src 0
		.amdhsa_exception_fp_ieee_div_zero 0
		.amdhsa_exception_fp_ieee_overflow 0
		.amdhsa_exception_fp_ieee_underflow 0
		.amdhsa_exception_fp_ieee_inexact 0
		.amdhsa_exception_int_div_zero 0
	.end_amdhsa_kernel
	.section	.text._ZN7rocprim17ROCPRIM_400000_NS6detail17trampoline_kernelINS0_14default_configENS1_35adjacent_difference_config_selectorILb1EtEEZNS1_24adjacent_difference_implIS3_Lb1ELb0EPtN6thrust23THRUST_200600_302600_NS16discard_iteratorINS9_11use_defaultEEENS9_5minusItEEEE10hipError_tPvRmT2_T3_mT4_P12ihipStream_tbEUlT_E_NS1_11comp_targetILNS1_3genE4ELNS1_11target_archE910ELNS1_3gpuE8ELNS1_3repE0EEENS1_30default_config_static_selectorELNS0_4arch9wavefront6targetE1EEEvT1_,"axG",@progbits,_ZN7rocprim17ROCPRIM_400000_NS6detail17trampoline_kernelINS0_14default_configENS1_35adjacent_difference_config_selectorILb1EtEEZNS1_24adjacent_difference_implIS3_Lb1ELb0EPtN6thrust23THRUST_200600_302600_NS16discard_iteratorINS9_11use_defaultEEENS9_5minusItEEEE10hipError_tPvRmT2_T3_mT4_P12ihipStream_tbEUlT_E_NS1_11comp_targetILNS1_3genE4ELNS1_11target_archE910ELNS1_3gpuE8ELNS1_3repE0EEENS1_30default_config_static_selectorELNS0_4arch9wavefront6targetE1EEEvT1_,comdat
.Lfunc_end729:
	.size	_ZN7rocprim17ROCPRIM_400000_NS6detail17trampoline_kernelINS0_14default_configENS1_35adjacent_difference_config_selectorILb1EtEEZNS1_24adjacent_difference_implIS3_Lb1ELb0EPtN6thrust23THRUST_200600_302600_NS16discard_iteratorINS9_11use_defaultEEENS9_5minusItEEEE10hipError_tPvRmT2_T3_mT4_P12ihipStream_tbEUlT_E_NS1_11comp_targetILNS1_3genE4ELNS1_11target_archE910ELNS1_3gpuE8ELNS1_3repE0EEENS1_30default_config_static_selectorELNS0_4arch9wavefront6targetE1EEEvT1_, .Lfunc_end729-_ZN7rocprim17ROCPRIM_400000_NS6detail17trampoline_kernelINS0_14default_configENS1_35adjacent_difference_config_selectorILb1EtEEZNS1_24adjacent_difference_implIS3_Lb1ELb0EPtN6thrust23THRUST_200600_302600_NS16discard_iteratorINS9_11use_defaultEEENS9_5minusItEEEE10hipError_tPvRmT2_T3_mT4_P12ihipStream_tbEUlT_E_NS1_11comp_targetILNS1_3genE4ELNS1_11target_archE910ELNS1_3gpuE8ELNS1_3repE0EEENS1_30default_config_static_selectorELNS0_4arch9wavefront6targetE1EEEvT1_
                                        ; -- End function
	.section	.AMDGPU.csdata,"",@progbits
; Kernel info:
; codeLenInByte = 0
; NumSgprs: 6
; NumVgprs: 0
; NumAgprs: 0
; TotalNumVgprs: 0
; ScratchSize: 0
; MemoryBound: 0
; FloatMode: 240
; IeeeMode: 1
; LDSByteSize: 0 bytes/workgroup (compile time only)
; SGPRBlocks: 0
; VGPRBlocks: 0
; NumSGPRsForWavesPerEU: 6
; NumVGPRsForWavesPerEU: 1
; AccumOffset: 4
; Occupancy: 8
; WaveLimiterHint : 0
; COMPUTE_PGM_RSRC2:SCRATCH_EN: 0
; COMPUTE_PGM_RSRC2:USER_SGPR: 2
; COMPUTE_PGM_RSRC2:TRAP_HANDLER: 0
; COMPUTE_PGM_RSRC2:TGID_X_EN: 1
; COMPUTE_PGM_RSRC2:TGID_Y_EN: 0
; COMPUTE_PGM_RSRC2:TGID_Z_EN: 0
; COMPUTE_PGM_RSRC2:TIDIG_COMP_CNT: 0
; COMPUTE_PGM_RSRC3_GFX90A:ACCUM_OFFSET: 0
; COMPUTE_PGM_RSRC3_GFX90A:TG_SPLIT: 0
	.section	.text._ZN7rocprim17ROCPRIM_400000_NS6detail17trampoline_kernelINS0_14default_configENS1_35adjacent_difference_config_selectorILb1EtEEZNS1_24adjacent_difference_implIS3_Lb1ELb0EPtN6thrust23THRUST_200600_302600_NS16discard_iteratorINS9_11use_defaultEEENS9_5minusItEEEE10hipError_tPvRmT2_T3_mT4_P12ihipStream_tbEUlT_E_NS1_11comp_targetILNS1_3genE3ELNS1_11target_archE908ELNS1_3gpuE7ELNS1_3repE0EEENS1_30default_config_static_selectorELNS0_4arch9wavefront6targetE1EEEvT1_,"axG",@progbits,_ZN7rocprim17ROCPRIM_400000_NS6detail17trampoline_kernelINS0_14default_configENS1_35adjacent_difference_config_selectorILb1EtEEZNS1_24adjacent_difference_implIS3_Lb1ELb0EPtN6thrust23THRUST_200600_302600_NS16discard_iteratorINS9_11use_defaultEEENS9_5minusItEEEE10hipError_tPvRmT2_T3_mT4_P12ihipStream_tbEUlT_E_NS1_11comp_targetILNS1_3genE3ELNS1_11target_archE908ELNS1_3gpuE7ELNS1_3repE0EEENS1_30default_config_static_selectorELNS0_4arch9wavefront6targetE1EEEvT1_,comdat
	.protected	_ZN7rocprim17ROCPRIM_400000_NS6detail17trampoline_kernelINS0_14default_configENS1_35adjacent_difference_config_selectorILb1EtEEZNS1_24adjacent_difference_implIS3_Lb1ELb0EPtN6thrust23THRUST_200600_302600_NS16discard_iteratorINS9_11use_defaultEEENS9_5minusItEEEE10hipError_tPvRmT2_T3_mT4_P12ihipStream_tbEUlT_E_NS1_11comp_targetILNS1_3genE3ELNS1_11target_archE908ELNS1_3gpuE7ELNS1_3repE0EEENS1_30default_config_static_selectorELNS0_4arch9wavefront6targetE1EEEvT1_ ; -- Begin function _ZN7rocprim17ROCPRIM_400000_NS6detail17trampoline_kernelINS0_14default_configENS1_35adjacent_difference_config_selectorILb1EtEEZNS1_24adjacent_difference_implIS3_Lb1ELb0EPtN6thrust23THRUST_200600_302600_NS16discard_iteratorINS9_11use_defaultEEENS9_5minusItEEEE10hipError_tPvRmT2_T3_mT4_P12ihipStream_tbEUlT_E_NS1_11comp_targetILNS1_3genE3ELNS1_11target_archE908ELNS1_3gpuE7ELNS1_3repE0EEENS1_30default_config_static_selectorELNS0_4arch9wavefront6targetE1EEEvT1_
	.globl	_ZN7rocprim17ROCPRIM_400000_NS6detail17trampoline_kernelINS0_14default_configENS1_35adjacent_difference_config_selectorILb1EtEEZNS1_24adjacent_difference_implIS3_Lb1ELb0EPtN6thrust23THRUST_200600_302600_NS16discard_iteratorINS9_11use_defaultEEENS9_5minusItEEEE10hipError_tPvRmT2_T3_mT4_P12ihipStream_tbEUlT_E_NS1_11comp_targetILNS1_3genE3ELNS1_11target_archE908ELNS1_3gpuE7ELNS1_3repE0EEENS1_30default_config_static_selectorELNS0_4arch9wavefront6targetE1EEEvT1_
	.p2align	8
	.type	_ZN7rocprim17ROCPRIM_400000_NS6detail17trampoline_kernelINS0_14default_configENS1_35adjacent_difference_config_selectorILb1EtEEZNS1_24adjacent_difference_implIS3_Lb1ELb0EPtN6thrust23THRUST_200600_302600_NS16discard_iteratorINS9_11use_defaultEEENS9_5minusItEEEE10hipError_tPvRmT2_T3_mT4_P12ihipStream_tbEUlT_E_NS1_11comp_targetILNS1_3genE3ELNS1_11target_archE908ELNS1_3gpuE7ELNS1_3repE0EEENS1_30default_config_static_selectorELNS0_4arch9wavefront6targetE1EEEvT1_,@function
_ZN7rocprim17ROCPRIM_400000_NS6detail17trampoline_kernelINS0_14default_configENS1_35adjacent_difference_config_selectorILb1EtEEZNS1_24adjacent_difference_implIS3_Lb1ELb0EPtN6thrust23THRUST_200600_302600_NS16discard_iteratorINS9_11use_defaultEEENS9_5minusItEEEE10hipError_tPvRmT2_T3_mT4_P12ihipStream_tbEUlT_E_NS1_11comp_targetILNS1_3genE3ELNS1_11target_archE908ELNS1_3gpuE7ELNS1_3repE0EEENS1_30default_config_static_selectorELNS0_4arch9wavefront6targetE1EEEvT1_: ; @_ZN7rocprim17ROCPRIM_400000_NS6detail17trampoline_kernelINS0_14default_configENS1_35adjacent_difference_config_selectorILb1EtEEZNS1_24adjacent_difference_implIS3_Lb1ELb0EPtN6thrust23THRUST_200600_302600_NS16discard_iteratorINS9_11use_defaultEEENS9_5minusItEEEE10hipError_tPvRmT2_T3_mT4_P12ihipStream_tbEUlT_E_NS1_11comp_targetILNS1_3genE3ELNS1_11target_archE908ELNS1_3gpuE7ELNS1_3repE0EEENS1_30default_config_static_selectorELNS0_4arch9wavefront6targetE1EEEvT1_
; %bb.0:
	.section	.rodata,"a",@progbits
	.p2align	6, 0x0
	.amdhsa_kernel _ZN7rocprim17ROCPRIM_400000_NS6detail17trampoline_kernelINS0_14default_configENS1_35adjacent_difference_config_selectorILb1EtEEZNS1_24adjacent_difference_implIS3_Lb1ELb0EPtN6thrust23THRUST_200600_302600_NS16discard_iteratorINS9_11use_defaultEEENS9_5minusItEEEE10hipError_tPvRmT2_T3_mT4_P12ihipStream_tbEUlT_E_NS1_11comp_targetILNS1_3genE3ELNS1_11target_archE908ELNS1_3gpuE7ELNS1_3repE0EEENS1_30default_config_static_selectorELNS0_4arch9wavefront6targetE1EEEvT1_
		.amdhsa_group_segment_fixed_size 0
		.amdhsa_private_segment_fixed_size 0
		.amdhsa_kernarg_size 64
		.amdhsa_user_sgpr_count 2
		.amdhsa_user_sgpr_dispatch_ptr 0
		.amdhsa_user_sgpr_queue_ptr 0
		.amdhsa_user_sgpr_kernarg_segment_ptr 1
		.amdhsa_user_sgpr_dispatch_id 0
		.amdhsa_user_sgpr_kernarg_preload_length 0
		.amdhsa_user_sgpr_kernarg_preload_offset 0
		.amdhsa_user_sgpr_private_segment_size 0
		.amdhsa_uses_dynamic_stack 0
		.amdhsa_enable_private_segment 0
		.amdhsa_system_sgpr_workgroup_id_x 1
		.amdhsa_system_sgpr_workgroup_id_y 0
		.amdhsa_system_sgpr_workgroup_id_z 0
		.amdhsa_system_sgpr_workgroup_info 0
		.amdhsa_system_vgpr_workitem_id 0
		.amdhsa_next_free_vgpr 1
		.amdhsa_next_free_sgpr 0
		.amdhsa_accum_offset 4
		.amdhsa_reserve_vcc 0
		.amdhsa_float_round_mode_32 0
		.amdhsa_float_round_mode_16_64 0
		.amdhsa_float_denorm_mode_32 3
		.amdhsa_float_denorm_mode_16_64 3
		.amdhsa_dx10_clamp 1
		.amdhsa_ieee_mode 1
		.amdhsa_fp16_overflow 0
		.amdhsa_tg_split 0
		.amdhsa_exception_fp_ieee_invalid_op 0
		.amdhsa_exception_fp_denorm_src 0
		.amdhsa_exception_fp_ieee_div_zero 0
		.amdhsa_exception_fp_ieee_overflow 0
		.amdhsa_exception_fp_ieee_underflow 0
		.amdhsa_exception_fp_ieee_inexact 0
		.amdhsa_exception_int_div_zero 0
	.end_amdhsa_kernel
	.section	.text._ZN7rocprim17ROCPRIM_400000_NS6detail17trampoline_kernelINS0_14default_configENS1_35adjacent_difference_config_selectorILb1EtEEZNS1_24adjacent_difference_implIS3_Lb1ELb0EPtN6thrust23THRUST_200600_302600_NS16discard_iteratorINS9_11use_defaultEEENS9_5minusItEEEE10hipError_tPvRmT2_T3_mT4_P12ihipStream_tbEUlT_E_NS1_11comp_targetILNS1_3genE3ELNS1_11target_archE908ELNS1_3gpuE7ELNS1_3repE0EEENS1_30default_config_static_selectorELNS0_4arch9wavefront6targetE1EEEvT1_,"axG",@progbits,_ZN7rocprim17ROCPRIM_400000_NS6detail17trampoline_kernelINS0_14default_configENS1_35adjacent_difference_config_selectorILb1EtEEZNS1_24adjacent_difference_implIS3_Lb1ELb0EPtN6thrust23THRUST_200600_302600_NS16discard_iteratorINS9_11use_defaultEEENS9_5minusItEEEE10hipError_tPvRmT2_T3_mT4_P12ihipStream_tbEUlT_E_NS1_11comp_targetILNS1_3genE3ELNS1_11target_archE908ELNS1_3gpuE7ELNS1_3repE0EEENS1_30default_config_static_selectorELNS0_4arch9wavefront6targetE1EEEvT1_,comdat
.Lfunc_end730:
	.size	_ZN7rocprim17ROCPRIM_400000_NS6detail17trampoline_kernelINS0_14default_configENS1_35adjacent_difference_config_selectorILb1EtEEZNS1_24adjacent_difference_implIS3_Lb1ELb0EPtN6thrust23THRUST_200600_302600_NS16discard_iteratorINS9_11use_defaultEEENS9_5minusItEEEE10hipError_tPvRmT2_T3_mT4_P12ihipStream_tbEUlT_E_NS1_11comp_targetILNS1_3genE3ELNS1_11target_archE908ELNS1_3gpuE7ELNS1_3repE0EEENS1_30default_config_static_selectorELNS0_4arch9wavefront6targetE1EEEvT1_, .Lfunc_end730-_ZN7rocprim17ROCPRIM_400000_NS6detail17trampoline_kernelINS0_14default_configENS1_35adjacent_difference_config_selectorILb1EtEEZNS1_24adjacent_difference_implIS3_Lb1ELb0EPtN6thrust23THRUST_200600_302600_NS16discard_iteratorINS9_11use_defaultEEENS9_5minusItEEEE10hipError_tPvRmT2_T3_mT4_P12ihipStream_tbEUlT_E_NS1_11comp_targetILNS1_3genE3ELNS1_11target_archE908ELNS1_3gpuE7ELNS1_3repE0EEENS1_30default_config_static_selectorELNS0_4arch9wavefront6targetE1EEEvT1_
                                        ; -- End function
	.section	.AMDGPU.csdata,"",@progbits
; Kernel info:
; codeLenInByte = 0
; NumSgprs: 6
; NumVgprs: 0
; NumAgprs: 0
; TotalNumVgprs: 0
; ScratchSize: 0
; MemoryBound: 0
; FloatMode: 240
; IeeeMode: 1
; LDSByteSize: 0 bytes/workgroup (compile time only)
; SGPRBlocks: 0
; VGPRBlocks: 0
; NumSGPRsForWavesPerEU: 6
; NumVGPRsForWavesPerEU: 1
; AccumOffset: 4
; Occupancy: 8
; WaveLimiterHint : 0
; COMPUTE_PGM_RSRC2:SCRATCH_EN: 0
; COMPUTE_PGM_RSRC2:USER_SGPR: 2
; COMPUTE_PGM_RSRC2:TRAP_HANDLER: 0
; COMPUTE_PGM_RSRC2:TGID_X_EN: 1
; COMPUTE_PGM_RSRC2:TGID_Y_EN: 0
; COMPUTE_PGM_RSRC2:TGID_Z_EN: 0
; COMPUTE_PGM_RSRC2:TIDIG_COMP_CNT: 0
; COMPUTE_PGM_RSRC3_GFX90A:ACCUM_OFFSET: 0
; COMPUTE_PGM_RSRC3_GFX90A:TG_SPLIT: 0
	.section	.text._ZN7rocprim17ROCPRIM_400000_NS6detail17trampoline_kernelINS0_14default_configENS1_35adjacent_difference_config_selectorILb1EtEEZNS1_24adjacent_difference_implIS3_Lb1ELb0EPtN6thrust23THRUST_200600_302600_NS16discard_iteratorINS9_11use_defaultEEENS9_5minusItEEEE10hipError_tPvRmT2_T3_mT4_P12ihipStream_tbEUlT_E_NS1_11comp_targetILNS1_3genE2ELNS1_11target_archE906ELNS1_3gpuE6ELNS1_3repE0EEENS1_30default_config_static_selectorELNS0_4arch9wavefront6targetE1EEEvT1_,"axG",@progbits,_ZN7rocprim17ROCPRIM_400000_NS6detail17trampoline_kernelINS0_14default_configENS1_35adjacent_difference_config_selectorILb1EtEEZNS1_24adjacent_difference_implIS3_Lb1ELb0EPtN6thrust23THRUST_200600_302600_NS16discard_iteratorINS9_11use_defaultEEENS9_5minusItEEEE10hipError_tPvRmT2_T3_mT4_P12ihipStream_tbEUlT_E_NS1_11comp_targetILNS1_3genE2ELNS1_11target_archE906ELNS1_3gpuE6ELNS1_3repE0EEENS1_30default_config_static_selectorELNS0_4arch9wavefront6targetE1EEEvT1_,comdat
	.protected	_ZN7rocprim17ROCPRIM_400000_NS6detail17trampoline_kernelINS0_14default_configENS1_35adjacent_difference_config_selectorILb1EtEEZNS1_24adjacent_difference_implIS3_Lb1ELb0EPtN6thrust23THRUST_200600_302600_NS16discard_iteratorINS9_11use_defaultEEENS9_5minusItEEEE10hipError_tPvRmT2_T3_mT4_P12ihipStream_tbEUlT_E_NS1_11comp_targetILNS1_3genE2ELNS1_11target_archE906ELNS1_3gpuE6ELNS1_3repE0EEENS1_30default_config_static_selectorELNS0_4arch9wavefront6targetE1EEEvT1_ ; -- Begin function _ZN7rocprim17ROCPRIM_400000_NS6detail17trampoline_kernelINS0_14default_configENS1_35adjacent_difference_config_selectorILb1EtEEZNS1_24adjacent_difference_implIS3_Lb1ELb0EPtN6thrust23THRUST_200600_302600_NS16discard_iteratorINS9_11use_defaultEEENS9_5minusItEEEE10hipError_tPvRmT2_T3_mT4_P12ihipStream_tbEUlT_E_NS1_11comp_targetILNS1_3genE2ELNS1_11target_archE906ELNS1_3gpuE6ELNS1_3repE0EEENS1_30default_config_static_selectorELNS0_4arch9wavefront6targetE1EEEvT1_
	.globl	_ZN7rocprim17ROCPRIM_400000_NS6detail17trampoline_kernelINS0_14default_configENS1_35adjacent_difference_config_selectorILb1EtEEZNS1_24adjacent_difference_implIS3_Lb1ELb0EPtN6thrust23THRUST_200600_302600_NS16discard_iteratorINS9_11use_defaultEEENS9_5minusItEEEE10hipError_tPvRmT2_T3_mT4_P12ihipStream_tbEUlT_E_NS1_11comp_targetILNS1_3genE2ELNS1_11target_archE906ELNS1_3gpuE6ELNS1_3repE0EEENS1_30default_config_static_selectorELNS0_4arch9wavefront6targetE1EEEvT1_
	.p2align	8
	.type	_ZN7rocprim17ROCPRIM_400000_NS6detail17trampoline_kernelINS0_14default_configENS1_35adjacent_difference_config_selectorILb1EtEEZNS1_24adjacent_difference_implIS3_Lb1ELb0EPtN6thrust23THRUST_200600_302600_NS16discard_iteratorINS9_11use_defaultEEENS9_5minusItEEEE10hipError_tPvRmT2_T3_mT4_P12ihipStream_tbEUlT_E_NS1_11comp_targetILNS1_3genE2ELNS1_11target_archE906ELNS1_3gpuE6ELNS1_3repE0EEENS1_30default_config_static_selectorELNS0_4arch9wavefront6targetE1EEEvT1_,@function
_ZN7rocprim17ROCPRIM_400000_NS6detail17trampoline_kernelINS0_14default_configENS1_35adjacent_difference_config_selectorILb1EtEEZNS1_24adjacent_difference_implIS3_Lb1ELb0EPtN6thrust23THRUST_200600_302600_NS16discard_iteratorINS9_11use_defaultEEENS9_5minusItEEEE10hipError_tPvRmT2_T3_mT4_P12ihipStream_tbEUlT_E_NS1_11comp_targetILNS1_3genE2ELNS1_11target_archE906ELNS1_3gpuE6ELNS1_3repE0EEENS1_30default_config_static_selectorELNS0_4arch9wavefront6targetE1EEEvT1_: ; @_ZN7rocprim17ROCPRIM_400000_NS6detail17trampoline_kernelINS0_14default_configENS1_35adjacent_difference_config_selectorILb1EtEEZNS1_24adjacent_difference_implIS3_Lb1ELb0EPtN6thrust23THRUST_200600_302600_NS16discard_iteratorINS9_11use_defaultEEENS9_5minusItEEEE10hipError_tPvRmT2_T3_mT4_P12ihipStream_tbEUlT_E_NS1_11comp_targetILNS1_3genE2ELNS1_11target_archE906ELNS1_3gpuE6ELNS1_3repE0EEENS1_30default_config_static_selectorELNS0_4arch9wavefront6targetE1EEEvT1_
; %bb.0:
	.section	.rodata,"a",@progbits
	.p2align	6, 0x0
	.amdhsa_kernel _ZN7rocprim17ROCPRIM_400000_NS6detail17trampoline_kernelINS0_14default_configENS1_35adjacent_difference_config_selectorILb1EtEEZNS1_24adjacent_difference_implIS3_Lb1ELb0EPtN6thrust23THRUST_200600_302600_NS16discard_iteratorINS9_11use_defaultEEENS9_5minusItEEEE10hipError_tPvRmT2_T3_mT4_P12ihipStream_tbEUlT_E_NS1_11comp_targetILNS1_3genE2ELNS1_11target_archE906ELNS1_3gpuE6ELNS1_3repE0EEENS1_30default_config_static_selectorELNS0_4arch9wavefront6targetE1EEEvT1_
		.amdhsa_group_segment_fixed_size 0
		.amdhsa_private_segment_fixed_size 0
		.amdhsa_kernarg_size 64
		.amdhsa_user_sgpr_count 2
		.amdhsa_user_sgpr_dispatch_ptr 0
		.amdhsa_user_sgpr_queue_ptr 0
		.amdhsa_user_sgpr_kernarg_segment_ptr 1
		.amdhsa_user_sgpr_dispatch_id 0
		.amdhsa_user_sgpr_kernarg_preload_length 0
		.amdhsa_user_sgpr_kernarg_preload_offset 0
		.amdhsa_user_sgpr_private_segment_size 0
		.amdhsa_uses_dynamic_stack 0
		.amdhsa_enable_private_segment 0
		.amdhsa_system_sgpr_workgroup_id_x 1
		.amdhsa_system_sgpr_workgroup_id_y 0
		.amdhsa_system_sgpr_workgroup_id_z 0
		.amdhsa_system_sgpr_workgroup_info 0
		.amdhsa_system_vgpr_workitem_id 0
		.amdhsa_next_free_vgpr 1
		.amdhsa_next_free_sgpr 0
		.amdhsa_accum_offset 4
		.amdhsa_reserve_vcc 0
		.amdhsa_float_round_mode_32 0
		.amdhsa_float_round_mode_16_64 0
		.amdhsa_float_denorm_mode_32 3
		.amdhsa_float_denorm_mode_16_64 3
		.amdhsa_dx10_clamp 1
		.amdhsa_ieee_mode 1
		.amdhsa_fp16_overflow 0
		.amdhsa_tg_split 0
		.amdhsa_exception_fp_ieee_invalid_op 0
		.amdhsa_exception_fp_denorm_src 0
		.amdhsa_exception_fp_ieee_div_zero 0
		.amdhsa_exception_fp_ieee_overflow 0
		.amdhsa_exception_fp_ieee_underflow 0
		.amdhsa_exception_fp_ieee_inexact 0
		.amdhsa_exception_int_div_zero 0
	.end_amdhsa_kernel
	.section	.text._ZN7rocprim17ROCPRIM_400000_NS6detail17trampoline_kernelINS0_14default_configENS1_35adjacent_difference_config_selectorILb1EtEEZNS1_24adjacent_difference_implIS3_Lb1ELb0EPtN6thrust23THRUST_200600_302600_NS16discard_iteratorINS9_11use_defaultEEENS9_5minusItEEEE10hipError_tPvRmT2_T3_mT4_P12ihipStream_tbEUlT_E_NS1_11comp_targetILNS1_3genE2ELNS1_11target_archE906ELNS1_3gpuE6ELNS1_3repE0EEENS1_30default_config_static_selectorELNS0_4arch9wavefront6targetE1EEEvT1_,"axG",@progbits,_ZN7rocprim17ROCPRIM_400000_NS6detail17trampoline_kernelINS0_14default_configENS1_35adjacent_difference_config_selectorILb1EtEEZNS1_24adjacent_difference_implIS3_Lb1ELb0EPtN6thrust23THRUST_200600_302600_NS16discard_iteratorINS9_11use_defaultEEENS9_5minusItEEEE10hipError_tPvRmT2_T3_mT4_P12ihipStream_tbEUlT_E_NS1_11comp_targetILNS1_3genE2ELNS1_11target_archE906ELNS1_3gpuE6ELNS1_3repE0EEENS1_30default_config_static_selectorELNS0_4arch9wavefront6targetE1EEEvT1_,comdat
.Lfunc_end731:
	.size	_ZN7rocprim17ROCPRIM_400000_NS6detail17trampoline_kernelINS0_14default_configENS1_35adjacent_difference_config_selectorILb1EtEEZNS1_24adjacent_difference_implIS3_Lb1ELb0EPtN6thrust23THRUST_200600_302600_NS16discard_iteratorINS9_11use_defaultEEENS9_5minusItEEEE10hipError_tPvRmT2_T3_mT4_P12ihipStream_tbEUlT_E_NS1_11comp_targetILNS1_3genE2ELNS1_11target_archE906ELNS1_3gpuE6ELNS1_3repE0EEENS1_30default_config_static_selectorELNS0_4arch9wavefront6targetE1EEEvT1_, .Lfunc_end731-_ZN7rocprim17ROCPRIM_400000_NS6detail17trampoline_kernelINS0_14default_configENS1_35adjacent_difference_config_selectorILb1EtEEZNS1_24adjacent_difference_implIS3_Lb1ELb0EPtN6thrust23THRUST_200600_302600_NS16discard_iteratorINS9_11use_defaultEEENS9_5minusItEEEE10hipError_tPvRmT2_T3_mT4_P12ihipStream_tbEUlT_E_NS1_11comp_targetILNS1_3genE2ELNS1_11target_archE906ELNS1_3gpuE6ELNS1_3repE0EEENS1_30default_config_static_selectorELNS0_4arch9wavefront6targetE1EEEvT1_
                                        ; -- End function
	.section	.AMDGPU.csdata,"",@progbits
; Kernel info:
; codeLenInByte = 0
; NumSgprs: 6
; NumVgprs: 0
; NumAgprs: 0
; TotalNumVgprs: 0
; ScratchSize: 0
; MemoryBound: 0
; FloatMode: 240
; IeeeMode: 1
; LDSByteSize: 0 bytes/workgroup (compile time only)
; SGPRBlocks: 0
; VGPRBlocks: 0
; NumSGPRsForWavesPerEU: 6
; NumVGPRsForWavesPerEU: 1
; AccumOffset: 4
; Occupancy: 8
; WaveLimiterHint : 0
; COMPUTE_PGM_RSRC2:SCRATCH_EN: 0
; COMPUTE_PGM_RSRC2:USER_SGPR: 2
; COMPUTE_PGM_RSRC2:TRAP_HANDLER: 0
; COMPUTE_PGM_RSRC2:TGID_X_EN: 1
; COMPUTE_PGM_RSRC2:TGID_Y_EN: 0
; COMPUTE_PGM_RSRC2:TGID_Z_EN: 0
; COMPUTE_PGM_RSRC2:TIDIG_COMP_CNT: 0
; COMPUTE_PGM_RSRC3_GFX90A:ACCUM_OFFSET: 0
; COMPUTE_PGM_RSRC3_GFX90A:TG_SPLIT: 0
	.section	.text._ZN7rocprim17ROCPRIM_400000_NS6detail17trampoline_kernelINS0_14default_configENS1_35adjacent_difference_config_selectorILb1EtEEZNS1_24adjacent_difference_implIS3_Lb1ELb0EPtN6thrust23THRUST_200600_302600_NS16discard_iteratorINS9_11use_defaultEEENS9_5minusItEEEE10hipError_tPvRmT2_T3_mT4_P12ihipStream_tbEUlT_E_NS1_11comp_targetILNS1_3genE9ELNS1_11target_archE1100ELNS1_3gpuE3ELNS1_3repE0EEENS1_30default_config_static_selectorELNS0_4arch9wavefront6targetE1EEEvT1_,"axG",@progbits,_ZN7rocprim17ROCPRIM_400000_NS6detail17trampoline_kernelINS0_14default_configENS1_35adjacent_difference_config_selectorILb1EtEEZNS1_24adjacent_difference_implIS3_Lb1ELb0EPtN6thrust23THRUST_200600_302600_NS16discard_iteratorINS9_11use_defaultEEENS9_5minusItEEEE10hipError_tPvRmT2_T3_mT4_P12ihipStream_tbEUlT_E_NS1_11comp_targetILNS1_3genE9ELNS1_11target_archE1100ELNS1_3gpuE3ELNS1_3repE0EEENS1_30default_config_static_selectorELNS0_4arch9wavefront6targetE1EEEvT1_,comdat
	.protected	_ZN7rocprim17ROCPRIM_400000_NS6detail17trampoline_kernelINS0_14default_configENS1_35adjacent_difference_config_selectorILb1EtEEZNS1_24adjacent_difference_implIS3_Lb1ELb0EPtN6thrust23THRUST_200600_302600_NS16discard_iteratorINS9_11use_defaultEEENS9_5minusItEEEE10hipError_tPvRmT2_T3_mT4_P12ihipStream_tbEUlT_E_NS1_11comp_targetILNS1_3genE9ELNS1_11target_archE1100ELNS1_3gpuE3ELNS1_3repE0EEENS1_30default_config_static_selectorELNS0_4arch9wavefront6targetE1EEEvT1_ ; -- Begin function _ZN7rocprim17ROCPRIM_400000_NS6detail17trampoline_kernelINS0_14default_configENS1_35adjacent_difference_config_selectorILb1EtEEZNS1_24adjacent_difference_implIS3_Lb1ELb0EPtN6thrust23THRUST_200600_302600_NS16discard_iteratorINS9_11use_defaultEEENS9_5minusItEEEE10hipError_tPvRmT2_T3_mT4_P12ihipStream_tbEUlT_E_NS1_11comp_targetILNS1_3genE9ELNS1_11target_archE1100ELNS1_3gpuE3ELNS1_3repE0EEENS1_30default_config_static_selectorELNS0_4arch9wavefront6targetE1EEEvT1_
	.globl	_ZN7rocprim17ROCPRIM_400000_NS6detail17trampoline_kernelINS0_14default_configENS1_35adjacent_difference_config_selectorILb1EtEEZNS1_24adjacent_difference_implIS3_Lb1ELb0EPtN6thrust23THRUST_200600_302600_NS16discard_iteratorINS9_11use_defaultEEENS9_5minusItEEEE10hipError_tPvRmT2_T3_mT4_P12ihipStream_tbEUlT_E_NS1_11comp_targetILNS1_3genE9ELNS1_11target_archE1100ELNS1_3gpuE3ELNS1_3repE0EEENS1_30default_config_static_selectorELNS0_4arch9wavefront6targetE1EEEvT1_
	.p2align	8
	.type	_ZN7rocprim17ROCPRIM_400000_NS6detail17trampoline_kernelINS0_14default_configENS1_35adjacent_difference_config_selectorILb1EtEEZNS1_24adjacent_difference_implIS3_Lb1ELb0EPtN6thrust23THRUST_200600_302600_NS16discard_iteratorINS9_11use_defaultEEENS9_5minusItEEEE10hipError_tPvRmT2_T3_mT4_P12ihipStream_tbEUlT_E_NS1_11comp_targetILNS1_3genE9ELNS1_11target_archE1100ELNS1_3gpuE3ELNS1_3repE0EEENS1_30default_config_static_selectorELNS0_4arch9wavefront6targetE1EEEvT1_,@function
_ZN7rocprim17ROCPRIM_400000_NS6detail17trampoline_kernelINS0_14default_configENS1_35adjacent_difference_config_selectorILb1EtEEZNS1_24adjacent_difference_implIS3_Lb1ELb0EPtN6thrust23THRUST_200600_302600_NS16discard_iteratorINS9_11use_defaultEEENS9_5minusItEEEE10hipError_tPvRmT2_T3_mT4_P12ihipStream_tbEUlT_E_NS1_11comp_targetILNS1_3genE9ELNS1_11target_archE1100ELNS1_3gpuE3ELNS1_3repE0EEENS1_30default_config_static_selectorELNS0_4arch9wavefront6targetE1EEEvT1_: ; @_ZN7rocprim17ROCPRIM_400000_NS6detail17trampoline_kernelINS0_14default_configENS1_35adjacent_difference_config_selectorILb1EtEEZNS1_24adjacent_difference_implIS3_Lb1ELb0EPtN6thrust23THRUST_200600_302600_NS16discard_iteratorINS9_11use_defaultEEENS9_5minusItEEEE10hipError_tPvRmT2_T3_mT4_P12ihipStream_tbEUlT_E_NS1_11comp_targetILNS1_3genE9ELNS1_11target_archE1100ELNS1_3gpuE3ELNS1_3repE0EEENS1_30default_config_static_selectorELNS0_4arch9wavefront6targetE1EEEvT1_
; %bb.0:
	.section	.rodata,"a",@progbits
	.p2align	6, 0x0
	.amdhsa_kernel _ZN7rocprim17ROCPRIM_400000_NS6detail17trampoline_kernelINS0_14default_configENS1_35adjacent_difference_config_selectorILb1EtEEZNS1_24adjacent_difference_implIS3_Lb1ELb0EPtN6thrust23THRUST_200600_302600_NS16discard_iteratorINS9_11use_defaultEEENS9_5minusItEEEE10hipError_tPvRmT2_T3_mT4_P12ihipStream_tbEUlT_E_NS1_11comp_targetILNS1_3genE9ELNS1_11target_archE1100ELNS1_3gpuE3ELNS1_3repE0EEENS1_30default_config_static_selectorELNS0_4arch9wavefront6targetE1EEEvT1_
		.amdhsa_group_segment_fixed_size 0
		.amdhsa_private_segment_fixed_size 0
		.amdhsa_kernarg_size 64
		.amdhsa_user_sgpr_count 2
		.amdhsa_user_sgpr_dispatch_ptr 0
		.amdhsa_user_sgpr_queue_ptr 0
		.amdhsa_user_sgpr_kernarg_segment_ptr 1
		.amdhsa_user_sgpr_dispatch_id 0
		.amdhsa_user_sgpr_kernarg_preload_length 0
		.amdhsa_user_sgpr_kernarg_preload_offset 0
		.amdhsa_user_sgpr_private_segment_size 0
		.amdhsa_uses_dynamic_stack 0
		.amdhsa_enable_private_segment 0
		.amdhsa_system_sgpr_workgroup_id_x 1
		.amdhsa_system_sgpr_workgroup_id_y 0
		.amdhsa_system_sgpr_workgroup_id_z 0
		.amdhsa_system_sgpr_workgroup_info 0
		.amdhsa_system_vgpr_workitem_id 0
		.amdhsa_next_free_vgpr 1
		.amdhsa_next_free_sgpr 0
		.amdhsa_accum_offset 4
		.amdhsa_reserve_vcc 0
		.amdhsa_float_round_mode_32 0
		.amdhsa_float_round_mode_16_64 0
		.amdhsa_float_denorm_mode_32 3
		.amdhsa_float_denorm_mode_16_64 3
		.amdhsa_dx10_clamp 1
		.amdhsa_ieee_mode 1
		.amdhsa_fp16_overflow 0
		.amdhsa_tg_split 0
		.amdhsa_exception_fp_ieee_invalid_op 0
		.amdhsa_exception_fp_denorm_src 0
		.amdhsa_exception_fp_ieee_div_zero 0
		.amdhsa_exception_fp_ieee_overflow 0
		.amdhsa_exception_fp_ieee_underflow 0
		.amdhsa_exception_fp_ieee_inexact 0
		.amdhsa_exception_int_div_zero 0
	.end_amdhsa_kernel
	.section	.text._ZN7rocprim17ROCPRIM_400000_NS6detail17trampoline_kernelINS0_14default_configENS1_35adjacent_difference_config_selectorILb1EtEEZNS1_24adjacent_difference_implIS3_Lb1ELb0EPtN6thrust23THRUST_200600_302600_NS16discard_iteratorINS9_11use_defaultEEENS9_5minusItEEEE10hipError_tPvRmT2_T3_mT4_P12ihipStream_tbEUlT_E_NS1_11comp_targetILNS1_3genE9ELNS1_11target_archE1100ELNS1_3gpuE3ELNS1_3repE0EEENS1_30default_config_static_selectorELNS0_4arch9wavefront6targetE1EEEvT1_,"axG",@progbits,_ZN7rocprim17ROCPRIM_400000_NS6detail17trampoline_kernelINS0_14default_configENS1_35adjacent_difference_config_selectorILb1EtEEZNS1_24adjacent_difference_implIS3_Lb1ELb0EPtN6thrust23THRUST_200600_302600_NS16discard_iteratorINS9_11use_defaultEEENS9_5minusItEEEE10hipError_tPvRmT2_T3_mT4_P12ihipStream_tbEUlT_E_NS1_11comp_targetILNS1_3genE9ELNS1_11target_archE1100ELNS1_3gpuE3ELNS1_3repE0EEENS1_30default_config_static_selectorELNS0_4arch9wavefront6targetE1EEEvT1_,comdat
.Lfunc_end732:
	.size	_ZN7rocprim17ROCPRIM_400000_NS6detail17trampoline_kernelINS0_14default_configENS1_35adjacent_difference_config_selectorILb1EtEEZNS1_24adjacent_difference_implIS3_Lb1ELb0EPtN6thrust23THRUST_200600_302600_NS16discard_iteratorINS9_11use_defaultEEENS9_5minusItEEEE10hipError_tPvRmT2_T3_mT4_P12ihipStream_tbEUlT_E_NS1_11comp_targetILNS1_3genE9ELNS1_11target_archE1100ELNS1_3gpuE3ELNS1_3repE0EEENS1_30default_config_static_selectorELNS0_4arch9wavefront6targetE1EEEvT1_, .Lfunc_end732-_ZN7rocprim17ROCPRIM_400000_NS6detail17trampoline_kernelINS0_14default_configENS1_35adjacent_difference_config_selectorILb1EtEEZNS1_24adjacent_difference_implIS3_Lb1ELb0EPtN6thrust23THRUST_200600_302600_NS16discard_iteratorINS9_11use_defaultEEENS9_5minusItEEEE10hipError_tPvRmT2_T3_mT4_P12ihipStream_tbEUlT_E_NS1_11comp_targetILNS1_3genE9ELNS1_11target_archE1100ELNS1_3gpuE3ELNS1_3repE0EEENS1_30default_config_static_selectorELNS0_4arch9wavefront6targetE1EEEvT1_
                                        ; -- End function
	.section	.AMDGPU.csdata,"",@progbits
; Kernel info:
; codeLenInByte = 0
; NumSgprs: 6
; NumVgprs: 0
; NumAgprs: 0
; TotalNumVgprs: 0
; ScratchSize: 0
; MemoryBound: 0
; FloatMode: 240
; IeeeMode: 1
; LDSByteSize: 0 bytes/workgroup (compile time only)
; SGPRBlocks: 0
; VGPRBlocks: 0
; NumSGPRsForWavesPerEU: 6
; NumVGPRsForWavesPerEU: 1
; AccumOffset: 4
; Occupancy: 8
; WaveLimiterHint : 0
; COMPUTE_PGM_RSRC2:SCRATCH_EN: 0
; COMPUTE_PGM_RSRC2:USER_SGPR: 2
; COMPUTE_PGM_RSRC2:TRAP_HANDLER: 0
; COMPUTE_PGM_RSRC2:TGID_X_EN: 1
; COMPUTE_PGM_RSRC2:TGID_Y_EN: 0
; COMPUTE_PGM_RSRC2:TGID_Z_EN: 0
; COMPUTE_PGM_RSRC2:TIDIG_COMP_CNT: 0
; COMPUTE_PGM_RSRC3_GFX90A:ACCUM_OFFSET: 0
; COMPUTE_PGM_RSRC3_GFX90A:TG_SPLIT: 0
	.section	.text._ZN7rocprim17ROCPRIM_400000_NS6detail17trampoline_kernelINS0_14default_configENS1_35adjacent_difference_config_selectorILb1EtEEZNS1_24adjacent_difference_implIS3_Lb1ELb0EPtN6thrust23THRUST_200600_302600_NS16discard_iteratorINS9_11use_defaultEEENS9_5minusItEEEE10hipError_tPvRmT2_T3_mT4_P12ihipStream_tbEUlT_E_NS1_11comp_targetILNS1_3genE8ELNS1_11target_archE1030ELNS1_3gpuE2ELNS1_3repE0EEENS1_30default_config_static_selectorELNS0_4arch9wavefront6targetE1EEEvT1_,"axG",@progbits,_ZN7rocprim17ROCPRIM_400000_NS6detail17trampoline_kernelINS0_14default_configENS1_35adjacent_difference_config_selectorILb1EtEEZNS1_24adjacent_difference_implIS3_Lb1ELb0EPtN6thrust23THRUST_200600_302600_NS16discard_iteratorINS9_11use_defaultEEENS9_5minusItEEEE10hipError_tPvRmT2_T3_mT4_P12ihipStream_tbEUlT_E_NS1_11comp_targetILNS1_3genE8ELNS1_11target_archE1030ELNS1_3gpuE2ELNS1_3repE0EEENS1_30default_config_static_selectorELNS0_4arch9wavefront6targetE1EEEvT1_,comdat
	.protected	_ZN7rocprim17ROCPRIM_400000_NS6detail17trampoline_kernelINS0_14default_configENS1_35adjacent_difference_config_selectorILb1EtEEZNS1_24adjacent_difference_implIS3_Lb1ELb0EPtN6thrust23THRUST_200600_302600_NS16discard_iteratorINS9_11use_defaultEEENS9_5minusItEEEE10hipError_tPvRmT2_T3_mT4_P12ihipStream_tbEUlT_E_NS1_11comp_targetILNS1_3genE8ELNS1_11target_archE1030ELNS1_3gpuE2ELNS1_3repE0EEENS1_30default_config_static_selectorELNS0_4arch9wavefront6targetE1EEEvT1_ ; -- Begin function _ZN7rocprim17ROCPRIM_400000_NS6detail17trampoline_kernelINS0_14default_configENS1_35adjacent_difference_config_selectorILb1EtEEZNS1_24adjacent_difference_implIS3_Lb1ELb0EPtN6thrust23THRUST_200600_302600_NS16discard_iteratorINS9_11use_defaultEEENS9_5minusItEEEE10hipError_tPvRmT2_T3_mT4_P12ihipStream_tbEUlT_E_NS1_11comp_targetILNS1_3genE8ELNS1_11target_archE1030ELNS1_3gpuE2ELNS1_3repE0EEENS1_30default_config_static_selectorELNS0_4arch9wavefront6targetE1EEEvT1_
	.globl	_ZN7rocprim17ROCPRIM_400000_NS6detail17trampoline_kernelINS0_14default_configENS1_35adjacent_difference_config_selectorILb1EtEEZNS1_24adjacent_difference_implIS3_Lb1ELb0EPtN6thrust23THRUST_200600_302600_NS16discard_iteratorINS9_11use_defaultEEENS9_5minusItEEEE10hipError_tPvRmT2_T3_mT4_P12ihipStream_tbEUlT_E_NS1_11comp_targetILNS1_3genE8ELNS1_11target_archE1030ELNS1_3gpuE2ELNS1_3repE0EEENS1_30default_config_static_selectorELNS0_4arch9wavefront6targetE1EEEvT1_
	.p2align	8
	.type	_ZN7rocprim17ROCPRIM_400000_NS6detail17trampoline_kernelINS0_14default_configENS1_35adjacent_difference_config_selectorILb1EtEEZNS1_24adjacent_difference_implIS3_Lb1ELb0EPtN6thrust23THRUST_200600_302600_NS16discard_iteratorINS9_11use_defaultEEENS9_5minusItEEEE10hipError_tPvRmT2_T3_mT4_P12ihipStream_tbEUlT_E_NS1_11comp_targetILNS1_3genE8ELNS1_11target_archE1030ELNS1_3gpuE2ELNS1_3repE0EEENS1_30default_config_static_selectorELNS0_4arch9wavefront6targetE1EEEvT1_,@function
_ZN7rocprim17ROCPRIM_400000_NS6detail17trampoline_kernelINS0_14default_configENS1_35adjacent_difference_config_selectorILb1EtEEZNS1_24adjacent_difference_implIS3_Lb1ELb0EPtN6thrust23THRUST_200600_302600_NS16discard_iteratorINS9_11use_defaultEEENS9_5minusItEEEE10hipError_tPvRmT2_T3_mT4_P12ihipStream_tbEUlT_E_NS1_11comp_targetILNS1_3genE8ELNS1_11target_archE1030ELNS1_3gpuE2ELNS1_3repE0EEENS1_30default_config_static_selectorELNS0_4arch9wavefront6targetE1EEEvT1_: ; @_ZN7rocprim17ROCPRIM_400000_NS6detail17trampoline_kernelINS0_14default_configENS1_35adjacent_difference_config_selectorILb1EtEEZNS1_24adjacent_difference_implIS3_Lb1ELb0EPtN6thrust23THRUST_200600_302600_NS16discard_iteratorINS9_11use_defaultEEENS9_5minusItEEEE10hipError_tPvRmT2_T3_mT4_P12ihipStream_tbEUlT_E_NS1_11comp_targetILNS1_3genE8ELNS1_11target_archE1030ELNS1_3gpuE2ELNS1_3repE0EEENS1_30default_config_static_selectorELNS0_4arch9wavefront6targetE1EEEvT1_
; %bb.0:
	.section	.rodata,"a",@progbits
	.p2align	6, 0x0
	.amdhsa_kernel _ZN7rocprim17ROCPRIM_400000_NS6detail17trampoline_kernelINS0_14default_configENS1_35adjacent_difference_config_selectorILb1EtEEZNS1_24adjacent_difference_implIS3_Lb1ELb0EPtN6thrust23THRUST_200600_302600_NS16discard_iteratorINS9_11use_defaultEEENS9_5minusItEEEE10hipError_tPvRmT2_T3_mT4_P12ihipStream_tbEUlT_E_NS1_11comp_targetILNS1_3genE8ELNS1_11target_archE1030ELNS1_3gpuE2ELNS1_3repE0EEENS1_30default_config_static_selectorELNS0_4arch9wavefront6targetE1EEEvT1_
		.amdhsa_group_segment_fixed_size 0
		.amdhsa_private_segment_fixed_size 0
		.amdhsa_kernarg_size 64
		.amdhsa_user_sgpr_count 2
		.amdhsa_user_sgpr_dispatch_ptr 0
		.amdhsa_user_sgpr_queue_ptr 0
		.amdhsa_user_sgpr_kernarg_segment_ptr 1
		.amdhsa_user_sgpr_dispatch_id 0
		.amdhsa_user_sgpr_kernarg_preload_length 0
		.amdhsa_user_sgpr_kernarg_preload_offset 0
		.amdhsa_user_sgpr_private_segment_size 0
		.amdhsa_uses_dynamic_stack 0
		.amdhsa_enable_private_segment 0
		.amdhsa_system_sgpr_workgroup_id_x 1
		.amdhsa_system_sgpr_workgroup_id_y 0
		.amdhsa_system_sgpr_workgroup_id_z 0
		.amdhsa_system_sgpr_workgroup_info 0
		.amdhsa_system_vgpr_workitem_id 0
		.amdhsa_next_free_vgpr 1
		.amdhsa_next_free_sgpr 0
		.amdhsa_accum_offset 4
		.amdhsa_reserve_vcc 0
		.amdhsa_float_round_mode_32 0
		.amdhsa_float_round_mode_16_64 0
		.amdhsa_float_denorm_mode_32 3
		.amdhsa_float_denorm_mode_16_64 3
		.amdhsa_dx10_clamp 1
		.amdhsa_ieee_mode 1
		.amdhsa_fp16_overflow 0
		.amdhsa_tg_split 0
		.amdhsa_exception_fp_ieee_invalid_op 0
		.amdhsa_exception_fp_denorm_src 0
		.amdhsa_exception_fp_ieee_div_zero 0
		.amdhsa_exception_fp_ieee_overflow 0
		.amdhsa_exception_fp_ieee_underflow 0
		.amdhsa_exception_fp_ieee_inexact 0
		.amdhsa_exception_int_div_zero 0
	.end_amdhsa_kernel
	.section	.text._ZN7rocprim17ROCPRIM_400000_NS6detail17trampoline_kernelINS0_14default_configENS1_35adjacent_difference_config_selectorILb1EtEEZNS1_24adjacent_difference_implIS3_Lb1ELb0EPtN6thrust23THRUST_200600_302600_NS16discard_iteratorINS9_11use_defaultEEENS9_5minusItEEEE10hipError_tPvRmT2_T3_mT4_P12ihipStream_tbEUlT_E_NS1_11comp_targetILNS1_3genE8ELNS1_11target_archE1030ELNS1_3gpuE2ELNS1_3repE0EEENS1_30default_config_static_selectorELNS0_4arch9wavefront6targetE1EEEvT1_,"axG",@progbits,_ZN7rocprim17ROCPRIM_400000_NS6detail17trampoline_kernelINS0_14default_configENS1_35adjacent_difference_config_selectorILb1EtEEZNS1_24adjacent_difference_implIS3_Lb1ELb0EPtN6thrust23THRUST_200600_302600_NS16discard_iteratorINS9_11use_defaultEEENS9_5minusItEEEE10hipError_tPvRmT2_T3_mT4_P12ihipStream_tbEUlT_E_NS1_11comp_targetILNS1_3genE8ELNS1_11target_archE1030ELNS1_3gpuE2ELNS1_3repE0EEENS1_30default_config_static_selectorELNS0_4arch9wavefront6targetE1EEEvT1_,comdat
.Lfunc_end733:
	.size	_ZN7rocprim17ROCPRIM_400000_NS6detail17trampoline_kernelINS0_14default_configENS1_35adjacent_difference_config_selectorILb1EtEEZNS1_24adjacent_difference_implIS3_Lb1ELb0EPtN6thrust23THRUST_200600_302600_NS16discard_iteratorINS9_11use_defaultEEENS9_5minusItEEEE10hipError_tPvRmT2_T3_mT4_P12ihipStream_tbEUlT_E_NS1_11comp_targetILNS1_3genE8ELNS1_11target_archE1030ELNS1_3gpuE2ELNS1_3repE0EEENS1_30default_config_static_selectorELNS0_4arch9wavefront6targetE1EEEvT1_, .Lfunc_end733-_ZN7rocprim17ROCPRIM_400000_NS6detail17trampoline_kernelINS0_14default_configENS1_35adjacent_difference_config_selectorILb1EtEEZNS1_24adjacent_difference_implIS3_Lb1ELb0EPtN6thrust23THRUST_200600_302600_NS16discard_iteratorINS9_11use_defaultEEENS9_5minusItEEEE10hipError_tPvRmT2_T3_mT4_P12ihipStream_tbEUlT_E_NS1_11comp_targetILNS1_3genE8ELNS1_11target_archE1030ELNS1_3gpuE2ELNS1_3repE0EEENS1_30default_config_static_selectorELNS0_4arch9wavefront6targetE1EEEvT1_
                                        ; -- End function
	.section	.AMDGPU.csdata,"",@progbits
; Kernel info:
; codeLenInByte = 0
; NumSgprs: 6
; NumVgprs: 0
; NumAgprs: 0
; TotalNumVgprs: 0
; ScratchSize: 0
; MemoryBound: 0
; FloatMode: 240
; IeeeMode: 1
; LDSByteSize: 0 bytes/workgroup (compile time only)
; SGPRBlocks: 0
; VGPRBlocks: 0
; NumSGPRsForWavesPerEU: 6
; NumVGPRsForWavesPerEU: 1
; AccumOffset: 4
; Occupancy: 8
; WaveLimiterHint : 0
; COMPUTE_PGM_RSRC2:SCRATCH_EN: 0
; COMPUTE_PGM_RSRC2:USER_SGPR: 2
; COMPUTE_PGM_RSRC2:TRAP_HANDLER: 0
; COMPUTE_PGM_RSRC2:TGID_X_EN: 1
; COMPUTE_PGM_RSRC2:TGID_Y_EN: 0
; COMPUTE_PGM_RSRC2:TGID_Z_EN: 0
; COMPUTE_PGM_RSRC2:TIDIG_COMP_CNT: 0
; COMPUTE_PGM_RSRC3_GFX90A:ACCUM_OFFSET: 0
; COMPUTE_PGM_RSRC3_GFX90A:TG_SPLIT: 0
	.section	.text._ZN7rocprim17ROCPRIM_400000_NS6detail17trampoline_kernelINS0_14default_configENS1_25transform_config_selectorIiLb0EEEZNS1_14transform_implILb0ES3_S5_NS0_18transform_iteratorINS0_17counting_iteratorImlEEZNS1_24adjacent_difference_implIS3_Lb1ELb0EPiN6thrust23THRUST_200600_302600_NS16discard_iteratorINSD_11use_defaultEEENSD_5minusIiEEEE10hipError_tPvRmT2_T3_mT4_P12ihipStream_tbEUlmE_iEESB_NS0_8identityIvEEEESJ_SM_SN_mSO_SQ_bEUlT_E_NS1_11comp_targetILNS1_3genE0ELNS1_11target_archE4294967295ELNS1_3gpuE0ELNS1_3repE0EEENS1_30default_config_static_selectorELNS0_4arch9wavefront6targetE1EEEvT1_,"axG",@progbits,_ZN7rocprim17ROCPRIM_400000_NS6detail17trampoline_kernelINS0_14default_configENS1_25transform_config_selectorIiLb0EEEZNS1_14transform_implILb0ES3_S5_NS0_18transform_iteratorINS0_17counting_iteratorImlEEZNS1_24adjacent_difference_implIS3_Lb1ELb0EPiN6thrust23THRUST_200600_302600_NS16discard_iteratorINSD_11use_defaultEEENSD_5minusIiEEEE10hipError_tPvRmT2_T3_mT4_P12ihipStream_tbEUlmE_iEESB_NS0_8identityIvEEEESJ_SM_SN_mSO_SQ_bEUlT_E_NS1_11comp_targetILNS1_3genE0ELNS1_11target_archE4294967295ELNS1_3gpuE0ELNS1_3repE0EEENS1_30default_config_static_selectorELNS0_4arch9wavefront6targetE1EEEvT1_,comdat
	.protected	_ZN7rocprim17ROCPRIM_400000_NS6detail17trampoline_kernelINS0_14default_configENS1_25transform_config_selectorIiLb0EEEZNS1_14transform_implILb0ES3_S5_NS0_18transform_iteratorINS0_17counting_iteratorImlEEZNS1_24adjacent_difference_implIS3_Lb1ELb0EPiN6thrust23THRUST_200600_302600_NS16discard_iteratorINSD_11use_defaultEEENSD_5minusIiEEEE10hipError_tPvRmT2_T3_mT4_P12ihipStream_tbEUlmE_iEESB_NS0_8identityIvEEEESJ_SM_SN_mSO_SQ_bEUlT_E_NS1_11comp_targetILNS1_3genE0ELNS1_11target_archE4294967295ELNS1_3gpuE0ELNS1_3repE0EEENS1_30default_config_static_selectorELNS0_4arch9wavefront6targetE1EEEvT1_ ; -- Begin function _ZN7rocprim17ROCPRIM_400000_NS6detail17trampoline_kernelINS0_14default_configENS1_25transform_config_selectorIiLb0EEEZNS1_14transform_implILb0ES3_S5_NS0_18transform_iteratorINS0_17counting_iteratorImlEEZNS1_24adjacent_difference_implIS3_Lb1ELb0EPiN6thrust23THRUST_200600_302600_NS16discard_iteratorINSD_11use_defaultEEENSD_5minusIiEEEE10hipError_tPvRmT2_T3_mT4_P12ihipStream_tbEUlmE_iEESB_NS0_8identityIvEEEESJ_SM_SN_mSO_SQ_bEUlT_E_NS1_11comp_targetILNS1_3genE0ELNS1_11target_archE4294967295ELNS1_3gpuE0ELNS1_3repE0EEENS1_30default_config_static_selectorELNS0_4arch9wavefront6targetE1EEEvT1_
	.globl	_ZN7rocprim17ROCPRIM_400000_NS6detail17trampoline_kernelINS0_14default_configENS1_25transform_config_selectorIiLb0EEEZNS1_14transform_implILb0ES3_S5_NS0_18transform_iteratorINS0_17counting_iteratorImlEEZNS1_24adjacent_difference_implIS3_Lb1ELb0EPiN6thrust23THRUST_200600_302600_NS16discard_iteratorINSD_11use_defaultEEENSD_5minusIiEEEE10hipError_tPvRmT2_T3_mT4_P12ihipStream_tbEUlmE_iEESB_NS0_8identityIvEEEESJ_SM_SN_mSO_SQ_bEUlT_E_NS1_11comp_targetILNS1_3genE0ELNS1_11target_archE4294967295ELNS1_3gpuE0ELNS1_3repE0EEENS1_30default_config_static_selectorELNS0_4arch9wavefront6targetE1EEEvT1_
	.p2align	8
	.type	_ZN7rocprim17ROCPRIM_400000_NS6detail17trampoline_kernelINS0_14default_configENS1_25transform_config_selectorIiLb0EEEZNS1_14transform_implILb0ES3_S5_NS0_18transform_iteratorINS0_17counting_iteratorImlEEZNS1_24adjacent_difference_implIS3_Lb1ELb0EPiN6thrust23THRUST_200600_302600_NS16discard_iteratorINSD_11use_defaultEEENSD_5minusIiEEEE10hipError_tPvRmT2_T3_mT4_P12ihipStream_tbEUlmE_iEESB_NS0_8identityIvEEEESJ_SM_SN_mSO_SQ_bEUlT_E_NS1_11comp_targetILNS1_3genE0ELNS1_11target_archE4294967295ELNS1_3gpuE0ELNS1_3repE0EEENS1_30default_config_static_selectorELNS0_4arch9wavefront6targetE1EEEvT1_,@function
_ZN7rocprim17ROCPRIM_400000_NS6detail17trampoline_kernelINS0_14default_configENS1_25transform_config_selectorIiLb0EEEZNS1_14transform_implILb0ES3_S5_NS0_18transform_iteratorINS0_17counting_iteratorImlEEZNS1_24adjacent_difference_implIS3_Lb1ELb0EPiN6thrust23THRUST_200600_302600_NS16discard_iteratorINSD_11use_defaultEEENSD_5minusIiEEEE10hipError_tPvRmT2_T3_mT4_P12ihipStream_tbEUlmE_iEESB_NS0_8identityIvEEEESJ_SM_SN_mSO_SQ_bEUlT_E_NS1_11comp_targetILNS1_3genE0ELNS1_11target_archE4294967295ELNS1_3gpuE0ELNS1_3repE0EEENS1_30default_config_static_selectorELNS0_4arch9wavefront6targetE1EEEvT1_: ; @_ZN7rocprim17ROCPRIM_400000_NS6detail17trampoline_kernelINS0_14default_configENS1_25transform_config_selectorIiLb0EEEZNS1_14transform_implILb0ES3_S5_NS0_18transform_iteratorINS0_17counting_iteratorImlEEZNS1_24adjacent_difference_implIS3_Lb1ELb0EPiN6thrust23THRUST_200600_302600_NS16discard_iteratorINSD_11use_defaultEEENSD_5minusIiEEEE10hipError_tPvRmT2_T3_mT4_P12ihipStream_tbEUlmE_iEESB_NS0_8identityIvEEEESJ_SM_SN_mSO_SQ_bEUlT_E_NS1_11comp_targetILNS1_3genE0ELNS1_11target_archE4294967295ELNS1_3gpuE0ELNS1_3repE0EEENS1_30default_config_static_selectorELNS0_4arch9wavefront6targetE1EEEvT1_
; %bb.0:
	.section	.rodata,"a",@progbits
	.p2align	6, 0x0
	.amdhsa_kernel _ZN7rocprim17ROCPRIM_400000_NS6detail17trampoline_kernelINS0_14default_configENS1_25transform_config_selectorIiLb0EEEZNS1_14transform_implILb0ES3_S5_NS0_18transform_iteratorINS0_17counting_iteratorImlEEZNS1_24adjacent_difference_implIS3_Lb1ELb0EPiN6thrust23THRUST_200600_302600_NS16discard_iteratorINSD_11use_defaultEEENSD_5minusIiEEEE10hipError_tPvRmT2_T3_mT4_P12ihipStream_tbEUlmE_iEESB_NS0_8identityIvEEEESJ_SM_SN_mSO_SQ_bEUlT_E_NS1_11comp_targetILNS1_3genE0ELNS1_11target_archE4294967295ELNS1_3gpuE0ELNS1_3repE0EEENS1_30default_config_static_selectorELNS0_4arch9wavefront6targetE1EEEvT1_
		.amdhsa_group_segment_fixed_size 0
		.amdhsa_private_segment_fixed_size 0
		.amdhsa_kernarg_size 56
		.amdhsa_user_sgpr_count 2
		.amdhsa_user_sgpr_dispatch_ptr 0
		.amdhsa_user_sgpr_queue_ptr 0
		.amdhsa_user_sgpr_kernarg_segment_ptr 1
		.amdhsa_user_sgpr_dispatch_id 0
		.amdhsa_user_sgpr_kernarg_preload_length 0
		.amdhsa_user_sgpr_kernarg_preload_offset 0
		.amdhsa_user_sgpr_private_segment_size 0
		.amdhsa_uses_dynamic_stack 0
		.amdhsa_enable_private_segment 0
		.amdhsa_system_sgpr_workgroup_id_x 1
		.amdhsa_system_sgpr_workgroup_id_y 0
		.amdhsa_system_sgpr_workgroup_id_z 0
		.amdhsa_system_sgpr_workgroup_info 0
		.amdhsa_system_vgpr_workitem_id 0
		.amdhsa_next_free_vgpr 1
		.amdhsa_next_free_sgpr 0
		.amdhsa_accum_offset 4
		.amdhsa_reserve_vcc 0
		.amdhsa_float_round_mode_32 0
		.amdhsa_float_round_mode_16_64 0
		.amdhsa_float_denorm_mode_32 3
		.amdhsa_float_denorm_mode_16_64 3
		.amdhsa_dx10_clamp 1
		.amdhsa_ieee_mode 1
		.amdhsa_fp16_overflow 0
		.amdhsa_tg_split 0
		.amdhsa_exception_fp_ieee_invalid_op 0
		.amdhsa_exception_fp_denorm_src 0
		.amdhsa_exception_fp_ieee_div_zero 0
		.amdhsa_exception_fp_ieee_overflow 0
		.amdhsa_exception_fp_ieee_underflow 0
		.amdhsa_exception_fp_ieee_inexact 0
		.amdhsa_exception_int_div_zero 0
	.end_amdhsa_kernel
	.section	.text._ZN7rocprim17ROCPRIM_400000_NS6detail17trampoline_kernelINS0_14default_configENS1_25transform_config_selectorIiLb0EEEZNS1_14transform_implILb0ES3_S5_NS0_18transform_iteratorINS0_17counting_iteratorImlEEZNS1_24adjacent_difference_implIS3_Lb1ELb0EPiN6thrust23THRUST_200600_302600_NS16discard_iteratorINSD_11use_defaultEEENSD_5minusIiEEEE10hipError_tPvRmT2_T3_mT4_P12ihipStream_tbEUlmE_iEESB_NS0_8identityIvEEEESJ_SM_SN_mSO_SQ_bEUlT_E_NS1_11comp_targetILNS1_3genE0ELNS1_11target_archE4294967295ELNS1_3gpuE0ELNS1_3repE0EEENS1_30default_config_static_selectorELNS0_4arch9wavefront6targetE1EEEvT1_,"axG",@progbits,_ZN7rocprim17ROCPRIM_400000_NS6detail17trampoline_kernelINS0_14default_configENS1_25transform_config_selectorIiLb0EEEZNS1_14transform_implILb0ES3_S5_NS0_18transform_iteratorINS0_17counting_iteratorImlEEZNS1_24adjacent_difference_implIS3_Lb1ELb0EPiN6thrust23THRUST_200600_302600_NS16discard_iteratorINSD_11use_defaultEEENSD_5minusIiEEEE10hipError_tPvRmT2_T3_mT4_P12ihipStream_tbEUlmE_iEESB_NS0_8identityIvEEEESJ_SM_SN_mSO_SQ_bEUlT_E_NS1_11comp_targetILNS1_3genE0ELNS1_11target_archE4294967295ELNS1_3gpuE0ELNS1_3repE0EEENS1_30default_config_static_selectorELNS0_4arch9wavefront6targetE1EEEvT1_,comdat
.Lfunc_end734:
	.size	_ZN7rocprim17ROCPRIM_400000_NS6detail17trampoline_kernelINS0_14default_configENS1_25transform_config_selectorIiLb0EEEZNS1_14transform_implILb0ES3_S5_NS0_18transform_iteratorINS0_17counting_iteratorImlEEZNS1_24adjacent_difference_implIS3_Lb1ELb0EPiN6thrust23THRUST_200600_302600_NS16discard_iteratorINSD_11use_defaultEEENSD_5minusIiEEEE10hipError_tPvRmT2_T3_mT4_P12ihipStream_tbEUlmE_iEESB_NS0_8identityIvEEEESJ_SM_SN_mSO_SQ_bEUlT_E_NS1_11comp_targetILNS1_3genE0ELNS1_11target_archE4294967295ELNS1_3gpuE0ELNS1_3repE0EEENS1_30default_config_static_selectorELNS0_4arch9wavefront6targetE1EEEvT1_, .Lfunc_end734-_ZN7rocprim17ROCPRIM_400000_NS6detail17trampoline_kernelINS0_14default_configENS1_25transform_config_selectorIiLb0EEEZNS1_14transform_implILb0ES3_S5_NS0_18transform_iteratorINS0_17counting_iteratorImlEEZNS1_24adjacent_difference_implIS3_Lb1ELb0EPiN6thrust23THRUST_200600_302600_NS16discard_iteratorINSD_11use_defaultEEENSD_5minusIiEEEE10hipError_tPvRmT2_T3_mT4_P12ihipStream_tbEUlmE_iEESB_NS0_8identityIvEEEESJ_SM_SN_mSO_SQ_bEUlT_E_NS1_11comp_targetILNS1_3genE0ELNS1_11target_archE4294967295ELNS1_3gpuE0ELNS1_3repE0EEENS1_30default_config_static_selectorELNS0_4arch9wavefront6targetE1EEEvT1_
                                        ; -- End function
	.section	.AMDGPU.csdata,"",@progbits
; Kernel info:
; codeLenInByte = 0
; NumSgprs: 6
; NumVgprs: 0
; NumAgprs: 0
; TotalNumVgprs: 0
; ScratchSize: 0
; MemoryBound: 0
; FloatMode: 240
; IeeeMode: 1
; LDSByteSize: 0 bytes/workgroup (compile time only)
; SGPRBlocks: 0
; VGPRBlocks: 0
; NumSGPRsForWavesPerEU: 6
; NumVGPRsForWavesPerEU: 1
; AccumOffset: 4
; Occupancy: 8
; WaveLimiterHint : 0
; COMPUTE_PGM_RSRC2:SCRATCH_EN: 0
; COMPUTE_PGM_RSRC2:USER_SGPR: 2
; COMPUTE_PGM_RSRC2:TRAP_HANDLER: 0
; COMPUTE_PGM_RSRC2:TGID_X_EN: 1
; COMPUTE_PGM_RSRC2:TGID_Y_EN: 0
; COMPUTE_PGM_RSRC2:TGID_Z_EN: 0
; COMPUTE_PGM_RSRC2:TIDIG_COMP_CNT: 0
; COMPUTE_PGM_RSRC3_GFX90A:ACCUM_OFFSET: 0
; COMPUTE_PGM_RSRC3_GFX90A:TG_SPLIT: 0
	.section	.text._ZN7rocprim17ROCPRIM_400000_NS6detail17trampoline_kernelINS0_14default_configENS1_25transform_config_selectorIiLb0EEEZNS1_14transform_implILb0ES3_S5_NS0_18transform_iteratorINS0_17counting_iteratorImlEEZNS1_24adjacent_difference_implIS3_Lb1ELb0EPiN6thrust23THRUST_200600_302600_NS16discard_iteratorINSD_11use_defaultEEENSD_5minusIiEEEE10hipError_tPvRmT2_T3_mT4_P12ihipStream_tbEUlmE_iEESB_NS0_8identityIvEEEESJ_SM_SN_mSO_SQ_bEUlT_E_NS1_11comp_targetILNS1_3genE5ELNS1_11target_archE942ELNS1_3gpuE9ELNS1_3repE0EEENS1_30default_config_static_selectorELNS0_4arch9wavefront6targetE1EEEvT1_,"axG",@progbits,_ZN7rocprim17ROCPRIM_400000_NS6detail17trampoline_kernelINS0_14default_configENS1_25transform_config_selectorIiLb0EEEZNS1_14transform_implILb0ES3_S5_NS0_18transform_iteratorINS0_17counting_iteratorImlEEZNS1_24adjacent_difference_implIS3_Lb1ELb0EPiN6thrust23THRUST_200600_302600_NS16discard_iteratorINSD_11use_defaultEEENSD_5minusIiEEEE10hipError_tPvRmT2_T3_mT4_P12ihipStream_tbEUlmE_iEESB_NS0_8identityIvEEEESJ_SM_SN_mSO_SQ_bEUlT_E_NS1_11comp_targetILNS1_3genE5ELNS1_11target_archE942ELNS1_3gpuE9ELNS1_3repE0EEENS1_30default_config_static_selectorELNS0_4arch9wavefront6targetE1EEEvT1_,comdat
	.protected	_ZN7rocprim17ROCPRIM_400000_NS6detail17trampoline_kernelINS0_14default_configENS1_25transform_config_selectorIiLb0EEEZNS1_14transform_implILb0ES3_S5_NS0_18transform_iteratorINS0_17counting_iteratorImlEEZNS1_24adjacent_difference_implIS3_Lb1ELb0EPiN6thrust23THRUST_200600_302600_NS16discard_iteratorINSD_11use_defaultEEENSD_5minusIiEEEE10hipError_tPvRmT2_T3_mT4_P12ihipStream_tbEUlmE_iEESB_NS0_8identityIvEEEESJ_SM_SN_mSO_SQ_bEUlT_E_NS1_11comp_targetILNS1_3genE5ELNS1_11target_archE942ELNS1_3gpuE9ELNS1_3repE0EEENS1_30default_config_static_selectorELNS0_4arch9wavefront6targetE1EEEvT1_ ; -- Begin function _ZN7rocprim17ROCPRIM_400000_NS6detail17trampoline_kernelINS0_14default_configENS1_25transform_config_selectorIiLb0EEEZNS1_14transform_implILb0ES3_S5_NS0_18transform_iteratorINS0_17counting_iteratorImlEEZNS1_24adjacent_difference_implIS3_Lb1ELb0EPiN6thrust23THRUST_200600_302600_NS16discard_iteratorINSD_11use_defaultEEENSD_5minusIiEEEE10hipError_tPvRmT2_T3_mT4_P12ihipStream_tbEUlmE_iEESB_NS0_8identityIvEEEESJ_SM_SN_mSO_SQ_bEUlT_E_NS1_11comp_targetILNS1_3genE5ELNS1_11target_archE942ELNS1_3gpuE9ELNS1_3repE0EEENS1_30default_config_static_selectorELNS0_4arch9wavefront6targetE1EEEvT1_
	.globl	_ZN7rocprim17ROCPRIM_400000_NS6detail17trampoline_kernelINS0_14default_configENS1_25transform_config_selectorIiLb0EEEZNS1_14transform_implILb0ES3_S5_NS0_18transform_iteratorINS0_17counting_iteratorImlEEZNS1_24adjacent_difference_implIS3_Lb1ELb0EPiN6thrust23THRUST_200600_302600_NS16discard_iteratorINSD_11use_defaultEEENSD_5minusIiEEEE10hipError_tPvRmT2_T3_mT4_P12ihipStream_tbEUlmE_iEESB_NS0_8identityIvEEEESJ_SM_SN_mSO_SQ_bEUlT_E_NS1_11comp_targetILNS1_3genE5ELNS1_11target_archE942ELNS1_3gpuE9ELNS1_3repE0EEENS1_30default_config_static_selectorELNS0_4arch9wavefront6targetE1EEEvT1_
	.p2align	8
	.type	_ZN7rocprim17ROCPRIM_400000_NS6detail17trampoline_kernelINS0_14default_configENS1_25transform_config_selectorIiLb0EEEZNS1_14transform_implILb0ES3_S5_NS0_18transform_iteratorINS0_17counting_iteratorImlEEZNS1_24adjacent_difference_implIS3_Lb1ELb0EPiN6thrust23THRUST_200600_302600_NS16discard_iteratorINSD_11use_defaultEEENSD_5minusIiEEEE10hipError_tPvRmT2_T3_mT4_P12ihipStream_tbEUlmE_iEESB_NS0_8identityIvEEEESJ_SM_SN_mSO_SQ_bEUlT_E_NS1_11comp_targetILNS1_3genE5ELNS1_11target_archE942ELNS1_3gpuE9ELNS1_3repE0EEENS1_30default_config_static_selectorELNS0_4arch9wavefront6targetE1EEEvT1_,@function
_ZN7rocprim17ROCPRIM_400000_NS6detail17trampoline_kernelINS0_14default_configENS1_25transform_config_selectorIiLb0EEEZNS1_14transform_implILb0ES3_S5_NS0_18transform_iteratorINS0_17counting_iteratorImlEEZNS1_24adjacent_difference_implIS3_Lb1ELb0EPiN6thrust23THRUST_200600_302600_NS16discard_iteratorINSD_11use_defaultEEENSD_5minusIiEEEE10hipError_tPvRmT2_T3_mT4_P12ihipStream_tbEUlmE_iEESB_NS0_8identityIvEEEESJ_SM_SN_mSO_SQ_bEUlT_E_NS1_11comp_targetILNS1_3genE5ELNS1_11target_archE942ELNS1_3gpuE9ELNS1_3repE0EEENS1_30default_config_static_selectorELNS0_4arch9wavefront6targetE1EEEvT1_: ; @_ZN7rocprim17ROCPRIM_400000_NS6detail17trampoline_kernelINS0_14default_configENS1_25transform_config_selectorIiLb0EEEZNS1_14transform_implILb0ES3_S5_NS0_18transform_iteratorINS0_17counting_iteratorImlEEZNS1_24adjacent_difference_implIS3_Lb1ELb0EPiN6thrust23THRUST_200600_302600_NS16discard_iteratorINSD_11use_defaultEEENSD_5minusIiEEEE10hipError_tPvRmT2_T3_mT4_P12ihipStream_tbEUlmE_iEESB_NS0_8identityIvEEEESJ_SM_SN_mSO_SQ_bEUlT_E_NS1_11comp_targetILNS1_3genE5ELNS1_11target_archE942ELNS1_3gpuE9ELNS1_3repE0EEENS1_30default_config_static_selectorELNS0_4arch9wavefront6targetE1EEEvT1_
; %bb.0:
	s_load_dwordx4 s[8:11], s[0:1], 0x18
	s_load_dwordx2 s[14:15], s[0:1], 0x28
	s_load_dwordx4 s[4:7], s[0:1], 0x0
	s_load_dword s12, s[0:1], 0x10
	s_load_dword s3, s[0:1], 0x38
	s_waitcnt lgkmcnt(0)
	s_lshl_b64 s[0:1], s[8:9], 2
	s_add_u32 s18, s14, s0
	s_addc_u32 s19, s15, s1
	s_lshl_b32 s14, s2, 11
	s_add_i32 s3, s3, -1
	s_add_u32 s0, s4, s14
	s_addc_u32 s1, s5, 0
	s_add_u32 s16, s0, s8
	s_addc_u32 s17, s1, s9
	s_mov_b32 s15, 0
	s_cmp_lg_u32 s2, s3
	v_lshlrev_b32_e32 v6, 2, v0
	s_cbranch_scc0 .LBB735_2
; %bb.1:
	v_mov_b32_e32 v1, 0
	v_lshl_add_u64 v[2:3], s[16:17], 0, v[0:1]
	v_mad_u64_u32 v[4:5], s[0:1], v2, s12, 0
	v_mov_b32_e32 v2, v5
	v_mad_u64_u32 v[2:3], s[0:1], v3, s12, v[2:3]
	s_mov_b32 s13, s15
	v_mov_b32_e32 v5, v2
	v_lshl_add_u64 v[2:3], v[4:5], 2, s[6:7]
	s_lshl_b64 s[0:1], s[12:13], 11
	v_lshl_add_u64 v[4:5], v[2:3], 0, s[0:1]
	v_lshl_add_u64 v[8:9], v[4:5], 0, s[0:1]
	global_load_dword v10, v[2:3], off
	global_load_dword v11, v[4:5], off
	;; [unrolled: 1-line block ×3, first 2 shown]
	v_lshl_add_u64 v[2:3], v[8:9], 0, s[0:1]
	global_load_dword v2, v[2:3], off
	s_lshl_b64 s[2:3], s[14:15], 2
	s_add_u32 s2, s18, s2
	v_mov_b32_e32 v7, v1
	s_addc_u32 s3, s19, s3
	v_lshl_add_u64 v[8:9], s[2:3], 0, v[6:7]
	v_add_co_u32_e32 v4, vcc, 0x1000, v8
	s_nop 1
	v_addc_co_u32_e32 v5, vcc, 0, v9, vcc
	s_mov_b64 s[8:9], -1
	s_waitcnt vmcnt(3)
	global_store_dword v6, v10, s[2:3]
	s_waitcnt vmcnt(3)
	global_store_dword v6, v11, s[2:3] offset:2048
	s_waitcnt vmcnt(3)
	global_store_dword v[4:5], v12, off
	s_cbranch_execz .LBB735_3
	s_branch .LBB735_17
.LBB735_2:
	s_mov_b64 s[8:9], 0
                                        ; implicit-def: $vgpr2
                                        ; implicit-def: $vgpr8_vgpr9
.LBB735_3:
	s_sub_i32 s10, s10, s14
	v_cmp_gt_u32_e32 vcc, s10, v0
                                        ; implicit-def: $vgpr2_vgpr3_vgpr4_vgpr5
	s_and_saveexec_b64 s[0:1], vcc
	s_cbranch_execz .LBB735_5
; %bb.4:
	v_mov_b32_e32 v1, 0
	s_waitcnt vmcnt(3)
	v_lshl_add_u64 v[2:3], s[16:17], 0, v[0:1]
	v_mad_u64_u32 v[4:5], s[2:3], v2, s12, 0
	v_mov_b32_e32 v2, v5
	v_mad_u64_u32 v[2:3], s[2:3], v3, s12, v[2:3]
	v_mov_b32_e32 v5, v2
	v_lshl_add_u64 v[2:3], v[4:5], 2, s[6:7]
	global_load_dword v2, v[2:3], off
.LBB735_5:
	s_or_b64 exec, exec, s[0:1]
	v_or_b32_e32 v8, 0x200, v0
	v_cmp_gt_u32_e64 s[0:1], s10, v8
	s_and_saveexec_b64 s[2:3], s[0:1]
	s_cbranch_execz .LBB735_7
; %bb.6:
	v_mov_b32_e32 v9, 0
	v_lshl_add_u64 v[8:9], s[16:17], 0, v[8:9]
	v_mad_u64_u32 v[10:11], s[4:5], v8, s12, 0
	v_mov_b32_e32 v8, v11
	v_mad_u64_u32 v[8:9], s[4:5], v9, s12, v[8:9]
	v_mov_b32_e32 v11, v8
	v_lshl_add_u64 v[8:9], v[10:11], 2, s[6:7]
	global_load_dword v3, v[8:9], off
.LBB735_7:
	s_or_b64 exec, exec, s[2:3]
	v_or_b32_e32 v8, 0x400, v0
	v_cmp_gt_u32_e64 s[2:3], s10, v8
	s_and_saveexec_b64 s[4:5], s[2:3]
	s_cbranch_execz .LBB735_9
; %bb.8:
	v_mov_b32_e32 v9, 0
	v_lshl_add_u64 v[8:9], s[16:17], 0, v[8:9]
	v_mad_u64_u32 v[10:11], s[20:21], v8, s12, 0
	v_mov_b32_e32 v4, v11
	v_mad_u64_u32 v[8:9], s[20:21], v9, s12, v[4:5]
	v_mov_b32_e32 v11, v8
	v_lshl_add_u64 v[8:9], v[10:11], 2, s[6:7]
	global_load_dword v4, v[8:9], off
.LBB735_9:
	s_or_b64 exec, exec, s[4:5]
	v_or_b32_e32 v0, 0x600, v0
	v_cmp_gt_u32_e64 s[4:5], s10, v0
	s_and_saveexec_b64 s[10:11], s[4:5]
	s_cbranch_execz .LBB735_11
; %bb.10:
	v_mov_b32_e32 v1, 0
	v_lshl_add_u64 v[0:1], s[16:17], 0, v[0:1]
	v_mad_u64_u32 v[8:9], s[16:17], v0, s12, 0
	v_mov_b32_e32 v0, v9
	v_mad_u64_u32 v[0:1], s[12:13], v1, s12, v[0:1]
	v_mov_b32_e32 v9, v0
	v_lshl_add_u64 v[0:1], v[8:9], 2, s[6:7]
	global_load_dword v5, v[0:1], off
.LBB735_11:
	s_or_b64 exec, exec, s[10:11]
	s_lshl_b64 s[6:7], s[14:15], 2
	s_add_u32 s6, s18, s6
	s_addc_u32 s7, s19, s7
	v_mov_b32_e32 v7, 0
	v_lshl_add_u64 v[8:9], s[6:7], 0, v[6:7]
	s_and_saveexec_b64 s[6:7], vcc
	s_cbranch_execnz .LBB735_20
; %bb.12:
	s_or_b64 exec, exec, s[6:7]
	s_and_saveexec_b64 s[6:7], s[0:1]
	s_cbranch_execnz .LBB735_21
.LBB735_13:
	s_or_b64 exec, exec, s[6:7]
	s_and_saveexec_b64 s[0:1], s[2:3]
	s_cbranch_execnz .LBB735_22
.LBB735_14:
	s_or_b64 exec, exec, s[0:1]
                                        ; implicit-def: $vgpr2
	s_and_saveexec_b64 s[0:1], s[4:5]
	s_cbranch_execz .LBB735_16
.LBB735_15:
	s_waitcnt vmcnt(0)
	v_cndmask_b32_e64 v2, v5, v5, s[4:5]
	s_or_b64 s[8:9], s[8:9], exec
.LBB735_16:
	s_or_b64 exec, exec, s[0:1]
.LBB735_17:
	s_and_saveexec_b64 s[0:1], s[8:9]
	s_cbranch_execnz .LBB735_19
; %bb.18:
	s_endpgm
.LBB735_19:
	v_add_co_u32_e32 v0, vcc, 0x1000, v8
	s_nop 1
	v_addc_co_u32_e32 v1, vcc, 0, v9, vcc
	s_waitcnt vmcnt(0)
	global_store_dword v[0:1], v2, off offset:2048
	s_endpgm
.LBB735_20:
	s_waitcnt vmcnt(0)
	global_store_dword v[8:9], v2, off
	s_or_b64 exec, exec, s[6:7]
	s_and_saveexec_b64 s[6:7], s[0:1]
	s_cbranch_execz .LBB735_13
.LBB735_21:
	s_waitcnt vmcnt(0)
	global_store_dword v[8:9], v3, off offset:2048
	s_or_b64 exec, exec, s[6:7]
	s_and_saveexec_b64 s[0:1], s[2:3]
	s_cbranch_execz .LBB735_14
.LBB735_22:
	v_add_co_u32_e32 v0, vcc, 0x1000, v8
	s_waitcnt vmcnt(0)
	v_cndmask_b32_e64 v2, v4, v4, s[2:3]
	v_addc_co_u32_e32 v1, vcc, 0, v9, vcc
	global_store_dword v[0:1], v2, off
	s_or_b64 exec, exec, s[0:1]
                                        ; implicit-def: $vgpr2
	s_and_saveexec_b64 s[0:1], s[4:5]
	s_cbranch_execnz .LBB735_15
	s_branch .LBB735_16
	.section	.rodata,"a",@progbits
	.p2align	6, 0x0
	.amdhsa_kernel _ZN7rocprim17ROCPRIM_400000_NS6detail17trampoline_kernelINS0_14default_configENS1_25transform_config_selectorIiLb0EEEZNS1_14transform_implILb0ES3_S5_NS0_18transform_iteratorINS0_17counting_iteratorImlEEZNS1_24adjacent_difference_implIS3_Lb1ELb0EPiN6thrust23THRUST_200600_302600_NS16discard_iteratorINSD_11use_defaultEEENSD_5minusIiEEEE10hipError_tPvRmT2_T3_mT4_P12ihipStream_tbEUlmE_iEESB_NS0_8identityIvEEEESJ_SM_SN_mSO_SQ_bEUlT_E_NS1_11comp_targetILNS1_3genE5ELNS1_11target_archE942ELNS1_3gpuE9ELNS1_3repE0EEENS1_30default_config_static_selectorELNS0_4arch9wavefront6targetE1EEEvT1_
		.amdhsa_group_segment_fixed_size 0
		.amdhsa_private_segment_fixed_size 0
		.amdhsa_kernarg_size 312
		.amdhsa_user_sgpr_count 2
		.amdhsa_user_sgpr_dispatch_ptr 0
		.amdhsa_user_sgpr_queue_ptr 0
		.amdhsa_user_sgpr_kernarg_segment_ptr 1
		.amdhsa_user_sgpr_dispatch_id 0
		.amdhsa_user_sgpr_kernarg_preload_length 0
		.amdhsa_user_sgpr_kernarg_preload_offset 0
		.amdhsa_user_sgpr_private_segment_size 0
		.amdhsa_uses_dynamic_stack 0
		.amdhsa_enable_private_segment 0
		.amdhsa_system_sgpr_workgroup_id_x 1
		.amdhsa_system_sgpr_workgroup_id_y 0
		.amdhsa_system_sgpr_workgroup_id_z 0
		.amdhsa_system_sgpr_workgroup_info 0
		.amdhsa_system_vgpr_workitem_id 0
		.amdhsa_next_free_vgpr 13
		.amdhsa_next_free_sgpr 22
		.amdhsa_accum_offset 16
		.amdhsa_reserve_vcc 1
		.amdhsa_float_round_mode_32 0
		.amdhsa_float_round_mode_16_64 0
		.amdhsa_float_denorm_mode_32 3
		.amdhsa_float_denorm_mode_16_64 3
		.amdhsa_dx10_clamp 1
		.amdhsa_ieee_mode 1
		.amdhsa_fp16_overflow 0
		.amdhsa_tg_split 0
		.amdhsa_exception_fp_ieee_invalid_op 0
		.amdhsa_exception_fp_denorm_src 0
		.amdhsa_exception_fp_ieee_div_zero 0
		.amdhsa_exception_fp_ieee_overflow 0
		.amdhsa_exception_fp_ieee_underflow 0
		.amdhsa_exception_fp_ieee_inexact 0
		.amdhsa_exception_int_div_zero 0
	.end_amdhsa_kernel
	.section	.text._ZN7rocprim17ROCPRIM_400000_NS6detail17trampoline_kernelINS0_14default_configENS1_25transform_config_selectorIiLb0EEEZNS1_14transform_implILb0ES3_S5_NS0_18transform_iteratorINS0_17counting_iteratorImlEEZNS1_24adjacent_difference_implIS3_Lb1ELb0EPiN6thrust23THRUST_200600_302600_NS16discard_iteratorINSD_11use_defaultEEENSD_5minusIiEEEE10hipError_tPvRmT2_T3_mT4_P12ihipStream_tbEUlmE_iEESB_NS0_8identityIvEEEESJ_SM_SN_mSO_SQ_bEUlT_E_NS1_11comp_targetILNS1_3genE5ELNS1_11target_archE942ELNS1_3gpuE9ELNS1_3repE0EEENS1_30default_config_static_selectorELNS0_4arch9wavefront6targetE1EEEvT1_,"axG",@progbits,_ZN7rocprim17ROCPRIM_400000_NS6detail17trampoline_kernelINS0_14default_configENS1_25transform_config_selectorIiLb0EEEZNS1_14transform_implILb0ES3_S5_NS0_18transform_iteratorINS0_17counting_iteratorImlEEZNS1_24adjacent_difference_implIS3_Lb1ELb0EPiN6thrust23THRUST_200600_302600_NS16discard_iteratorINSD_11use_defaultEEENSD_5minusIiEEEE10hipError_tPvRmT2_T3_mT4_P12ihipStream_tbEUlmE_iEESB_NS0_8identityIvEEEESJ_SM_SN_mSO_SQ_bEUlT_E_NS1_11comp_targetILNS1_3genE5ELNS1_11target_archE942ELNS1_3gpuE9ELNS1_3repE0EEENS1_30default_config_static_selectorELNS0_4arch9wavefront6targetE1EEEvT1_,comdat
.Lfunc_end735:
	.size	_ZN7rocprim17ROCPRIM_400000_NS6detail17trampoline_kernelINS0_14default_configENS1_25transform_config_selectorIiLb0EEEZNS1_14transform_implILb0ES3_S5_NS0_18transform_iteratorINS0_17counting_iteratorImlEEZNS1_24adjacent_difference_implIS3_Lb1ELb0EPiN6thrust23THRUST_200600_302600_NS16discard_iteratorINSD_11use_defaultEEENSD_5minusIiEEEE10hipError_tPvRmT2_T3_mT4_P12ihipStream_tbEUlmE_iEESB_NS0_8identityIvEEEESJ_SM_SN_mSO_SQ_bEUlT_E_NS1_11comp_targetILNS1_3genE5ELNS1_11target_archE942ELNS1_3gpuE9ELNS1_3repE0EEENS1_30default_config_static_selectorELNS0_4arch9wavefront6targetE1EEEvT1_, .Lfunc_end735-_ZN7rocprim17ROCPRIM_400000_NS6detail17trampoline_kernelINS0_14default_configENS1_25transform_config_selectorIiLb0EEEZNS1_14transform_implILb0ES3_S5_NS0_18transform_iteratorINS0_17counting_iteratorImlEEZNS1_24adjacent_difference_implIS3_Lb1ELb0EPiN6thrust23THRUST_200600_302600_NS16discard_iteratorINSD_11use_defaultEEENSD_5minusIiEEEE10hipError_tPvRmT2_T3_mT4_P12ihipStream_tbEUlmE_iEESB_NS0_8identityIvEEEESJ_SM_SN_mSO_SQ_bEUlT_E_NS1_11comp_targetILNS1_3genE5ELNS1_11target_archE942ELNS1_3gpuE9ELNS1_3repE0EEENS1_30default_config_static_selectorELNS0_4arch9wavefront6targetE1EEEvT1_
                                        ; -- End function
	.section	.AMDGPU.csdata,"",@progbits
; Kernel info:
; codeLenInByte = 840
; NumSgprs: 28
; NumVgprs: 13
; NumAgprs: 0
; TotalNumVgprs: 13
; ScratchSize: 0
; MemoryBound: 0
; FloatMode: 240
; IeeeMode: 1
; LDSByteSize: 0 bytes/workgroup (compile time only)
; SGPRBlocks: 3
; VGPRBlocks: 1
; NumSGPRsForWavesPerEU: 28
; NumVGPRsForWavesPerEU: 13
; AccumOffset: 16
; Occupancy: 8
; WaveLimiterHint : 1
; COMPUTE_PGM_RSRC2:SCRATCH_EN: 0
; COMPUTE_PGM_RSRC2:USER_SGPR: 2
; COMPUTE_PGM_RSRC2:TRAP_HANDLER: 0
; COMPUTE_PGM_RSRC2:TGID_X_EN: 1
; COMPUTE_PGM_RSRC2:TGID_Y_EN: 0
; COMPUTE_PGM_RSRC2:TGID_Z_EN: 0
; COMPUTE_PGM_RSRC2:TIDIG_COMP_CNT: 0
; COMPUTE_PGM_RSRC3_GFX90A:ACCUM_OFFSET: 3
; COMPUTE_PGM_RSRC3_GFX90A:TG_SPLIT: 0
	.section	.text._ZN7rocprim17ROCPRIM_400000_NS6detail17trampoline_kernelINS0_14default_configENS1_25transform_config_selectorIiLb0EEEZNS1_14transform_implILb0ES3_S5_NS0_18transform_iteratorINS0_17counting_iteratorImlEEZNS1_24adjacent_difference_implIS3_Lb1ELb0EPiN6thrust23THRUST_200600_302600_NS16discard_iteratorINSD_11use_defaultEEENSD_5minusIiEEEE10hipError_tPvRmT2_T3_mT4_P12ihipStream_tbEUlmE_iEESB_NS0_8identityIvEEEESJ_SM_SN_mSO_SQ_bEUlT_E_NS1_11comp_targetILNS1_3genE4ELNS1_11target_archE910ELNS1_3gpuE8ELNS1_3repE0EEENS1_30default_config_static_selectorELNS0_4arch9wavefront6targetE1EEEvT1_,"axG",@progbits,_ZN7rocprim17ROCPRIM_400000_NS6detail17trampoline_kernelINS0_14default_configENS1_25transform_config_selectorIiLb0EEEZNS1_14transform_implILb0ES3_S5_NS0_18transform_iteratorINS0_17counting_iteratorImlEEZNS1_24adjacent_difference_implIS3_Lb1ELb0EPiN6thrust23THRUST_200600_302600_NS16discard_iteratorINSD_11use_defaultEEENSD_5minusIiEEEE10hipError_tPvRmT2_T3_mT4_P12ihipStream_tbEUlmE_iEESB_NS0_8identityIvEEEESJ_SM_SN_mSO_SQ_bEUlT_E_NS1_11comp_targetILNS1_3genE4ELNS1_11target_archE910ELNS1_3gpuE8ELNS1_3repE0EEENS1_30default_config_static_selectorELNS0_4arch9wavefront6targetE1EEEvT1_,comdat
	.protected	_ZN7rocprim17ROCPRIM_400000_NS6detail17trampoline_kernelINS0_14default_configENS1_25transform_config_selectorIiLb0EEEZNS1_14transform_implILb0ES3_S5_NS0_18transform_iteratorINS0_17counting_iteratorImlEEZNS1_24adjacent_difference_implIS3_Lb1ELb0EPiN6thrust23THRUST_200600_302600_NS16discard_iteratorINSD_11use_defaultEEENSD_5minusIiEEEE10hipError_tPvRmT2_T3_mT4_P12ihipStream_tbEUlmE_iEESB_NS0_8identityIvEEEESJ_SM_SN_mSO_SQ_bEUlT_E_NS1_11comp_targetILNS1_3genE4ELNS1_11target_archE910ELNS1_3gpuE8ELNS1_3repE0EEENS1_30default_config_static_selectorELNS0_4arch9wavefront6targetE1EEEvT1_ ; -- Begin function _ZN7rocprim17ROCPRIM_400000_NS6detail17trampoline_kernelINS0_14default_configENS1_25transform_config_selectorIiLb0EEEZNS1_14transform_implILb0ES3_S5_NS0_18transform_iteratorINS0_17counting_iteratorImlEEZNS1_24adjacent_difference_implIS3_Lb1ELb0EPiN6thrust23THRUST_200600_302600_NS16discard_iteratorINSD_11use_defaultEEENSD_5minusIiEEEE10hipError_tPvRmT2_T3_mT4_P12ihipStream_tbEUlmE_iEESB_NS0_8identityIvEEEESJ_SM_SN_mSO_SQ_bEUlT_E_NS1_11comp_targetILNS1_3genE4ELNS1_11target_archE910ELNS1_3gpuE8ELNS1_3repE0EEENS1_30default_config_static_selectorELNS0_4arch9wavefront6targetE1EEEvT1_
	.globl	_ZN7rocprim17ROCPRIM_400000_NS6detail17trampoline_kernelINS0_14default_configENS1_25transform_config_selectorIiLb0EEEZNS1_14transform_implILb0ES3_S5_NS0_18transform_iteratorINS0_17counting_iteratorImlEEZNS1_24adjacent_difference_implIS3_Lb1ELb0EPiN6thrust23THRUST_200600_302600_NS16discard_iteratorINSD_11use_defaultEEENSD_5minusIiEEEE10hipError_tPvRmT2_T3_mT4_P12ihipStream_tbEUlmE_iEESB_NS0_8identityIvEEEESJ_SM_SN_mSO_SQ_bEUlT_E_NS1_11comp_targetILNS1_3genE4ELNS1_11target_archE910ELNS1_3gpuE8ELNS1_3repE0EEENS1_30default_config_static_selectorELNS0_4arch9wavefront6targetE1EEEvT1_
	.p2align	8
	.type	_ZN7rocprim17ROCPRIM_400000_NS6detail17trampoline_kernelINS0_14default_configENS1_25transform_config_selectorIiLb0EEEZNS1_14transform_implILb0ES3_S5_NS0_18transform_iteratorINS0_17counting_iteratorImlEEZNS1_24adjacent_difference_implIS3_Lb1ELb0EPiN6thrust23THRUST_200600_302600_NS16discard_iteratorINSD_11use_defaultEEENSD_5minusIiEEEE10hipError_tPvRmT2_T3_mT4_P12ihipStream_tbEUlmE_iEESB_NS0_8identityIvEEEESJ_SM_SN_mSO_SQ_bEUlT_E_NS1_11comp_targetILNS1_3genE4ELNS1_11target_archE910ELNS1_3gpuE8ELNS1_3repE0EEENS1_30default_config_static_selectorELNS0_4arch9wavefront6targetE1EEEvT1_,@function
_ZN7rocprim17ROCPRIM_400000_NS6detail17trampoline_kernelINS0_14default_configENS1_25transform_config_selectorIiLb0EEEZNS1_14transform_implILb0ES3_S5_NS0_18transform_iteratorINS0_17counting_iteratorImlEEZNS1_24adjacent_difference_implIS3_Lb1ELb0EPiN6thrust23THRUST_200600_302600_NS16discard_iteratorINSD_11use_defaultEEENSD_5minusIiEEEE10hipError_tPvRmT2_T3_mT4_P12ihipStream_tbEUlmE_iEESB_NS0_8identityIvEEEESJ_SM_SN_mSO_SQ_bEUlT_E_NS1_11comp_targetILNS1_3genE4ELNS1_11target_archE910ELNS1_3gpuE8ELNS1_3repE0EEENS1_30default_config_static_selectorELNS0_4arch9wavefront6targetE1EEEvT1_: ; @_ZN7rocprim17ROCPRIM_400000_NS6detail17trampoline_kernelINS0_14default_configENS1_25transform_config_selectorIiLb0EEEZNS1_14transform_implILb0ES3_S5_NS0_18transform_iteratorINS0_17counting_iteratorImlEEZNS1_24adjacent_difference_implIS3_Lb1ELb0EPiN6thrust23THRUST_200600_302600_NS16discard_iteratorINSD_11use_defaultEEENSD_5minusIiEEEE10hipError_tPvRmT2_T3_mT4_P12ihipStream_tbEUlmE_iEESB_NS0_8identityIvEEEESJ_SM_SN_mSO_SQ_bEUlT_E_NS1_11comp_targetILNS1_3genE4ELNS1_11target_archE910ELNS1_3gpuE8ELNS1_3repE0EEENS1_30default_config_static_selectorELNS0_4arch9wavefront6targetE1EEEvT1_
; %bb.0:
	.section	.rodata,"a",@progbits
	.p2align	6, 0x0
	.amdhsa_kernel _ZN7rocprim17ROCPRIM_400000_NS6detail17trampoline_kernelINS0_14default_configENS1_25transform_config_selectorIiLb0EEEZNS1_14transform_implILb0ES3_S5_NS0_18transform_iteratorINS0_17counting_iteratorImlEEZNS1_24adjacent_difference_implIS3_Lb1ELb0EPiN6thrust23THRUST_200600_302600_NS16discard_iteratorINSD_11use_defaultEEENSD_5minusIiEEEE10hipError_tPvRmT2_T3_mT4_P12ihipStream_tbEUlmE_iEESB_NS0_8identityIvEEEESJ_SM_SN_mSO_SQ_bEUlT_E_NS1_11comp_targetILNS1_3genE4ELNS1_11target_archE910ELNS1_3gpuE8ELNS1_3repE0EEENS1_30default_config_static_selectorELNS0_4arch9wavefront6targetE1EEEvT1_
		.amdhsa_group_segment_fixed_size 0
		.amdhsa_private_segment_fixed_size 0
		.amdhsa_kernarg_size 56
		.amdhsa_user_sgpr_count 2
		.amdhsa_user_sgpr_dispatch_ptr 0
		.amdhsa_user_sgpr_queue_ptr 0
		.amdhsa_user_sgpr_kernarg_segment_ptr 1
		.amdhsa_user_sgpr_dispatch_id 0
		.amdhsa_user_sgpr_kernarg_preload_length 0
		.amdhsa_user_sgpr_kernarg_preload_offset 0
		.amdhsa_user_sgpr_private_segment_size 0
		.amdhsa_uses_dynamic_stack 0
		.amdhsa_enable_private_segment 0
		.amdhsa_system_sgpr_workgroup_id_x 1
		.amdhsa_system_sgpr_workgroup_id_y 0
		.amdhsa_system_sgpr_workgroup_id_z 0
		.amdhsa_system_sgpr_workgroup_info 0
		.amdhsa_system_vgpr_workitem_id 0
		.amdhsa_next_free_vgpr 1
		.amdhsa_next_free_sgpr 0
		.amdhsa_accum_offset 4
		.amdhsa_reserve_vcc 0
		.amdhsa_float_round_mode_32 0
		.amdhsa_float_round_mode_16_64 0
		.amdhsa_float_denorm_mode_32 3
		.amdhsa_float_denorm_mode_16_64 3
		.amdhsa_dx10_clamp 1
		.amdhsa_ieee_mode 1
		.amdhsa_fp16_overflow 0
		.amdhsa_tg_split 0
		.amdhsa_exception_fp_ieee_invalid_op 0
		.amdhsa_exception_fp_denorm_src 0
		.amdhsa_exception_fp_ieee_div_zero 0
		.amdhsa_exception_fp_ieee_overflow 0
		.amdhsa_exception_fp_ieee_underflow 0
		.amdhsa_exception_fp_ieee_inexact 0
		.amdhsa_exception_int_div_zero 0
	.end_amdhsa_kernel
	.section	.text._ZN7rocprim17ROCPRIM_400000_NS6detail17trampoline_kernelINS0_14default_configENS1_25transform_config_selectorIiLb0EEEZNS1_14transform_implILb0ES3_S5_NS0_18transform_iteratorINS0_17counting_iteratorImlEEZNS1_24adjacent_difference_implIS3_Lb1ELb0EPiN6thrust23THRUST_200600_302600_NS16discard_iteratorINSD_11use_defaultEEENSD_5minusIiEEEE10hipError_tPvRmT2_T3_mT4_P12ihipStream_tbEUlmE_iEESB_NS0_8identityIvEEEESJ_SM_SN_mSO_SQ_bEUlT_E_NS1_11comp_targetILNS1_3genE4ELNS1_11target_archE910ELNS1_3gpuE8ELNS1_3repE0EEENS1_30default_config_static_selectorELNS0_4arch9wavefront6targetE1EEEvT1_,"axG",@progbits,_ZN7rocprim17ROCPRIM_400000_NS6detail17trampoline_kernelINS0_14default_configENS1_25transform_config_selectorIiLb0EEEZNS1_14transform_implILb0ES3_S5_NS0_18transform_iteratorINS0_17counting_iteratorImlEEZNS1_24adjacent_difference_implIS3_Lb1ELb0EPiN6thrust23THRUST_200600_302600_NS16discard_iteratorINSD_11use_defaultEEENSD_5minusIiEEEE10hipError_tPvRmT2_T3_mT4_P12ihipStream_tbEUlmE_iEESB_NS0_8identityIvEEEESJ_SM_SN_mSO_SQ_bEUlT_E_NS1_11comp_targetILNS1_3genE4ELNS1_11target_archE910ELNS1_3gpuE8ELNS1_3repE0EEENS1_30default_config_static_selectorELNS0_4arch9wavefront6targetE1EEEvT1_,comdat
.Lfunc_end736:
	.size	_ZN7rocprim17ROCPRIM_400000_NS6detail17trampoline_kernelINS0_14default_configENS1_25transform_config_selectorIiLb0EEEZNS1_14transform_implILb0ES3_S5_NS0_18transform_iteratorINS0_17counting_iteratorImlEEZNS1_24adjacent_difference_implIS3_Lb1ELb0EPiN6thrust23THRUST_200600_302600_NS16discard_iteratorINSD_11use_defaultEEENSD_5minusIiEEEE10hipError_tPvRmT2_T3_mT4_P12ihipStream_tbEUlmE_iEESB_NS0_8identityIvEEEESJ_SM_SN_mSO_SQ_bEUlT_E_NS1_11comp_targetILNS1_3genE4ELNS1_11target_archE910ELNS1_3gpuE8ELNS1_3repE0EEENS1_30default_config_static_selectorELNS0_4arch9wavefront6targetE1EEEvT1_, .Lfunc_end736-_ZN7rocprim17ROCPRIM_400000_NS6detail17trampoline_kernelINS0_14default_configENS1_25transform_config_selectorIiLb0EEEZNS1_14transform_implILb0ES3_S5_NS0_18transform_iteratorINS0_17counting_iteratorImlEEZNS1_24adjacent_difference_implIS3_Lb1ELb0EPiN6thrust23THRUST_200600_302600_NS16discard_iteratorINSD_11use_defaultEEENSD_5minusIiEEEE10hipError_tPvRmT2_T3_mT4_P12ihipStream_tbEUlmE_iEESB_NS0_8identityIvEEEESJ_SM_SN_mSO_SQ_bEUlT_E_NS1_11comp_targetILNS1_3genE4ELNS1_11target_archE910ELNS1_3gpuE8ELNS1_3repE0EEENS1_30default_config_static_selectorELNS0_4arch9wavefront6targetE1EEEvT1_
                                        ; -- End function
	.section	.AMDGPU.csdata,"",@progbits
; Kernel info:
; codeLenInByte = 0
; NumSgprs: 6
; NumVgprs: 0
; NumAgprs: 0
; TotalNumVgprs: 0
; ScratchSize: 0
; MemoryBound: 0
; FloatMode: 240
; IeeeMode: 1
; LDSByteSize: 0 bytes/workgroup (compile time only)
; SGPRBlocks: 0
; VGPRBlocks: 0
; NumSGPRsForWavesPerEU: 6
; NumVGPRsForWavesPerEU: 1
; AccumOffset: 4
; Occupancy: 8
; WaveLimiterHint : 0
; COMPUTE_PGM_RSRC2:SCRATCH_EN: 0
; COMPUTE_PGM_RSRC2:USER_SGPR: 2
; COMPUTE_PGM_RSRC2:TRAP_HANDLER: 0
; COMPUTE_PGM_RSRC2:TGID_X_EN: 1
; COMPUTE_PGM_RSRC2:TGID_Y_EN: 0
; COMPUTE_PGM_RSRC2:TGID_Z_EN: 0
; COMPUTE_PGM_RSRC2:TIDIG_COMP_CNT: 0
; COMPUTE_PGM_RSRC3_GFX90A:ACCUM_OFFSET: 0
; COMPUTE_PGM_RSRC3_GFX90A:TG_SPLIT: 0
	.section	.text._ZN7rocprim17ROCPRIM_400000_NS6detail17trampoline_kernelINS0_14default_configENS1_25transform_config_selectorIiLb0EEEZNS1_14transform_implILb0ES3_S5_NS0_18transform_iteratorINS0_17counting_iteratorImlEEZNS1_24adjacent_difference_implIS3_Lb1ELb0EPiN6thrust23THRUST_200600_302600_NS16discard_iteratorINSD_11use_defaultEEENSD_5minusIiEEEE10hipError_tPvRmT2_T3_mT4_P12ihipStream_tbEUlmE_iEESB_NS0_8identityIvEEEESJ_SM_SN_mSO_SQ_bEUlT_E_NS1_11comp_targetILNS1_3genE3ELNS1_11target_archE908ELNS1_3gpuE7ELNS1_3repE0EEENS1_30default_config_static_selectorELNS0_4arch9wavefront6targetE1EEEvT1_,"axG",@progbits,_ZN7rocprim17ROCPRIM_400000_NS6detail17trampoline_kernelINS0_14default_configENS1_25transform_config_selectorIiLb0EEEZNS1_14transform_implILb0ES3_S5_NS0_18transform_iteratorINS0_17counting_iteratorImlEEZNS1_24adjacent_difference_implIS3_Lb1ELb0EPiN6thrust23THRUST_200600_302600_NS16discard_iteratorINSD_11use_defaultEEENSD_5minusIiEEEE10hipError_tPvRmT2_T3_mT4_P12ihipStream_tbEUlmE_iEESB_NS0_8identityIvEEEESJ_SM_SN_mSO_SQ_bEUlT_E_NS1_11comp_targetILNS1_3genE3ELNS1_11target_archE908ELNS1_3gpuE7ELNS1_3repE0EEENS1_30default_config_static_selectorELNS0_4arch9wavefront6targetE1EEEvT1_,comdat
	.protected	_ZN7rocprim17ROCPRIM_400000_NS6detail17trampoline_kernelINS0_14default_configENS1_25transform_config_selectorIiLb0EEEZNS1_14transform_implILb0ES3_S5_NS0_18transform_iteratorINS0_17counting_iteratorImlEEZNS1_24adjacent_difference_implIS3_Lb1ELb0EPiN6thrust23THRUST_200600_302600_NS16discard_iteratorINSD_11use_defaultEEENSD_5minusIiEEEE10hipError_tPvRmT2_T3_mT4_P12ihipStream_tbEUlmE_iEESB_NS0_8identityIvEEEESJ_SM_SN_mSO_SQ_bEUlT_E_NS1_11comp_targetILNS1_3genE3ELNS1_11target_archE908ELNS1_3gpuE7ELNS1_3repE0EEENS1_30default_config_static_selectorELNS0_4arch9wavefront6targetE1EEEvT1_ ; -- Begin function _ZN7rocprim17ROCPRIM_400000_NS6detail17trampoline_kernelINS0_14default_configENS1_25transform_config_selectorIiLb0EEEZNS1_14transform_implILb0ES3_S5_NS0_18transform_iteratorINS0_17counting_iteratorImlEEZNS1_24adjacent_difference_implIS3_Lb1ELb0EPiN6thrust23THRUST_200600_302600_NS16discard_iteratorINSD_11use_defaultEEENSD_5minusIiEEEE10hipError_tPvRmT2_T3_mT4_P12ihipStream_tbEUlmE_iEESB_NS0_8identityIvEEEESJ_SM_SN_mSO_SQ_bEUlT_E_NS1_11comp_targetILNS1_3genE3ELNS1_11target_archE908ELNS1_3gpuE7ELNS1_3repE0EEENS1_30default_config_static_selectorELNS0_4arch9wavefront6targetE1EEEvT1_
	.globl	_ZN7rocprim17ROCPRIM_400000_NS6detail17trampoline_kernelINS0_14default_configENS1_25transform_config_selectorIiLb0EEEZNS1_14transform_implILb0ES3_S5_NS0_18transform_iteratorINS0_17counting_iteratorImlEEZNS1_24adjacent_difference_implIS3_Lb1ELb0EPiN6thrust23THRUST_200600_302600_NS16discard_iteratorINSD_11use_defaultEEENSD_5minusIiEEEE10hipError_tPvRmT2_T3_mT4_P12ihipStream_tbEUlmE_iEESB_NS0_8identityIvEEEESJ_SM_SN_mSO_SQ_bEUlT_E_NS1_11comp_targetILNS1_3genE3ELNS1_11target_archE908ELNS1_3gpuE7ELNS1_3repE0EEENS1_30default_config_static_selectorELNS0_4arch9wavefront6targetE1EEEvT1_
	.p2align	8
	.type	_ZN7rocprim17ROCPRIM_400000_NS6detail17trampoline_kernelINS0_14default_configENS1_25transform_config_selectorIiLb0EEEZNS1_14transform_implILb0ES3_S5_NS0_18transform_iteratorINS0_17counting_iteratorImlEEZNS1_24adjacent_difference_implIS3_Lb1ELb0EPiN6thrust23THRUST_200600_302600_NS16discard_iteratorINSD_11use_defaultEEENSD_5minusIiEEEE10hipError_tPvRmT2_T3_mT4_P12ihipStream_tbEUlmE_iEESB_NS0_8identityIvEEEESJ_SM_SN_mSO_SQ_bEUlT_E_NS1_11comp_targetILNS1_3genE3ELNS1_11target_archE908ELNS1_3gpuE7ELNS1_3repE0EEENS1_30default_config_static_selectorELNS0_4arch9wavefront6targetE1EEEvT1_,@function
_ZN7rocprim17ROCPRIM_400000_NS6detail17trampoline_kernelINS0_14default_configENS1_25transform_config_selectorIiLb0EEEZNS1_14transform_implILb0ES3_S5_NS0_18transform_iteratorINS0_17counting_iteratorImlEEZNS1_24adjacent_difference_implIS3_Lb1ELb0EPiN6thrust23THRUST_200600_302600_NS16discard_iteratorINSD_11use_defaultEEENSD_5minusIiEEEE10hipError_tPvRmT2_T3_mT4_P12ihipStream_tbEUlmE_iEESB_NS0_8identityIvEEEESJ_SM_SN_mSO_SQ_bEUlT_E_NS1_11comp_targetILNS1_3genE3ELNS1_11target_archE908ELNS1_3gpuE7ELNS1_3repE0EEENS1_30default_config_static_selectorELNS0_4arch9wavefront6targetE1EEEvT1_: ; @_ZN7rocprim17ROCPRIM_400000_NS6detail17trampoline_kernelINS0_14default_configENS1_25transform_config_selectorIiLb0EEEZNS1_14transform_implILb0ES3_S5_NS0_18transform_iteratorINS0_17counting_iteratorImlEEZNS1_24adjacent_difference_implIS3_Lb1ELb0EPiN6thrust23THRUST_200600_302600_NS16discard_iteratorINSD_11use_defaultEEENSD_5minusIiEEEE10hipError_tPvRmT2_T3_mT4_P12ihipStream_tbEUlmE_iEESB_NS0_8identityIvEEEESJ_SM_SN_mSO_SQ_bEUlT_E_NS1_11comp_targetILNS1_3genE3ELNS1_11target_archE908ELNS1_3gpuE7ELNS1_3repE0EEENS1_30default_config_static_selectorELNS0_4arch9wavefront6targetE1EEEvT1_
; %bb.0:
	.section	.rodata,"a",@progbits
	.p2align	6, 0x0
	.amdhsa_kernel _ZN7rocprim17ROCPRIM_400000_NS6detail17trampoline_kernelINS0_14default_configENS1_25transform_config_selectorIiLb0EEEZNS1_14transform_implILb0ES3_S5_NS0_18transform_iteratorINS0_17counting_iteratorImlEEZNS1_24adjacent_difference_implIS3_Lb1ELb0EPiN6thrust23THRUST_200600_302600_NS16discard_iteratorINSD_11use_defaultEEENSD_5minusIiEEEE10hipError_tPvRmT2_T3_mT4_P12ihipStream_tbEUlmE_iEESB_NS0_8identityIvEEEESJ_SM_SN_mSO_SQ_bEUlT_E_NS1_11comp_targetILNS1_3genE3ELNS1_11target_archE908ELNS1_3gpuE7ELNS1_3repE0EEENS1_30default_config_static_selectorELNS0_4arch9wavefront6targetE1EEEvT1_
		.amdhsa_group_segment_fixed_size 0
		.amdhsa_private_segment_fixed_size 0
		.amdhsa_kernarg_size 56
		.amdhsa_user_sgpr_count 2
		.amdhsa_user_sgpr_dispatch_ptr 0
		.amdhsa_user_sgpr_queue_ptr 0
		.amdhsa_user_sgpr_kernarg_segment_ptr 1
		.amdhsa_user_sgpr_dispatch_id 0
		.amdhsa_user_sgpr_kernarg_preload_length 0
		.amdhsa_user_sgpr_kernarg_preload_offset 0
		.amdhsa_user_sgpr_private_segment_size 0
		.amdhsa_uses_dynamic_stack 0
		.amdhsa_enable_private_segment 0
		.amdhsa_system_sgpr_workgroup_id_x 1
		.amdhsa_system_sgpr_workgroup_id_y 0
		.amdhsa_system_sgpr_workgroup_id_z 0
		.amdhsa_system_sgpr_workgroup_info 0
		.amdhsa_system_vgpr_workitem_id 0
		.amdhsa_next_free_vgpr 1
		.amdhsa_next_free_sgpr 0
		.amdhsa_accum_offset 4
		.amdhsa_reserve_vcc 0
		.amdhsa_float_round_mode_32 0
		.amdhsa_float_round_mode_16_64 0
		.amdhsa_float_denorm_mode_32 3
		.amdhsa_float_denorm_mode_16_64 3
		.amdhsa_dx10_clamp 1
		.amdhsa_ieee_mode 1
		.amdhsa_fp16_overflow 0
		.amdhsa_tg_split 0
		.amdhsa_exception_fp_ieee_invalid_op 0
		.amdhsa_exception_fp_denorm_src 0
		.amdhsa_exception_fp_ieee_div_zero 0
		.amdhsa_exception_fp_ieee_overflow 0
		.amdhsa_exception_fp_ieee_underflow 0
		.amdhsa_exception_fp_ieee_inexact 0
		.amdhsa_exception_int_div_zero 0
	.end_amdhsa_kernel
	.section	.text._ZN7rocprim17ROCPRIM_400000_NS6detail17trampoline_kernelINS0_14default_configENS1_25transform_config_selectorIiLb0EEEZNS1_14transform_implILb0ES3_S5_NS0_18transform_iteratorINS0_17counting_iteratorImlEEZNS1_24adjacent_difference_implIS3_Lb1ELb0EPiN6thrust23THRUST_200600_302600_NS16discard_iteratorINSD_11use_defaultEEENSD_5minusIiEEEE10hipError_tPvRmT2_T3_mT4_P12ihipStream_tbEUlmE_iEESB_NS0_8identityIvEEEESJ_SM_SN_mSO_SQ_bEUlT_E_NS1_11comp_targetILNS1_3genE3ELNS1_11target_archE908ELNS1_3gpuE7ELNS1_3repE0EEENS1_30default_config_static_selectorELNS0_4arch9wavefront6targetE1EEEvT1_,"axG",@progbits,_ZN7rocprim17ROCPRIM_400000_NS6detail17trampoline_kernelINS0_14default_configENS1_25transform_config_selectorIiLb0EEEZNS1_14transform_implILb0ES3_S5_NS0_18transform_iteratorINS0_17counting_iteratorImlEEZNS1_24adjacent_difference_implIS3_Lb1ELb0EPiN6thrust23THRUST_200600_302600_NS16discard_iteratorINSD_11use_defaultEEENSD_5minusIiEEEE10hipError_tPvRmT2_T3_mT4_P12ihipStream_tbEUlmE_iEESB_NS0_8identityIvEEEESJ_SM_SN_mSO_SQ_bEUlT_E_NS1_11comp_targetILNS1_3genE3ELNS1_11target_archE908ELNS1_3gpuE7ELNS1_3repE0EEENS1_30default_config_static_selectorELNS0_4arch9wavefront6targetE1EEEvT1_,comdat
.Lfunc_end737:
	.size	_ZN7rocprim17ROCPRIM_400000_NS6detail17trampoline_kernelINS0_14default_configENS1_25transform_config_selectorIiLb0EEEZNS1_14transform_implILb0ES3_S5_NS0_18transform_iteratorINS0_17counting_iteratorImlEEZNS1_24adjacent_difference_implIS3_Lb1ELb0EPiN6thrust23THRUST_200600_302600_NS16discard_iteratorINSD_11use_defaultEEENSD_5minusIiEEEE10hipError_tPvRmT2_T3_mT4_P12ihipStream_tbEUlmE_iEESB_NS0_8identityIvEEEESJ_SM_SN_mSO_SQ_bEUlT_E_NS1_11comp_targetILNS1_3genE3ELNS1_11target_archE908ELNS1_3gpuE7ELNS1_3repE0EEENS1_30default_config_static_selectorELNS0_4arch9wavefront6targetE1EEEvT1_, .Lfunc_end737-_ZN7rocprim17ROCPRIM_400000_NS6detail17trampoline_kernelINS0_14default_configENS1_25transform_config_selectorIiLb0EEEZNS1_14transform_implILb0ES3_S5_NS0_18transform_iteratorINS0_17counting_iteratorImlEEZNS1_24adjacent_difference_implIS3_Lb1ELb0EPiN6thrust23THRUST_200600_302600_NS16discard_iteratorINSD_11use_defaultEEENSD_5minusIiEEEE10hipError_tPvRmT2_T3_mT4_P12ihipStream_tbEUlmE_iEESB_NS0_8identityIvEEEESJ_SM_SN_mSO_SQ_bEUlT_E_NS1_11comp_targetILNS1_3genE3ELNS1_11target_archE908ELNS1_3gpuE7ELNS1_3repE0EEENS1_30default_config_static_selectorELNS0_4arch9wavefront6targetE1EEEvT1_
                                        ; -- End function
	.section	.AMDGPU.csdata,"",@progbits
; Kernel info:
; codeLenInByte = 0
; NumSgprs: 6
; NumVgprs: 0
; NumAgprs: 0
; TotalNumVgprs: 0
; ScratchSize: 0
; MemoryBound: 0
; FloatMode: 240
; IeeeMode: 1
; LDSByteSize: 0 bytes/workgroup (compile time only)
; SGPRBlocks: 0
; VGPRBlocks: 0
; NumSGPRsForWavesPerEU: 6
; NumVGPRsForWavesPerEU: 1
; AccumOffset: 4
; Occupancy: 8
; WaveLimiterHint : 0
; COMPUTE_PGM_RSRC2:SCRATCH_EN: 0
; COMPUTE_PGM_RSRC2:USER_SGPR: 2
; COMPUTE_PGM_RSRC2:TRAP_HANDLER: 0
; COMPUTE_PGM_RSRC2:TGID_X_EN: 1
; COMPUTE_PGM_RSRC2:TGID_Y_EN: 0
; COMPUTE_PGM_RSRC2:TGID_Z_EN: 0
; COMPUTE_PGM_RSRC2:TIDIG_COMP_CNT: 0
; COMPUTE_PGM_RSRC3_GFX90A:ACCUM_OFFSET: 0
; COMPUTE_PGM_RSRC3_GFX90A:TG_SPLIT: 0
	.section	.text._ZN7rocprim17ROCPRIM_400000_NS6detail17trampoline_kernelINS0_14default_configENS1_25transform_config_selectorIiLb0EEEZNS1_14transform_implILb0ES3_S5_NS0_18transform_iteratorINS0_17counting_iteratorImlEEZNS1_24adjacent_difference_implIS3_Lb1ELb0EPiN6thrust23THRUST_200600_302600_NS16discard_iteratorINSD_11use_defaultEEENSD_5minusIiEEEE10hipError_tPvRmT2_T3_mT4_P12ihipStream_tbEUlmE_iEESB_NS0_8identityIvEEEESJ_SM_SN_mSO_SQ_bEUlT_E_NS1_11comp_targetILNS1_3genE2ELNS1_11target_archE906ELNS1_3gpuE6ELNS1_3repE0EEENS1_30default_config_static_selectorELNS0_4arch9wavefront6targetE1EEEvT1_,"axG",@progbits,_ZN7rocprim17ROCPRIM_400000_NS6detail17trampoline_kernelINS0_14default_configENS1_25transform_config_selectorIiLb0EEEZNS1_14transform_implILb0ES3_S5_NS0_18transform_iteratorINS0_17counting_iteratorImlEEZNS1_24adjacent_difference_implIS3_Lb1ELb0EPiN6thrust23THRUST_200600_302600_NS16discard_iteratorINSD_11use_defaultEEENSD_5minusIiEEEE10hipError_tPvRmT2_T3_mT4_P12ihipStream_tbEUlmE_iEESB_NS0_8identityIvEEEESJ_SM_SN_mSO_SQ_bEUlT_E_NS1_11comp_targetILNS1_3genE2ELNS1_11target_archE906ELNS1_3gpuE6ELNS1_3repE0EEENS1_30default_config_static_selectorELNS0_4arch9wavefront6targetE1EEEvT1_,comdat
	.protected	_ZN7rocprim17ROCPRIM_400000_NS6detail17trampoline_kernelINS0_14default_configENS1_25transform_config_selectorIiLb0EEEZNS1_14transform_implILb0ES3_S5_NS0_18transform_iteratorINS0_17counting_iteratorImlEEZNS1_24adjacent_difference_implIS3_Lb1ELb0EPiN6thrust23THRUST_200600_302600_NS16discard_iteratorINSD_11use_defaultEEENSD_5minusIiEEEE10hipError_tPvRmT2_T3_mT4_P12ihipStream_tbEUlmE_iEESB_NS0_8identityIvEEEESJ_SM_SN_mSO_SQ_bEUlT_E_NS1_11comp_targetILNS1_3genE2ELNS1_11target_archE906ELNS1_3gpuE6ELNS1_3repE0EEENS1_30default_config_static_selectorELNS0_4arch9wavefront6targetE1EEEvT1_ ; -- Begin function _ZN7rocprim17ROCPRIM_400000_NS6detail17trampoline_kernelINS0_14default_configENS1_25transform_config_selectorIiLb0EEEZNS1_14transform_implILb0ES3_S5_NS0_18transform_iteratorINS0_17counting_iteratorImlEEZNS1_24adjacent_difference_implIS3_Lb1ELb0EPiN6thrust23THRUST_200600_302600_NS16discard_iteratorINSD_11use_defaultEEENSD_5minusIiEEEE10hipError_tPvRmT2_T3_mT4_P12ihipStream_tbEUlmE_iEESB_NS0_8identityIvEEEESJ_SM_SN_mSO_SQ_bEUlT_E_NS1_11comp_targetILNS1_3genE2ELNS1_11target_archE906ELNS1_3gpuE6ELNS1_3repE0EEENS1_30default_config_static_selectorELNS0_4arch9wavefront6targetE1EEEvT1_
	.globl	_ZN7rocprim17ROCPRIM_400000_NS6detail17trampoline_kernelINS0_14default_configENS1_25transform_config_selectorIiLb0EEEZNS1_14transform_implILb0ES3_S5_NS0_18transform_iteratorINS0_17counting_iteratorImlEEZNS1_24adjacent_difference_implIS3_Lb1ELb0EPiN6thrust23THRUST_200600_302600_NS16discard_iteratorINSD_11use_defaultEEENSD_5minusIiEEEE10hipError_tPvRmT2_T3_mT4_P12ihipStream_tbEUlmE_iEESB_NS0_8identityIvEEEESJ_SM_SN_mSO_SQ_bEUlT_E_NS1_11comp_targetILNS1_3genE2ELNS1_11target_archE906ELNS1_3gpuE6ELNS1_3repE0EEENS1_30default_config_static_selectorELNS0_4arch9wavefront6targetE1EEEvT1_
	.p2align	8
	.type	_ZN7rocprim17ROCPRIM_400000_NS6detail17trampoline_kernelINS0_14default_configENS1_25transform_config_selectorIiLb0EEEZNS1_14transform_implILb0ES3_S5_NS0_18transform_iteratorINS0_17counting_iteratorImlEEZNS1_24adjacent_difference_implIS3_Lb1ELb0EPiN6thrust23THRUST_200600_302600_NS16discard_iteratorINSD_11use_defaultEEENSD_5minusIiEEEE10hipError_tPvRmT2_T3_mT4_P12ihipStream_tbEUlmE_iEESB_NS0_8identityIvEEEESJ_SM_SN_mSO_SQ_bEUlT_E_NS1_11comp_targetILNS1_3genE2ELNS1_11target_archE906ELNS1_3gpuE6ELNS1_3repE0EEENS1_30default_config_static_selectorELNS0_4arch9wavefront6targetE1EEEvT1_,@function
_ZN7rocprim17ROCPRIM_400000_NS6detail17trampoline_kernelINS0_14default_configENS1_25transform_config_selectorIiLb0EEEZNS1_14transform_implILb0ES3_S5_NS0_18transform_iteratorINS0_17counting_iteratorImlEEZNS1_24adjacent_difference_implIS3_Lb1ELb0EPiN6thrust23THRUST_200600_302600_NS16discard_iteratorINSD_11use_defaultEEENSD_5minusIiEEEE10hipError_tPvRmT2_T3_mT4_P12ihipStream_tbEUlmE_iEESB_NS0_8identityIvEEEESJ_SM_SN_mSO_SQ_bEUlT_E_NS1_11comp_targetILNS1_3genE2ELNS1_11target_archE906ELNS1_3gpuE6ELNS1_3repE0EEENS1_30default_config_static_selectorELNS0_4arch9wavefront6targetE1EEEvT1_: ; @_ZN7rocprim17ROCPRIM_400000_NS6detail17trampoline_kernelINS0_14default_configENS1_25transform_config_selectorIiLb0EEEZNS1_14transform_implILb0ES3_S5_NS0_18transform_iteratorINS0_17counting_iteratorImlEEZNS1_24adjacent_difference_implIS3_Lb1ELb0EPiN6thrust23THRUST_200600_302600_NS16discard_iteratorINSD_11use_defaultEEENSD_5minusIiEEEE10hipError_tPvRmT2_T3_mT4_P12ihipStream_tbEUlmE_iEESB_NS0_8identityIvEEEESJ_SM_SN_mSO_SQ_bEUlT_E_NS1_11comp_targetILNS1_3genE2ELNS1_11target_archE906ELNS1_3gpuE6ELNS1_3repE0EEENS1_30default_config_static_selectorELNS0_4arch9wavefront6targetE1EEEvT1_
; %bb.0:
	.section	.rodata,"a",@progbits
	.p2align	6, 0x0
	.amdhsa_kernel _ZN7rocprim17ROCPRIM_400000_NS6detail17trampoline_kernelINS0_14default_configENS1_25transform_config_selectorIiLb0EEEZNS1_14transform_implILb0ES3_S5_NS0_18transform_iteratorINS0_17counting_iteratorImlEEZNS1_24adjacent_difference_implIS3_Lb1ELb0EPiN6thrust23THRUST_200600_302600_NS16discard_iteratorINSD_11use_defaultEEENSD_5minusIiEEEE10hipError_tPvRmT2_T3_mT4_P12ihipStream_tbEUlmE_iEESB_NS0_8identityIvEEEESJ_SM_SN_mSO_SQ_bEUlT_E_NS1_11comp_targetILNS1_3genE2ELNS1_11target_archE906ELNS1_3gpuE6ELNS1_3repE0EEENS1_30default_config_static_selectorELNS0_4arch9wavefront6targetE1EEEvT1_
		.amdhsa_group_segment_fixed_size 0
		.amdhsa_private_segment_fixed_size 0
		.amdhsa_kernarg_size 56
		.amdhsa_user_sgpr_count 2
		.amdhsa_user_sgpr_dispatch_ptr 0
		.amdhsa_user_sgpr_queue_ptr 0
		.amdhsa_user_sgpr_kernarg_segment_ptr 1
		.amdhsa_user_sgpr_dispatch_id 0
		.amdhsa_user_sgpr_kernarg_preload_length 0
		.amdhsa_user_sgpr_kernarg_preload_offset 0
		.amdhsa_user_sgpr_private_segment_size 0
		.amdhsa_uses_dynamic_stack 0
		.amdhsa_enable_private_segment 0
		.amdhsa_system_sgpr_workgroup_id_x 1
		.amdhsa_system_sgpr_workgroup_id_y 0
		.amdhsa_system_sgpr_workgroup_id_z 0
		.amdhsa_system_sgpr_workgroup_info 0
		.amdhsa_system_vgpr_workitem_id 0
		.amdhsa_next_free_vgpr 1
		.amdhsa_next_free_sgpr 0
		.amdhsa_accum_offset 4
		.amdhsa_reserve_vcc 0
		.amdhsa_float_round_mode_32 0
		.amdhsa_float_round_mode_16_64 0
		.amdhsa_float_denorm_mode_32 3
		.amdhsa_float_denorm_mode_16_64 3
		.amdhsa_dx10_clamp 1
		.amdhsa_ieee_mode 1
		.amdhsa_fp16_overflow 0
		.amdhsa_tg_split 0
		.amdhsa_exception_fp_ieee_invalid_op 0
		.amdhsa_exception_fp_denorm_src 0
		.amdhsa_exception_fp_ieee_div_zero 0
		.amdhsa_exception_fp_ieee_overflow 0
		.amdhsa_exception_fp_ieee_underflow 0
		.amdhsa_exception_fp_ieee_inexact 0
		.amdhsa_exception_int_div_zero 0
	.end_amdhsa_kernel
	.section	.text._ZN7rocprim17ROCPRIM_400000_NS6detail17trampoline_kernelINS0_14default_configENS1_25transform_config_selectorIiLb0EEEZNS1_14transform_implILb0ES3_S5_NS0_18transform_iteratorINS0_17counting_iteratorImlEEZNS1_24adjacent_difference_implIS3_Lb1ELb0EPiN6thrust23THRUST_200600_302600_NS16discard_iteratorINSD_11use_defaultEEENSD_5minusIiEEEE10hipError_tPvRmT2_T3_mT4_P12ihipStream_tbEUlmE_iEESB_NS0_8identityIvEEEESJ_SM_SN_mSO_SQ_bEUlT_E_NS1_11comp_targetILNS1_3genE2ELNS1_11target_archE906ELNS1_3gpuE6ELNS1_3repE0EEENS1_30default_config_static_selectorELNS0_4arch9wavefront6targetE1EEEvT1_,"axG",@progbits,_ZN7rocprim17ROCPRIM_400000_NS6detail17trampoline_kernelINS0_14default_configENS1_25transform_config_selectorIiLb0EEEZNS1_14transform_implILb0ES3_S5_NS0_18transform_iteratorINS0_17counting_iteratorImlEEZNS1_24adjacent_difference_implIS3_Lb1ELb0EPiN6thrust23THRUST_200600_302600_NS16discard_iteratorINSD_11use_defaultEEENSD_5minusIiEEEE10hipError_tPvRmT2_T3_mT4_P12ihipStream_tbEUlmE_iEESB_NS0_8identityIvEEEESJ_SM_SN_mSO_SQ_bEUlT_E_NS1_11comp_targetILNS1_3genE2ELNS1_11target_archE906ELNS1_3gpuE6ELNS1_3repE0EEENS1_30default_config_static_selectorELNS0_4arch9wavefront6targetE1EEEvT1_,comdat
.Lfunc_end738:
	.size	_ZN7rocprim17ROCPRIM_400000_NS6detail17trampoline_kernelINS0_14default_configENS1_25transform_config_selectorIiLb0EEEZNS1_14transform_implILb0ES3_S5_NS0_18transform_iteratorINS0_17counting_iteratorImlEEZNS1_24adjacent_difference_implIS3_Lb1ELb0EPiN6thrust23THRUST_200600_302600_NS16discard_iteratorINSD_11use_defaultEEENSD_5minusIiEEEE10hipError_tPvRmT2_T3_mT4_P12ihipStream_tbEUlmE_iEESB_NS0_8identityIvEEEESJ_SM_SN_mSO_SQ_bEUlT_E_NS1_11comp_targetILNS1_3genE2ELNS1_11target_archE906ELNS1_3gpuE6ELNS1_3repE0EEENS1_30default_config_static_selectorELNS0_4arch9wavefront6targetE1EEEvT1_, .Lfunc_end738-_ZN7rocprim17ROCPRIM_400000_NS6detail17trampoline_kernelINS0_14default_configENS1_25transform_config_selectorIiLb0EEEZNS1_14transform_implILb0ES3_S5_NS0_18transform_iteratorINS0_17counting_iteratorImlEEZNS1_24adjacent_difference_implIS3_Lb1ELb0EPiN6thrust23THRUST_200600_302600_NS16discard_iteratorINSD_11use_defaultEEENSD_5minusIiEEEE10hipError_tPvRmT2_T3_mT4_P12ihipStream_tbEUlmE_iEESB_NS0_8identityIvEEEESJ_SM_SN_mSO_SQ_bEUlT_E_NS1_11comp_targetILNS1_3genE2ELNS1_11target_archE906ELNS1_3gpuE6ELNS1_3repE0EEENS1_30default_config_static_selectorELNS0_4arch9wavefront6targetE1EEEvT1_
                                        ; -- End function
	.section	.AMDGPU.csdata,"",@progbits
; Kernel info:
; codeLenInByte = 0
; NumSgprs: 6
; NumVgprs: 0
; NumAgprs: 0
; TotalNumVgprs: 0
; ScratchSize: 0
; MemoryBound: 0
; FloatMode: 240
; IeeeMode: 1
; LDSByteSize: 0 bytes/workgroup (compile time only)
; SGPRBlocks: 0
; VGPRBlocks: 0
; NumSGPRsForWavesPerEU: 6
; NumVGPRsForWavesPerEU: 1
; AccumOffset: 4
; Occupancy: 8
; WaveLimiterHint : 0
; COMPUTE_PGM_RSRC2:SCRATCH_EN: 0
; COMPUTE_PGM_RSRC2:USER_SGPR: 2
; COMPUTE_PGM_RSRC2:TRAP_HANDLER: 0
; COMPUTE_PGM_RSRC2:TGID_X_EN: 1
; COMPUTE_PGM_RSRC2:TGID_Y_EN: 0
; COMPUTE_PGM_RSRC2:TGID_Z_EN: 0
; COMPUTE_PGM_RSRC2:TIDIG_COMP_CNT: 0
; COMPUTE_PGM_RSRC3_GFX90A:ACCUM_OFFSET: 0
; COMPUTE_PGM_RSRC3_GFX90A:TG_SPLIT: 0
	.section	.text._ZN7rocprim17ROCPRIM_400000_NS6detail17trampoline_kernelINS0_14default_configENS1_25transform_config_selectorIiLb0EEEZNS1_14transform_implILb0ES3_S5_NS0_18transform_iteratorINS0_17counting_iteratorImlEEZNS1_24adjacent_difference_implIS3_Lb1ELb0EPiN6thrust23THRUST_200600_302600_NS16discard_iteratorINSD_11use_defaultEEENSD_5minusIiEEEE10hipError_tPvRmT2_T3_mT4_P12ihipStream_tbEUlmE_iEESB_NS0_8identityIvEEEESJ_SM_SN_mSO_SQ_bEUlT_E_NS1_11comp_targetILNS1_3genE10ELNS1_11target_archE1201ELNS1_3gpuE5ELNS1_3repE0EEENS1_30default_config_static_selectorELNS0_4arch9wavefront6targetE1EEEvT1_,"axG",@progbits,_ZN7rocprim17ROCPRIM_400000_NS6detail17trampoline_kernelINS0_14default_configENS1_25transform_config_selectorIiLb0EEEZNS1_14transform_implILb0ES3_S5_NS0_18transform_iteratorINS0_17counting_iteratorImlEEZNS1_24adjacent_difference_implIS3_Lb1ELb0EPiN6thrust23THRUST_200600_302600_NS16discard_iteratorINSD_11use_defaultEEENSD_5minusIiEEEE10hipError_tPvRmT2_T3_mT4_P12ihipStream_tbEUlmE_iEESB_NS0_8identityIvEEEESJ_SM_SN_mSO_SQ_bEUlT_E_NS1_11comp_targetILNS1_3genE10ELNS1_11target_archE1201ELNS1_3gpuE5ELNS1_3repE0EEENS1_30default_config_static_selectorELNS0_4arch9wavefront6targetE1EEEvT1_,comdat
	.protected	_ZN7rocprim17ROCPRIM_400000_NS6detail17trampoline_kernelINS0_14default_configENS1_25transform_config_selectorIiLb0EEEZNS1_14transform_implILb0ES3_S5_NS0_18transform_iteratorINS0_17counting_iteratorImlEEZNS1_24adjacent_difference_implIS3_Lb1ELb0EPiN6thrust23THRUST_200600_302600_NS16discard_iteratorINSD_11use_defaultEEENSD_5minusIiEEEE10hipError_tPvRmT2_T3_mT4_P12ihipStream_tbEUlmE_iEESB_NS0_8identityIvEEEESJ_SM_SN_mSO_SQ_bEUlT_E_NS1_11comp_targetILNS1_3genE10ELNS1_11target_archE1201ELNS1_3gpuE5ELNS1_3repE0EEENS1_30default_config_static_selectorELNS0_4arch9wavefront6targetE1EEEvT1_ ; -- Begin function _ZN7rocprim17ROCPRIM_400000_NS6detail17trampoline_kernelINS0_14default_configENS1_25transform_config_selectorIiLb0EEEZNS1_14transform_implILb0ES3_S5_NS0_18transform_iteratorINS0_17counting_iteratorImlEEZNS1_24adjacent_difference_implIS3_Lb1ELb0EPiN6thrust23THRUST_200600_302600_NS16discard_iteratorINSD_11use_defaultEEENSD_5minusIiEEEE10hipError_tPvRmT2_T3_mT4_P12ihipStream_tbEUlmE_iEESB_NS0_8identityIvEEEESJ_SM_SN_mSO_SQ_bEUlT_E_NS1_11comp_targetILNS1_3genE10ELNS1_11target_archE1201ELNS1_3gpuE5ELNS1_3repE0EEENS1_30default_config_static_selectorELNS0_4arch9wavefront6targetE1EEEvT1_
	.globl	_ZN7rocprim17ROCPRIM_400000_NS6detail17trampoline_kernelINS0_14default_configENS1_25transform_config_selectorIiLb0EEEZNS1_14transform_implILb0ES3_S5_NS0_18transform_iteratorINS0_17counting_iteratorImlEEZNS1_24adjacent_difference_implIS3_Lb1ELb0EPiN6thrust23THRUST_200600_302600_NS16discard_iteratorINSD_11use_defaultEEENSD_5minusIiEEEE10hipError_tPvRmT2_T3_mT4_P12ihipStream_tbEUlmE_iEESB_NS0_8identityIvEEEESJ_SM_SN_mSO_SQ_bEUlT_E_NS1_11comp_targetILNS1_3genE10ELNS1_11target_archE1201ELNS1_3gpuE5ELNS1_3repE0EEENS1_30default_config_static_selectorELNS0_4arch9wavefront6targetE1EEEvT1_
	.p2align	8
	.type	_ZN7rocprim17ROCPRIM_400000_NS6detail17trampoline_kernelINS0_14default_configENS1_25transform_config_selectorIiLb0EEEZNS1_14transform_implILb0ES3_S5_NS0_18transform_iteratorINS0_17counting_iteratorImlEEZNS1_24adjacent_difference_implIS3_Lb1ELb0EPiN6thrust23THRUST_200600_302600_NS16discard_iteratorINSD_11use_defaultEEENSD_5minusIiEEEE10hipError_tPvRmT2_T3_mT4_P12ihipStream_tbEUlmE_iEESB_NS0_8identityIvEEEESJ_SM_SN_mSO_SQ_bEUlT_E_NS1_11comp_targetILNS1_3genE10ELNS1_11target_archE1201ELNS1_3gpuE5ELNS1_3repE0EEENS1_30default_config_static_selectorELNS0_4arch9wavefront6targetE1EEEvT1_,@function
_ZN7rocprim17ROCPRIM_400000_NS6detail17trampoline_kernelINS0_14default_configENS1_25transform_config_selectorIiLb0EEEZNS1_14transform_implILb0ES3_S5_NS0_18transform_iteratorINS0_17counting_iteratorImlEEZNS1_24adjacent_difference_implIS3_Lb1ELb0EPiN6thrust23THRUST_200600_302600_NS16discard_iteratorINSD_11use_defaultEEENSD_5minusIiEEEE10hipError_tPvRmT2_T3_mT4_P12ihipStream_tbEUlmE_iEESB_NS0_8identityIvEEEESJ_SM_SN_mSO_SQ_bEUlT_E_NS1_11comp_targetILNS1_3genE10ELNS1_11target_archE1201ELNS1_3gpuE5ELNS1_3repE0EEENS1_30default_config_static_selectorELNS0_4arch9wavefront6targetE1EEEvT1_: ; @_ZN7rocprim17ROCPRIM_400000_NS6detail17trampoline_kernelINS0_14default_configENS1_25transform_config_selectorIiLb0EEEZNS1_14transform_implILb0ES3_S5_NS0_18transform_iteratorINS0_17counting_iteratorImlEEZNS1_24adjacent_difference_implIS3_Lb1ELb0EPiN6thrust23THRUST_200600_302600_NS16discard_iteratorINSD_11use_defaultEEENSD_5minusIiEEEE10hipError_tPvRmT2_T3_mT4_P12ihipStream_tbEUlmE_iEESB_NS0_8identityIvEEEESJ_SM_SN_mSO_SQ_bEUlT_E_NS1_11comp_targetILNS1_3genE10ELNS1_11target_archE1201ELNS1_3gpuE5ELNS1_3repE0EEENS1_30default_config_static_selectorELNS0_4arch9wavefront6targetE1EEEvT1_
; %bb.0:
	.section	.rodata,"a",@progbits
	.p2align	6, 0x0
	.amdhsa_kernel _ZN7rocprim17ROCPRIM_400000_NS6detail17trampoline_kernelINS0_14default_configENS1_25transform_config_selectorIiLb0EEEZNS1_14transform_implILb0ES3_S5_NS0_18transform_iteratorINS0_17counting_iteratorImlEEZNS1_24adjacent_difference_implIS3_Lb1ELb0EPiN6thrust23THRUST_200600_302600_NS16discard_iteratorINSD_11use_defaultEEENSD_5minusIiEEEE10hipError_tPvRmT2_T3_mT4_P12ihipStream_tbEUlmE_iEESB_NS0_8identityIvEEEESJ_SM_SN_mSO_SQ_bEUlT_E_NS1_11comp_targetILNS1_3genE10ELNS1_11target_archE1201ELNS1_3gpuE5ELNS1_3repE0EEENS1_30default_config_static_selectorELNS0_4arch9wavefront6targetE1EEEvT1_
		.amdhsa_group_segment_fixed_size 0
		.amdhsa_private_segment_fixed_size 0
		.amdhsa_kernarg_size 56
		.amdhsa_user_sgpr_count 2
		.amdhsa_user_sgpr_dispatch_ptr 0
		.amdhsa_user_sgpr_queue_ptr 0
		.amdhsa_user_sgpr_kernarg_segment_ptr 1
		.amdhsa_user_sgpr_dispatch_id 0
		.amdhsa_user_sgpr_kernarg_preload_length 0
		.amdhsa_user_sgpr_kernarg_preload_offset 0
		.amdhsa_user_sgpr_private_segment_size 0
		.amdhsa_uses_dynamic_stack 0
		.amdhsa_enable_private_segment 0
		.amdhsa_system_sgpr_workgroup_id_x 1
		.amdhsa_system_sgpr_workgroup_id_y 0
		.amdhsa_system_sgpr_workgroup_id_z 0
		.amdhsa_system_sgpr_workgroup_info 0
		.amdhsa_system_vgpr_workitem_id 0
		.amdhsa_next_free_vgpr 1
		.amdhsa_next_free_sgpr 0
		.amdhsa_accum_offset 4
		.amdhsa_reserve_vcc 0
		.amdhsa_float_round_mode_32 0
		.amdhsa_float_round_mode_16_64 0
		.amdhsa_float_denorm_mode_32 3
		.amdhsa_float_denorm_mode_16_64 3
		.amdhsa_dx10_clamp 1
		.amdhsa_ieee_mode 1
		.amdhsa_fp16_overflow 0
		.amdhsa_tg_split 0
		.amdhsa_exception_fp_ieee_invalid_op 0
		.amdhsa_exception_fp_denorm_src 0
		.amdhsa_exception_fp_ieee_div_zero 0
		.amdhsa_exception_fp_ieee_overflow 0
		.amdhsa_exception_fp_ieee_underflow 0
		.amdhsa_exception_fp_ieee_inexact 0
		.amdhsa_exception_int_div_zero 0
	.end_amdhsa_kernel
	.section	.text._ZN7rocprim17ROCPRIM_400000_NS6detail17trampoline_kernelINS0_14default_configENS1_25transform_config_selectorIiLb0EEEZNS1_14transform_implILb0ES3_S5_NS0_18transform_iteratorINS0_17counting_iteratorImlEEZNS1_24adjacent_difference_implIS3_Lb1ELb0EPiN6thrust23THRUST_200600_302600_NS16discard_iteratorINSD_11use_defaultEEENSD_5minusIiEEEE10hipError_tPvRmT2_T3_mT4_P12ihipStream_tbEUlmE_iEESB_NS0_8identityIvEEEESJ_SM_SN_mSO_SQ_bEUlT_E_NS1_11comp_targetILNS1_3genE10ELNS1_11target_archE1201ELNS1_3gpuE5ELNS1_3repE0EEENS1_30default_config_static_selectorELNS0_4arch9wavefront6targetE1EEEvT1_,"axG",@progbits,_ZN7rocprim17ROCPRIM_400000_NS6detail17trampoline_kernelINS0_14default_configENS1_25transform_config_selectorIiLb0EEEZNS1_14transform_implILb0ES3_S5_NS0_18transform_iteratorINS0_17counting_iteratorImlEEZNS1_24adjacent_difference_implIS3_Lb1ELb0EPiN6thrust23THRUST_200600_302600_NS16discard_iteratorINSD_11use_defaultEEENSD_5minusIiEEEE10hipError_tPvRmT2_T3_mT4_P12ihipStream_tbEUlmE_iEESB_NS0_8identityIvEEEESJ_SM_SN_mSO_SQ_bEUlT_E_NS1_11comp_targetILNS1_3genE10ELNS1_11target_archE1201ELNS1_3gpuE5ELNS1_3repE0EEENS1_30default_config_static_selectorELNS0_4arch9wavefront6targetE1EEEvT1_,comdat
.Lfunc_end739:
	.size	_ZN7rocprim17ROCPRIM_400000_NS6detail17trampoline_kernelINS0_14default_configENS1_25transform_config_selectorIiLb0EEEZNS1_14transform_implILb0ES3_S5_NS0_18transform_iteratorINS0_17counting_iteratorImlEEZNS1_24adjacent_difference_implIS3_Lb1ELb0EPiN6thrust23THRUST_200600_302600_NS16discard_iteratorINSD_11use_defaultEEENSD_5minusIiEEEE10hipError_tPvRmT2_T3_mT4_P12ihipStream_tbEUlmE_iEESB_NS0_8identityIvEEEESJ_SM_SN_mSO_SQ_bEUlT_E_NS1_11comp_targetILNS1_3genE10ELNS1_11target_archE1201ELNS1_3gpuE5ELNS1_3repE0EEENS1_30default_config_static_selectorELNS0_4arch9wavefront6targetE1EEEvT1_, .Lfunc_end739-_ZN7rocprim17ROCPRIM_400000_NS6detail17trampoline_kernelINS0_14default_configENS1_25transform_config_selectorIiLb0EEEZNS1_14transform_implILb0ES3_S5_NS0_18transform_iteratorINS0_17counting_iteratorImlEEZNS1_24adjacent_difference_implIS3_Lb1ELb0EPiN6thrust23THRUST_200600_302600_NS16discard_iteratorINSD_11use_defaultEEENSD_5minusIiEEEE10hipError_tPvRmT2_T3_mT4_P12ihipStream_tbEUlmE_iEESB_NS0_8identityIvEEEESJ_SM_SN_mSO_SQ_bEUlT_E_NS1_11comp_targetILNS1_3genE10ELNS1_11target_archE1201ELNS1_3gpuE5ELNS1_3repE0EEENS1_30default_config_static_selectorELNS0_4arch9wavefront6targetE1EEEvT1_
                                        ; -- End function
	.section	.AMDGPU.csdata,"",@progbits
; Kernel info:
; codeLenInByte = 0
; NumSgprs: 6
; NumVgprs: 0
; NumAgprs: 0
; TotalNumVgprs: 0
; ScratchSize: 0
; MemoryBound: 0
; FloatMode: 240
; IeeeMode: 1
; LDSByteSize: 0 bytes/workgroup (compile time only)
; SGPRBlocks: 0
; VGPRBlocks: 0
; NumSGPRsForWavesPerEU: 6
; NumVGPRsForWavesPerEU: 1
; AccumOffset: 4
; Occupancy: 8
; WaveLimiterHint : 0
; COMPUTE_PGM_RSRC2:SCRATCH_EN: 0
; COMPUTE_PGM_RSRC2:USER_SGPR: 2
; COMPUTE_PGM_RSRC2:TRAP_HANDLER: 0
; COMPUTE_PGM_RSRC2:TGID_X_EN: 1
; COMPUTE_PGM_RSRC2:TGID_Y_EN: 0
; COMPUTE_PGM_RSRC2:TGID_Z_EN: 0
; COMPUTE_PGM_RSRC2:TIDIG_COMP_CNT: 0
; COMPUTE_PGM_RSRC3_GFX90A:ACCUM_OFFSET: 0
; COMPUTE_PGM_RSRC3_GFX90A:TG_SPLIT: 0
	.section	.text._ZN7rocprim17ROCPRIM_400000_NS6detail17trampoline_kernelINS0_14default_configENS1_25transform_config_selectorIiLb0EEEZNS1_14transform_implILb0ES3_S5_NS0_18transform_iteratorINS0_17counting_iteratorImlEEZNS1_24adjacent_difference_implIS3_Lb1ELb0EPiN6thrust23THRUST_200600_302600_NS16discard_iteratorINSD_11use_defaultEEENSD_5minusIiEEEE10hipError_tPvRmT2_T3_mT4_P12ihipStream_tbEUlmE_iEESB_NS0_8identityIvEEEESJ_SM_SN_mSO_SQ_bEUlT_E_NS1_11comp_targetILNS1_3genE10ELNS1_11target_archE1200ELNS1_3gpuE4ELNS1_3repE0EEENS1_30default_config_static_selectorELNS0_4arch9wavefront6targetE1EEEvT1_,"axG",@progbits,_ZN7rocprim17ROCPRIM_400000_NS6detail17trampoline_kernelINS0_14default_configENS1_25transform_config_selectorIiLb0EEEZNS1_14transform_implILb0ES3_S5_NS0_18transform_iteratorINS0_17counting_iteratorImlEEZNS1_24adjacent_difference_implIS3_Lb1ELb0EPiN6thrust23THRUST_200600_302600_NS16discard_iteratorINSD_11use_defaultEEENSD_5minusIiEEEE10hipError_tPvRmT2_T3_mT4_P12ihipStream_tbEUlmE_iEESB_NS0_8identityIvEEEESJ_SM_SN_mSO_SQ_bEUlT_E_NS1_11comp_targetILNS1_3genE10ELNS1_11target_archE1200ELNS1_3gpuE4ELNS1_3repE0EEENS1_30default_config_static_selectorELNS0_4arch9wavefront6targetE1EEEvT1_,comdat
	.protected	_ZN7rocprim17ROCPRIM_400000_NS6detail17trampoline_kernelINS0_14default_configENS1_25transform_config_selectorIiLb0EEEZNS1_14transform_implILb0ES3_S5_NS0_18transform_iteratorINS0_17counting_iteratorImlEEZNS1_24adjacent_difference_implIS3_Lb1ELb0EPiN6thrust23THRUST_200600_302600_NS16discard_iteratorINSD_11use_defaultEEENSD_5minusIiEEEE10hipError_tPvRmT2_T3_mT4_P12ihipStream_tbEUlmE_iEESB_NS0_8identityIvEEEESJ_SM_SN_mSO_SQ_bEUlT_E_NS1_11comp_targetILNS1_3genE10ELNS1_11target_archE1200ELNS1_3gpuE4ELNS1_3repE0EEENS1_30default_config_static_selectorELNS0_4arch9wavefront6targetE1EEEvT1_ ; -- Begin function _ZN7rocprim17ROCPRIM_400000_NS6detail17trampoline_kernelINS0_14default_configENS1_25transform_config_selectorIiLb0EEEZNS1_14transform_implILb0ES3_S5_NS0_18transform_iteratorINS0_17counting_iteratorImlEEZNS1_24adjacent_difference_implIS3_Lb1ELb0EPiN6thrust23THRUST_200600_302600_NS16discard_iteratorINSD_11use_defaultEEENSD_5minusIiEEEE10hipError_tPvRmT2_T3_mT4_P12ihipStream_tbEUlmE_iEESB_NS0_8identityIvEEEESJ_SM_SN_mSO_SQ_bEUlT_E_NS1_11comp_targetILNS1_3genE10ELNS1_11target_archE1200ELNS1_3gpuE4ELNS1_3repE0EEENS1_30default_config_static_selectorELNS0_4arch9wavefront6targetE1EEEvT1_
	.globl	_ZN7rocprim17ROCPRIM_400000_NS6detail17trampoline_kernelINS0_14default_configENS1_25transform_config_selectorIiLb0EEEZNS1_14transform_implILb0ES3_S5_NS0_18transform_iteratorINS0_17counting_iteratorImlEEZNS1_24adjacent_difference_implIS3_Lb1ELb0EPiN6thrust23THRUST_200600_302600_NS16discard_iteratorINSD_11use_defaultEEENSD_5minusIiEEEE10hipError_tPvRmT2_T3_mT4_P12ihipStream_tbEUlmE_iEESB_NS0_8identityIvEEEESJ_SM_SN_mSO_SQ_bEUlT_E_NS1_11comp_targetILNS1_3genE10ELNS1_11target_archE1200ELNS1_3gpuE4ELNS1_3repE0EEENS1_30default_config_static_selectorELNS0_4arch9wavefront6targetE1EEEvT1_
	.p2align	8
	.type	_ZN7rocprim17ROCPRIM_400000_NS6detail17trampoline_kernelINS0_14default_configENS1_25transform_config_selectorIiLb0EEEZNS1_14transform_implILb0ES3_S5_NS0_18transform_iteratorINS0_17counting_iteratorImlEEZNS1_24adjacent_difference_implIS3_Lb1ELb0EPiN6thrust23THRUST_200600_302600_NS16discard_iteratorINSD_11use_defaultEEENSD_5minusIiEEEE10hipError_tPvRmT2_T3_mT4_P12ihipStream_tbEUlmE_iEESB_NS0_8identityIvEEEESJ_SM_SN_mSO_SQ_bEUlT_E_NS1_11comp_targetILNS1_3genE10ELNS1_11target_archE1200ELNS1_3gpuE4ELNS1_3repE0EEENS1_30default_config_static_selectorELNS0_4arch9wavefront6targetE1EEEvT1_,@function
_ZN7rocprim17ROCPRIM_400000_NS6detail17trampoline_kernelINS0_14default_configENS1_25transform_config_selectorIiLb0EEEZNS1_14transform_implILb0ES3_S5_NS0_18transform_iteratorINS0_17counting_iteratorImlEEZNS1_24adjacent_difference_implIS3_Lb1ELb0EPiN6thrust23THRUST_200600_302600_NS16discard_iteratorINSD_11use_defaultEEENSD_5minusIiEEEE10hipError_tPvRmT2_T3_mT4_P12ihipStream_tbEUlmE_iEESB_NS0_8identityIvEEEESJ_SM_SN_mSO_SQ_bEUlT_E_NS1_11comp_targetILNS1_3genE10ELNS1_11target_archE1200ELNS1_3gpuE4ELNS1_3repE0EEENS1_30default_config_static_selectorELNS0_4arch9wavefront6targetE1EEEvT1_: ; @_ZN7rocprim17ROCPRIM_400000_NS6detail17trampoline_kernelINS0_14default_configENS1_25transform_config_selectorIiLb0EEEZNS1_14transform_implILb0ES3_S5_NS0_18transform_iteratorINS0_17counting_iteratorImlEEZNS1_24adjacent_difference_implIS3_Lb1ELb0EPiN6thrust23THRUST_200600_302600_NS16discard_iteratorINSD_11use_defaultEEENSD_5minusIiEEEE10hipError_tPvRmT2_T3_mT4_P12ihipStream_tbEUlmE_iEESB_NS0_8identityIvEEEESJ_SM_SN_mSO_SQ_bEUlT_E_NS1_11comp_targetILNS1_3genE10ELNS1_11target_archE1200ELNS1_3gpuE4ELNS1_3repE0EEENS1_30default_config_static_selectorELNS0_4arch9wavefront6targetE1EEEvT1_
; %bb.0:
	.section	.rodata,"a",@progbits
	.p2align	6, 0x0
	.amdhsa_kernel _ZN7rocprim17ROCPRIM_400000_NS6detail17trampoline_kernelINS0_14default_configENS1_25transform_config_selectorIiLb0EEEZNS1_14transform_implILb0ES3_S5_NS0_18transform_iteratorINS0_17counting_iteratorImlEEZNS1_24adjacent_difference_implIS3_Lb1ELb0EPiN6thrust23THRUST_200600_302600_NS16discard_iteratorINSD_11use_defaultEEENSD_5minusIiEEEE10hipError_tPvRmT2_T3_mT4_P12ihipStream_tbEUlmE_iEESB_NS0_8identityIvEEEESJ_SM_SN_mSO_SQ_bEUlT_E_NS1_11comp_targetILNS1_3genE10ELNS1_11target_archE1200ELNS1_3gpuE4ELNS1_3repE0EEENS1_30default_config_static_selectorELNS0_4arch9wavefront6targetE1EEEvT1_
		.amdhsa_group_segment_fixed_size 0
		.amdhsa_private_segment_fixed_size 0
		.amdhsa_kernarg_size 56
		.amdhsa_user_sgpr_count 2
		.amdhsa_user_sgpr_dispatch_ptr 0
		.amdhsa_user_sgpr_queue_ptr 0
		.amdhsa_user_sgpr_kernarg_segment_ptr 1
		.amdhsa_user_sgpr_dispatch_id 0
		.amdhsa_user_sgpr_kernarg_preload_length 0
		.amdhsa_user_sgpr_kernarg_preload_offset 0
		.amdhsa_user_sgpr_private_segment_size 0
		.amdhsa_uses_dynamic_stack 0
		.amdhsa_enable_private_segment 0
		.amdhsa_system_sgpr_workgroup_id_x 1
		.amdhsa_system_sgpr_workgroup_id_y 0
		.amdhsa_system_sgpr_workgroup_id_z 0
		.amdhsa_system_sgpr_workgroup_info 0
		.amdhsa_system_vgpr_workitem_id 0
		.amdhsa_next_free_vgpr 1
		.amdhsa_next_free_sgpr 0
		.amdhsa_accum_offset 4
		.amdhsa_reserve_vcc 0
		.amdhsa_float_round_mode_32 0
		.amdhsa_float_round_mode_16_64 0
		.amdhsa_float_denorm_mode_32 3
		.amdhsa_float_denorm_mode_16_64 3
		.amdhsa_dx10_clamp 1
		.amdhsa_ieee_mode 1
		.amdhsa_fp16_overflow 0
		.amdhsa_tg_split 0
		.amdhsa_exception_fp_ieee_invalid_op 0
		.amdhsa_exception_fp_denorm_src 0
		.amdhsa_exception_fp_ieee_div_zero 0
		.amdhsa_exception_fp_ieee_overflow 0
		.amdhsa_exception_fp_ieee_underflow 0
		.amdhsa_exception_fp_ieee_inexact 0
		.amdhsa_exception_int_div_zero 0
	.end_amdhsa_kernel
	.section	.text._ZN7rocprim17ROCPRIM_400000_NS6detail17trampoline_kernelINS0_14default_configENS1_25transform_config_selectorIiLb0EEEZNS1_14transform_implILb0ES3_S5_NS0_18transform_iteratorINS0_17counting_iteratorImlEEZNS1_24adjacent_difference_implIS3_Lb1ELb0EPiN6thrust23THRUST_200600_302600_NS16discard_iteratorINSD_11use_defaultEEENSD_5minusIiEEEE10hipError_tPvRmT2_T3_mT4_P12ihipStream_tbEUlmE_iEESB_NS0_8identityIvEEEESJ_SM_SN_mSO_SQ_bEUlT_E_NS1_11comp_targetILNS1_3genE10ELNS1_11target_archE1200ELNS1_3gpuE4ELNS1_3repE0EEENS1_30default_config_static_selectorELNS0_4arch9wavefront6targetE1EEEvT1_,"axG",@progbits,_ZN7rocprim17ROCPRIM_400000_NS6detail17trampoline_kernelINS0_14default_configENS1_25transform_config_selectorIiLb0EEEZNS1_14transform_implILb0ES3_S5_NS0_18transform_iteratorINS0_17counting_iteratorImlEEZNS1_24adjacent_difference_implIS3_Lb1ELb0EPiN6thrust23THRUST_200600_302600_NS16discard_iteratorINSD_11use_defaultEEENSD_5minusIiEEEE10hipError_tPvRmT2_T3_mT4_P12ihipStream_tbEUlmE_iEESB_NS0_8identityIvEEEESJ_SM_SN_mSO_SQ_bEUlT_E_NS1_11comp_targetILNS1_3genE10ELNS1_11target_archE1200ELNS1_3gpuE4ELNS1_3repE0EEENS1_30default_config_static_selectorELNS0_4arch9wavefront6targetE1EEEvT1_,comdat
.Lfunc_end740:
	.size	_ZN7rocprim17ROCPRIM_400000_NS6detail17trampoline_kernelINS0_14default_configENS1_25transform_config_selectorIiLb0EEEZNS1_14transform_implILb0ES3_S5_NS0_18transform_iteratorINS0_17counting_iteratorImlEEZNS1_24adjacent_difference_implIS3_Lb1ELb0EPiN6thrust23THRUST_200600_302600_NS16discard_iteratorINSD_11use_defaultEEENSD_5minusIiEEEE10hipError_tPvRmT2_T3_mT4_P12ihipStream_tbEUlmE_iEESB_NS0_8identityIvEEEESJ_SM_SN_mSO_SQ_bEUlT_E_NS1_11comp_targetILNS1_3genE10ELNS1_11target_archE1200ELNS1_3gpuE4ELNS1_3repE0EEENS1_30default_config_static_selectorELNS0_4arch9wavefront6targetE1EEEvT1_, .Lfunc_end740-_ZN7rocprim17ROCPRIM_400000_NS6detail17trampoline_kernelINS0_14default_configENS1_25transform_config_selectorIiLb0EEEZNS1_14transform_implILb0ES3_S5_NS0_18transform_iteratorINS0_17counting_iteratorImlEEZNS1_24adjacent_difference_implIS3_Lb1ELb0EPiN6thrust23THRUST_200600_302600_NS16discard_iteratorINSD_11use_defaultEEENSD_5minusIiEEEE10hipError_tPvRmT2_T3_mT4_P12ihipStream_tbEUlmE_iEESB_NS0_8identityIvEEEESJ_SM_SN_mSO_SQ_bEUlT_E_NS1_11comp_targetILNS1_3genE10ELNS1_11target_archE1200ELNS1_3gpuE4ELNS1_3repE0EEENS1_30default_config_static_selectorELNS0_4arch9wavefront6targetE1EEEvT1_
                                        ; -- End function
	.section	.AMDGPU.csdata,"",@progbits
; Kernel info:
; codeLenInByte = 0
; NumSgprs: 6
; NumVgprs: 0
; NumAgprs: 0
; TotalNumVgprs: 0
; ScratchSize: 0
; MemoryBound: 0
; FloatMode: 240
; IeeeMode: 1
; LDSByteSize: 0 bytes/workgroup (compile time only)
; SGPRBlocks: 0
; VGPRBlocks: 0
; NumSGPRsForWavesPerEU: 6
; NumVGPRsForWavesPerEU: 1
; AccumOffset: 4
; Occupancy: 8
; WaveLimiterHint : 0
; COMPUTE_PGM_RSRC2:SCRATCH_EN: 0
; COMPUTE_PGM_RSRC2:USER_SGPR: 2
; COMPUTE_PGM_RSRC2:TRAP_HANDLER: 0
; COMPUTE_PGM_RSRC2:TGID_X_EN: 1
; COMPUTE_PGM_RSRC2:TGID_Y_EN: 0
; COMPUTE_PGM_RSRC2:TGID_Z_EN: 0
; COMPUTE_PGM_RSRC2:TIDIG_COMP_CNT: 0
; COMPUTE_PGM_RSRC3_GFX90A:ACCUM_OFFSET: 0
; COMPUTE_PGM_RSRC3_GFX90A:TG_SPLIT: 0
	.section	.text._ZN7rocprim17ROCPRIM_400000_NS6detail17trampoline_kernelINS0_14default_configENS1_25transform_config_selectorIiLb0EEEZNS1_14transform_implILb0ES3_S5_NS0_18transform_iteratorINS0_17counting_iteratorImlEEZNS1_24adjacent_difference_implIS3_Lb1ELb0EPiN6thrust23THRUST_200600_302600_NS16discard_iteratorINSD_11use_defaultEEENSD_5minusIiEEEE10hipError_tPvRmT2_T3_mT4_P12ihipStream_tbEUlmE_iEESB_NS0_8identityIvEEEESJ_SM_SN_mSO_SQ_bEUlT_E_NS1_11comp_targetILNS1_3genE9ELNS1_11target_archE1100ELNS1_3gpuE3ELNS1_3repE0EEENS1_30default_config_static_selectorELNS0_4arch9wavefront6targetE1EEEvT1_,"axG",@progbits,_ZN7rocprim17ROCPRIM_400000_NS6detail17trampoline_kernelINS0_14default_configENS1_25transform_config_selectorIiLb0EEEZNS1_14transform_implILb0ES3_S5_NS0_18transform_iteratorINS0_17counting_iteratorImlEEZNS1_24adjacent_difference_implIS3_Lb1ELb0EPiN6thrust23THRUST_200600_302600_NS16discard_iteratorINSD_11use_defaultEEENSD_5minusIiEEEE10hipError_tPvRmT2_T3_mT4_P12ihipStream_tbEUlmE_iEESB_NS0_8identityIvEEEESJ_SM_SN_mSO_SQ_bEUlT_E_NS1_11comp_targetILNS1_3genE9ELNS1_11target_archE1100ELNS1_3gpuE3ELNS1_3repE0EEENS1_30default_config_static_selectorELNS0_4arch9wavefront6targetE1EEEvT1_,comdat
	.protected	_ZN7rocprim17ROCPRIM_400000_NS6detail17trampoline_kernelINS0_14default_configENS1_25transform_config_selectorIiLb0EEEZNS1_14transform_implILb0ES3_S5_NS0_18transform_iteratorINS0_17counting_iteratorImlEEZNS1_24adjacent_difference_implIS3_Lb1ELb0EPiN6thrust23THRUST_200600_302600_NS16discard_iteratorINSD_11use_defaultEEENSD_5minusIiEEEE10hipError_tPvRmT2_T3_mT4_P12ihipStream_tbEUlmE_iEESB_NS0_8identityIvEEEESJ_SM_SN_mSO_SQ_bEUlT_E_NS1_11comp_targetILNS1_3genE9ELNS1_11target_archE1100ELNS1_3gpuE3ELNS1_3repE0EEENS1_30default_config_static_selectorELNS0_4arch9wavefront6targetE1EEEvT1_ ; -- Begin function _ZN7rocprim17ROCPRIM_400000_NS6detail17trampoline_kernelINS0_14default_configENS1_25transform_config_selectorIiLb0EEEZNS1_14transform_implILb0ES3_S5_NS0_18transform_iteratorINS0_17counting_iteratorImlEEZNS1_24adjacent_difference_implIS3_Lb1ELb0EPiN6thrust23THRUST_200600_302600_NS16discard_iteratorINSD_11use_defaultEEENSD_5minusIiEEEE10hipError_tPvRmT2_T3_mT4_P12ihipStream_tbEUlmE_iEESB_NS0_8identityIvEEEESJ_SM_SN_mSO_SQ_bEUlT_E_NS1_11comp_targetILNS1_3genE9ELNS1_11target_archE1100ELNS1_3gpuE3ELNS1_3repE0EEENS1_30default_config_static_selectorELNS0_4arch9wavefront6targetE1EEEvT1_
	.globl	_ZN7rocprim17ROCPRIM_400000_NS6detail17trampoline_kernelINS0_14default_configENS1_25transform_config_selectorIiLb0EEEZNS1_14transform_implILb0ES3_S5_NS0_18transform_iteratorINS0_17counting_iteratorImlEEZNS1_24adjacent_difference_implIS3_Lb1ELb0EPiN6thrust23THRUST_200600_302600_NS16discard_iteratorINSD_11use_defaultEEENSD_5minusIiEEEE10hipError_tPvRmT2_T3_mT4_P12ihipStream_tbEUlmE_iEESB_NS0_8identityIvEEEESJ_SM_SN_mSO_SQ_bEUlT_E_NS1_11comp_targetILNS1_3genE9ELNS1_11target_archE1100ELNS1_3gpuE3ELNS1_3repE0EEENS1_30default_config_static_selectorELNS0_4arch9wavefront6targetE1EEEvT1_
	.p2align	8
	.type	_ZN7rocprim17ROCPRIM_400000_NS6detail17trampoline_kernelINS0_14default_configENS1_25transform_config_selectorIiLb0EEEZNS1_14transform_implILb0ES3_S5_NS0_18transform_iteratorINS0_17counting_iteratorImlEEZNS1_24adjacent_difference_implIS3_Lb1ELb0EPiN6thrust23THRUST_200600_302600_NS16discard_iteratorINSD_11use_defaultEEENSD_5minusIiEEEE10hipError_tPvRmT2_T3_mT4_P12ihipStream_tbEUlmE_iEESB_NS0_8identityIvEEEESJ_SM_SN_mSO_SQ_bEUlT_E_NS1_11comp_targetILNS1_3genE9ELNS1_11target_archE1100ELNS1_3gpuE3ELNS1_3repE0EEENS1_30default_config_static_selectorELNS0_4arch9wavefront6targetE1EEEvT1_,@function
_ZN7rocprim17ROCPRIM_400000_NS6detail17trampoline_kernelINS0_14default_configENS1_25transform_config_selectorIiLb0EEEZNS1_14transform_implILb0ES3_S5_NS0_18transform_iteratorINS0_17counting_iteratorImlEEZNS1_24adjacent_difference_implIS3_Lb1ELb0EPiN6thrust23THRUST_200600_302600_NS16discard_iteratorINSD_11use_defaultEEENSD_5minusIiEEEE10hipError_tPvRmT2_T3_mT4_P12ihipStream_tbEUlmE_iEESB_NS0_8identityIvEEEESJ_SM_SN_mSO_SQ_bEUlT_E_NS1_11comp_targetILNS1_3genE9ELNS1_11target_archE1100ELNS1_3gpuE3ELNS1_3repE0EEENS1_30default_config_static_selectorELNS0_4arch9wavefront6targetE1EEEvT1_: ; @_ZN7rocprim17ROCPRIM_400000_NS6detail17trampoline_kernelINS0_14default_configENS1_25transform_config_selectorIiLb0EEEZNS1_14transform_implILb0ES3_S5_NS0_18transform_iteratorINS0_17counting_iteratorImlEEZNS1_24adjacent_difference_implIS3_Lb1ELb0EPiN6thrust23THRUST_200600_302600_NS16discard_iteratorINSD_11use_defaultEEENSD_5minusIiEEEE10hipError_tPvRmT2_T3_mT4_P12ihipStream_tbEUlmE_iEESB_NS0_8identityIvEEEESJ_SM_SN_mSO_SQ_bEUlT_E_NS1_11comp_targetILNS1_3genE9ELNS1_11target_archE1100ELNS1_3gpuE3ELNS1_3repE0EEENS1_30default_config_static_selectorELNS0_4arch9wavefront6targetE1EEEvT1_
; %bb.0:
	.section	.rodata,"a",@progbits
	.p2align	6, 0x0
	.amdhsa_kernel _ZN7rocprim17ROCPRIM_400000_NS6detail17trampoline_kernelINS0_14default_configENS1_25transform_config_selectorIiLb0EEEZNS1_14transform_implILb0ES3_S5_NS0_18transform_iteratorINS0_17counting_iteratorImlEEZNS1_24adjacent_difference_implIS3_Lb1ELb0EPiN6thrust23THRUST_200600_302600_NS16discard_iteratorINSD_11use_defaultEEENSD_5minusIiEEEE10hipError_tPvRmT2_T3_mT4_P12ihipStream_tbEUlmE_iEESB_NS0_8identityIvEEEESJ_SM_SN_mSO_SQ_bEUlT_E_NS1_11comp_targetILNS1_3genE9ELNS1_11target_archE1100ELNS1_3gpuE3ELNS1_3repE0EEENS1_30default_config_static_selectorELNS0_4arch9wavefront6targetE1EEEvT1_
		.amdhsa_group_segment_fixed_size 0
		.amdhsa_private_segment_fixed_size 0
		.amdhsa_kernarg_size 56
		.amdhsa_user_sgpr_count 2
		.amdhsa_user_sgpr_dispatch_ptr 0
		.amdhsa_user_sgpr_queue_ptr 0
		.amdhsa_user_sgpr_kernarg_segment_ptr 1
		.amdhsa_user_sgpr_dispatch_id 0
		.amdhsa_user_sgpr_kernarg_preload_length 0
		.amdhsa_user_sgpr_kernarg_preload_offset 0
		.amdhsa_user_sgpr_private_segment_size 0
		.amdhsa_uses_dynamic_stack 0
		.amdhsa_enable_private_segment 0
		.amdhsa_system_sgpr_workgroup_id_x 1
		.amdhsa_system_sgpr_workgroup_id_y 0
		.amdhsa_system_sgpr_workgroup_id_z 0
		.amdhsa_system_sgpr_workgroup_info 0
		.amdhsa_system_vgpr_workitem_id 0
		.amdhsa_next_free_vgpr 1
		.amdhsa_next_free_sgpr 0
		.amdhsa_accum_offset 4
		.amdhsa_reserve_vcc 0
		.amdhsa_float_round_mode_32 0
		.amdhsa_float_round_mode_16_64 0
		.amdhsa_float_denorm_mode_32 3
		.amdhsa_float_denorm_mode_16_64 3
		.amdhsa_dx10_clamp 1
		.amdhsa_ieee_mode 1
		.amdhsa_fp16_overflow 0
		.amdhsa_tg_split 0
		.amdhsa_exception_fp_ieee_invalid_op 0
		.amdhsa_exception_fp_denorm_src 0
		.amdhsa_exception_fp_ieee_div_zero 0
		.amdhsa_exception_fp_ieee_overflow 0
		.amdhsa_exception_fp_ieee_underflow 0
		.amdhsa_exception_fp_ieee_inexact 0
		.amdhsa_exception_int_div_zero 0
	.end_amdhsa_kernel
	.section	.text._ZN7rocprim17ROCPRIM_400000_NS6detail17trampoline_kernelINS0_14default_configENS1_25transform_config_selectorIiLb0EEEZNS1_14transform_implILb0ES3_S5_NS0_18transform_iteratorINS0_17counting_iteratorImlEEZNS1_24adjacent_difference_implIS3_Lb1ELb0EPiN6thrust23THRUST_200600_302600_NS16discard_iteratorINSD_11use_defaultEEENSD_5minusIiEEEE10hipError_tPvRmT2_T3_mT4_P12ihipStream_tbEUlmE_iEESB_NS0_8identityIvEEEESJ_SM_SN_mSO_SQ_bEUlT_E_NS1_11comp_targetILNS1_3genE9ELNS1_11target_archE1100ELNS1_3gpuE3ELNS1_3repE0EEENS1_30default_config_static_selectorELNS0_4arch9wavefront6targetE1EEEvT1_,"axG",@progbits,_ZN7rocprim17ROCPRIM_400000_NS6detail17trampoline_kernelINS0_14default_configENS1_25transform_config_selectorIiLb0EEEZNS1_14transform_implILb0ES3_S5_NS0_18transform_iteratorINS0_17counting_iteratorImlEEZNS1_24adjacent_difference_implIS3_Lb1ELb0EPiN6thrust23THRUST_200600_302600_NS16discard_iteratorINSD_11use_defaultEEENSD_5minusIiEEEE10hipError_tPvRmT2_T3_mT4_P12ihipStream_tbEUlmE_iEESB_NS0_8identityIvEEEESJ_SM_SN_mSO_SQ_bEUlT_E_NS1_11comp_targetILNS1_3genE9ELNS1_11target_archE1100ELNS1_3gpuE3ELNS1_3repE0EEENS1_30default_config_static_selectorELNS0_4arch9wavefront6targetE1EEEvT1_,comdat
.Lfunc_end741:
	.size	_ZN7rocprim17ROCPRIM_400000_NS6detail17trampoline_kernelINS0_14default_configENS1_25transform_config_selectorIiLb0EEEZNS1_14transform_implILb0ES3_S5_NS0_18transform_iteratorINS0_17counting_iteratorImlEEZNS1_24adjacent_difference_implIS3_Lb1ELb0EPiN6thrust23THRUST_200600_302600_NS16discard_iteratorINSD_11use_defaultEEENSD_5minusIiEEEE10hipError_tPvRmT2_T3_mT4_P12ihipStream_tbEUlmE_iEESB_NS0_8identityIvEEEESJ_SM_SN_mSO_SQ_bEUlT_E_NS1_11comp_targetILNS1_3genE9ELNS1_11target_archE1100ELNS1_3gpuE3ELNS1_3repE0EEENS1_30default_config_static_selectorELNS0_4arch9wavefront6targetE1EEEvT1_, .Lfunc_end741-_ZN7rocprim17ROCPRIM_400000_NS6detail17trampoline_kernelINS0_14default_configENS1_25transform_config_selectorIiLb0EEEZNS1_14transform_implILb0ES3_S5_NS0_18transform_iteratorINS0_17counting_iteratorImlEEZNS1_24adjacent_difference_implIS3_Lb1ELb0EPiN6thrust23THRUST_200600_302600_NS16discard_iteratorINSD_11use_defaultEEENSD_5minusIiEEEE10hipError_tPvRmT2_T3_mT4_P12ihipStream_tbEUlmE_iEESB_NS0_8identityIvEEEESJ_SM_SN_mSO_SQ_bEUlT_E_NS1_11comp_targetILNS1_3genE9ELNS1_11target_archE1100ELNS1_3gpuE3ELNS1_3repE0EEENS1_30default_config_static_selectorELNS0_4arch9wavefront6targetE1EEEvT1_
                                        ; -- End function
	.section	.AMDGPU.csdata,"",@progbits
; Kernel info:
; codeLenInByte = 0
; NumSgprs: 6
; NumVgprs: 0
; NumAgprs: 0
; TotalNumVgprs: 0
; ScratchSize: 0
; MemoryBound: 0
; FloatMode: 240
; IeeeMode: 1
; LDSByteSize: 0 bytes/workgroup (compile time only)
; SGPRBlocks: 0
; VGPRBlocks: 0
; NumSGPRsForWavesPerEU: 6
; NumVGPRsForWavesPerEU: 1
; AccumOffset: 4
; Occupancy: 8
; WaveLimiterHint : 0
; COMPUTE_PGM_RSRC2:SCRATCH_EN: 0
; COMPUTE_PGM_RSRC2:USER_SGPR: 2
; COMPUTE_PGM_RSRC2:TRAP_HANDLER: 0
; COMPUTE_PGM_RSRC2:TGID_X_EN: 1
; COMPUTE_PGM_RSRC2:TGID_Y_EN: 0
; COMPUTE_PGM_RSRC2:TGID_Z_EN: 0
; COMPUTE_PGM_RSRC2:TIDIG_COMP_CNT: 0
; COMPUTE_PGM_RSRC3_GFX90A:ACCUM_OFFSET: 0
; COMPUTE_PGM_RSRC3_GFX90A:TG_SPLIT: 0
	.section	.text._ZN7rocprim17ROCPRIM_400000_NS6detail17trampoline_kernelINS0_14default_configENS1_25transform_config_selectorIiLb0EEEZNS1_14transform_implILb0ES3_S5_NS0_18transform_iteratorINS0_17counting_iteratorImlEEZNS1_24adjacent_difference_implIS3_Lb1ELb0EPiN6thrust23THRUST_200600_302600_NS16discard_iteratorINSD_11use_defaultEEENSD_5minusIiEEEE10hipError_tPvRmT2_T3_mT4_P12ihipStream_tbEUlmE_iEESB_NS0_8identityIvEEEESJ_SM_SN_mSO_SQ_bEUlT_E_NS1_11comp_targetILNS1_3genE8ELNS1_11target_archE1030ELNS1_3gpuE2ELNS1_3repE0EEENS1_30default_config_static_selectorELNS0_4arch9wavefront6targetE1EEEvT1_,"axG",@progbits,_ZN7rocprim17ROCPRIM_400000_NS6detail17trampoline_kernelINS0_14default_configENS1_25transform_config_selectorIiLb0EEEZNS1_14transform_implILb0ES3_S5_NS0_18transform_iteratorINS0_17counting_iteratorImlEEZNS1_24adjacent_difference_implIS3_Lb1ELb0EPiN6thrust23THRUST_200600_302600_NS16discard_iteratorINSD_11use_defaultEEENSD_5minusIiEEEE10hipError_tPvRmT2_T3_mT4_P12ihipStream_tbEUlmE_iEESB_NS0_8identityIvEEEESJ_SM_SN_mSO_SQ_bEUlT_E_NS1_11comp_targetILNS1_3genE8ELNS1_11target_archE1030ELNS1_3gpuE2ELNS1_3repE0EEENS1_30default_config_static_selectorELNS0_4arch9wavefront6targetE1EEEvT1_,comdat
	.protected	_ZN7rocprim17ROCPRIM_400000_NS6detail17trampoline_kernelINS0_14default_configENS1_25transform_config_selectorIiLb0EEEZNS1_14transform_implILb0ES3_S5_NS0_18transform_iteratorINS0_17counting_iteratorImlEEZNS1_24adjacent_difference_implIS3_Lb1ELb0EPiN6thrust23THRUST_200600_302600_NS16discard_iteratorINSD_11use_defaultEEENSD_5minusIiEEEE10hipError_tPvRmT2_T3_mT4_P12ihipStream_tbEUlmE_iEESB_NS0_8identityIvEEEESJ_SM_SN_mSO_SQ_bEUlT_E_NS1_11comp_targetILNS1_3genE8ELNS1_11target_archE1030ELNS1_3gpuE2ELNS1_3repE0EEENS1_30default_config_static_selectorELNS0_4arch9wavefront6targetE1EEEvT1_ ; -- Begin function _ZN7rocprim17ROCPRIM_400000_NS6detail17trampoline_kernelINS0_14default_configENS1_25transform_config_selectorIiLb0EEEZNS1_14transform_implILb0ES3_S5_NS0_18transform_iteratorINS0_17counting_iteratorImlEEZNS1_24adjacent_difference_implIS3_Lb1ELb0EPiN6thrust23THRUST_200600_302600_NS16discard_iteratorINSD_11use_defaultEEENSD_5minusIiEEEE10hipError_tPvRmT2_T3_mT4_P12ihipStream_tbEUlmE_iEESB_NS0_8identityIvEEEESJ_SM_SN_mSO_SQ_bEUlT_E_NS1_11comp_targetILNS1_3genE8ELNS1_11target_archE1030ELNS1_3gpuE2ELNS1_3repE0EEENS1_30default_config_static_selectorELNS0_4arch9wavefront6targetE1EEEvT1_
	.globl	_ZN7rocprim17ROCPRIM_400000_NS6detail17trampoline_kernelINS0_14default_configENS1_25transform_config_selectorIiLb0EEEZNS1_14transform_implILb0ES3_S5_NS0_18transform_iteratorINS0_17counting_iteratorImlEEZNS1_24adjacent_difference_implIS3_Lb1ELb0EPiN6thrust23THRUST_200600_302600_NS16discard_iteratorINSD_11use_defaultEEENSD_5minusIiEEEE10hipError_tPvRmT2_T3_mT4_P12ihipStream_tbEUlmE_iEESB_NS0_8identityIvEEEESJ_SM_SN_mSO_SQ_bEUlT_E_NS1_11comp_targetILNS1_3genE8ELNS1_11target_archE1030ELNS1_3gpuE2ELNS1_3repE0EEENS1_30default_config_static_selectorELNS0_4arch9wavefront6targetE1EEEvT1_
	.p2align	8
	.type	_ZN7rocprim17ROCPRIM_400000_NS6detail17trampoline_kernelINS0_14default_configENS1_25transform_config_selectorIiLb0EEEZNS1_14transform_implILb0ES3_S5_NS0_18transform_iteratorINS0_17counting_iteratorImlEEZNS1_24adjacent_difference_implIS3_Lb1ELb0EPiN6thrust23THRUST_200600_302600_NS16discard_iteratorINSD_11use_defaultEEENSD_5minusIiEEEE10hipError_tPvRmT2_T3_mT4_P12ihipStream_tbEUlmE_iEESB_NS0_8identityIvEEEESJ_SM_SN_mSO_SQ_bEUlT_E_NS1_11comp_targetILNS1_3genE8ELNS1_11target_archE1030ELNS1_3gpuE2ELNS1_3repE0EEENS1_30default_config_static_selectorELNS0_4arch9wavefront6targetE1EEEvT1_,@function
_ZN7rocprim17ROCPRIM_400000_NS6detail17trampoline_kernelINS0_14default_configENS1_25transform_config_selectorIiLb0EEEZNS1_14transform_implILb0ES3_S5_NS0_18transform_iteratorINS0_17counting_iteratorImlEEZNS1_24adjacent_difference_implIS3_Lb1ELb0EPiN6thrust23THRUST_200600_302600_NS16discard_iteratorINSD_11use_defaultEEENSD_5minusIiEEEE10hipError_tPvRmT2_T3_mT4_P12ihipStream_tbEUlmE_iEESB_NS0_8identityIvEEEESJ_SM_SN_mSO_SQ_bEUlT_E_NS1_11comp_targetILNS1_3genE8ELNS1_11target_archE1030ELNS1_3gpuE2ELNS1_3repE0EEENS1_30default_config_static_selectorELNS0_4arch9wavefront6targetE1EEEvT1_: ; @_ZN7rocprim17ROCPRIM_400000_NS6detail17trampoline_kernelINS0_14default_configENS1_25transform_config_selectorIiLb0EEEZNS1_14transform_implILb0ES3_S5_NS0_18transform_iteratorINS0_17counting_iteratorImlEEZNS1_24adjacent_difference_implIS3_Lb1ELb0EPiN6thrust23THRUST_200600_302600_NS16discard_iteratorINSD_11use_defaultEEENSD_5minusIiEEEE10hipError_tPvRmT2_T3_mT4_P12ihipStream_tbEUlmE_iEESB_NS0_8identityIvEEEESJ_SM_SN_mSO_SQ_bEUlT_E_NS1_11comp_targetILNS1_3genE8ELNS1_11target_archE1030ELNS1_3gpuE2ELNS1_3repE0EEENS1_30default_config_static_selectorELNS0_4arch9wavefront6targetE1EEEvT1_
; %bb.0:
	.section	.rodata,"a",@progbits
	.p2align	6, 0x0
	.amdhsa_kernel _ZN7rocprim17ROCPRIM_400000_NS6detail17trampoline_kernelINS0_14default_configENS1_25transform_config_selectorIiLb0EEEZNS1_14transform_implILb0ES3_S5_NS0_18transform_iteratorINS0_17counting_iteratorImlEEZNS1_24adjacent_difference_implIS3_Lb1ELb0EPiN6thrust23THRUST_200600_302600_NS16discard_iteratorINSD_11use_defaultEEENSD_5minusIiEEEE10hipError_tPvRmT2_T3_mT4_P12ihipStream_tbEUlmE_iEESB_NS0_8identityIvEEEESJ_SM_SN_mSO_SQ_bEUlT_E_NS1_11comp_targetILNS1_3genE8ELNS1_11target_archE1030ELNS1_3gpuE2ELNS1_3repE0EEENS1_30default_config_static_selectorELNS0_4arch9wavefront6targetE1EEEvT1_
		.amdhsa_group_segment_fixed_size 0
		.amdhsa_private_segment_fixed_size 0
		.amdhsa_kernarg_size 56
		.amdhsa_user_sgpr_count 2
		.amdhsa_user_sgpr_dispatch_ptr 0
		.amdhsa_user_sgpr_queue_ptr 0
		.amdhsa_user_sgpr_kernarg_segment_ptr 1
		.amdhsa_user_sgpr_dispatch_id 0
		.amdhsa_user_sgpr_kernarg_preload_length 0
		.amdhsa_user_sgpr_kernarg_preload_offset 0
		.amdhsa_user_sgpr_private_segment_size 0
		.amdhsa_uses_dynamic_stack 0
		.amdhsa_enable_private_segment 0
		.amdhsa_system_sgpr_workgroup_id_x 1
		.amdhsa_system_sgpr_workgroup_id_y 0
		.amdhsa_system_sgpr_workgroup_id_z 0
		.amdhsa_system_sgpr_workgroup_info 0
		.amdhsa_system_vgpr_workitem_id 0
		.amdhsa_next_free_vgpr 1
		.amdhsa_next_free_sgpr 0
		.amdhsa_accum_offset 4
		.amdhsa_reserve_vcc 0
		.amdhsa_float_round_mode_32 0
		.amdhsa_float_round_mode_16_64 0
		.amdhsa_float_denorm_mode_32 3
		.amdhsa_float_denorm_mode_16_64 3
		.amdhsa_dx10_clamp 1
		.amdhsa_ieee_mode 1
		.amdhsa_fp16_overflow 0
		.amdhsa_tg_split 0
		.amdhsa_exception_fp_ieee_invalid_op 0
		.amdhsa_exception_fp_denorm_src 0
		.amdhsa_exception_fp_ieee_div_zero 0
		.amdhsa_exception_fp_ieee_overflow 0
		.amdhsa_exception_fp_ieee_underflow 0
		.amdhsa_exception_fp_ieee_inexact 0
		.amdhsa_exception_int_div_zero 0
	.end_amdhsa_kernel
	.section	.text._ZN7rocprim17ROCPRIM_400000_NS6detail17trampoline_kernelINS0_14default_configENS1_25transform_config_selectorIiLb0EEEZNS1_14transform_implILb0ES3_S5_NS0_18transform_iteratorINS0_17counting_iteratorImlEEZNS1_24adjacent_difference_implIS3_Lb1ELb0EPiN6thrust23THRUST_200600_302600_NS16discard_iteratorINSD_11use_defaultEEENSD_5minusIiEEEE10hipError_tPvRmT2_T3_mT4_P12ihipStream_tbEUlmE_iEESB_NS0_8identityIvEEEESJ_SM_SN_mSO_SQ_bEUlT_E_NS1_11comp_targetILNS1_3genE8ELNS1_11target_archE1030ELNS1_3gpuE2ELNS1_3repE0EEENS1_30default_config_static_selectorELNS0_4arch9wavefront6targetE1EEEvT1_,"axG",@progbits,_ZN7rocprim17ROCPRIM_400000_NS6detail17trampoline_kernelINS0_14default_configENS1_25transform_config_selectorIiLb0EEEZNS1_14transform_implILb0ES3_S5_NS0_18transform_iteratorINS0_17counting_iteratorImlEEZNS1_24adjacent_difference_implIS3_Lb1ELb0EPiN6thrust23THRUST_200600_302600_NS16discard_iteratorINSD_11use_defaultEEENSD_5minusIiEEEE10hipError_tPvRmT2_T3_mT4_P12ihipStream_tbEUlmE_iEESB_NS0_8identityIvEEEESJ_SM_SN_mSO_SQ_bEUlT_E_NS1_11comp_targetILNS1_3genE8ELNS1_11target_archE1030ELNS1_3gpuE2ELNS1_3repE0EEENS1_30default_config_static_selectorELNS0_4arch9wavefront6targetE1EEEvT1_,comdat
.Lfunc_end742:
	.size	_ZN7rocprim17ROCPRIM_400000_NS6detail17trampoline_kernelINS0_14default_configENS1_25transform_config_selectorIiLb0EEEZNS1_14transform_implILb0ES3_S5_NS0_18transform_iteratorINS0_17counting_iteratorImlEEZNS1_24adjacent_difference_implIS3_Lb1ELb0EPiN6thrust23THRUST_200600_302600_NS16discard_iteratorINSD_11use_defaultEEENSD_5minusIiEEEE10hipError_tPvRmT2_T3_mT4_P12ihipStream_tbEUlmE_iEESB_NS0_8identityIvEEEESJ_SM_SN_mSO_SQ_bEUlT_E_NS1_11comp_targetILNS1_3genE8ELNS1_11target_archE1030ELNS1_3gpuE2ELNS1_3repE0EEENS1_30default_config_static_selectorELNS0_4arch9wavefront6targetE1EEEvT1_, .Lfunc_end742-_ZN7rocprim17ROCPRIM_400000_NS6detail17trampoline_kernelINS0_14default_configENS1_25transform_config_selectorIiLb0EEEZNS1_14transform_implILb0ES3_S5_NS0_18transform_iteratorINS0_17counting_iteratorImlEEZNS1_24adjacent_difference_implIS3_Lb1ELb0EPiN6thrust23THRUST_200600_302600_NS16discard_iteratorINSD_11use_defaultEEENSD_5minusIiEEEE10hipError_tPvRmT2_T3_mT4_P12ihipStream_tbEUlmE_iEESB_NS0_8identityIvEEEESJ_SM_SN_mSO_SQ_bEUlT_E_NS1_11comp_targetILNS1_3genE8ELNS1_11target_archE1030ELNS1_3gpuE2ELNS1_3repE0EEENS1_30default_config_static_selectorELNS0_4arch9wavefront6targetE1EEEvT1_
                                        ; -- End function
	.section	.AMDGPU.csdata,"",@progbits
; Kernel info:
; codeLenInByte = 0
; NumSgprs: 6
; NumVgprs: 0
; NumAgprs: 0
; TotalNumVgprs: 0
; ScratchSize: 0
; MemoryBound: 0
; FloatMode: 240
; IeeeMode: 1
; LDSByteSize: 0 bytes/workgroup (compile time only)
; SGPRBlocks: 0
; VGPRBlocks: 0
; NumSGPRsForWavesPerEU: 6
; NumVGPRsForWavesPerEU: 1
; AccumOffset: 4
; Occupancy: 8
; WaveLimiterHint : 0
; COMPUTE_PGM_RSRC2:SCRATCH_EN: 0
; COMPUTE_PGM_RSRC2:USER_SGPR: 2
; COMPUTE_PGM_RSRC2:TRAP_HANDLER: 0
; COMPUTE_PGM_RSRC2:TGID_X_EN: 1
; COMPUTE_PGM_RSRC2:TGID_Y_EN: 0
; COMPUTE_PGM_RSRC2:TGID_Z_EN: 0
; COMPUTE_PGM_RSRC2:TIDIG_COMP_CNT: 0
; COMPUTE_PGM_RSRC3_GFX90A:ACCUM_OFFSET: 0
; COMPUTE_PGM_RSRC3_GFX90A:TG_SPLIT: 0
	.section	.text._ZN7rocprim17ROCPRIM_400000_NS6detail17trampoline_kernelINS0_14default_configENS1_35adjacent_difference_config_selectorILb1EiEEZNS1_24adjacent_difference_implIS3_Lb1ELb0EPiN6thrust23THRUST_200600_302600_NS16discard_iteratorINS9_11use_defaultEEENS9_5minusIiEEEE10hipError_tPvRmT2_T3_mT4_P12ihipStream_tbEUlT_E_NS1_11comp_targetILNS1_3genE0ELNS1_11target_archE4294967295ELNS1_3gpuE0ELNS1_3repE0EEENS1_30default_config_static_selectorELNS0_4arch9wavefront6targetE1EEEvT1_,"axG",@progbits,_ZN7rocprim17ROCPRIM_400000_NS6detail17trampoline_kernelINS0_14default_configENS1_35adjacent_difference_config_selectorILb1EiEEZNS1_24adjacent_difference_implIS3_Lb1ELb0EPiN6thrust23THRUST_200600_302600_NS16discard_iteratorINS9_11use_defaultEEENS9_5minusIiEEEE10hipError_tPvRmT2_T3_mT4_P12ihipStream_tbEUlT_E_NS1_11comp_targetILNS1_3genE0ELNS1_11target_archE4294967295ELNS1_3gpuE0ELNS1_3repE0EEENS1_30default_config_static_selectorELNS0_4arch9wavefront6targetE1EEEvT1_,comdat
	.protected	_ZN7rocprim17ROCPRIM_400000_NS6detail17trampoline_kernelINS0_14default_configENS1_35adjacent_difference_config_selectorILb1EiEEZNS1_24adjacent_difference_implIS3_Lb1ELb0EPiN6thrust23THRUST_200600_302600_NS16discard_iteratorINS9_11use_defaultEEENS9_5minusIiEEEE10hipError_tPvRmT2_T3_mT4_P12ihipStream_tbEUlT_E_NS1_11comp_targetILNS1_3genE0ELNS1_11target_archE4294967295ELNS1_3gpuE0ELNS1_3repE0EEENS1_30default_config_static_selectorELNS0_4arch9wavefront6targetE1EEEvT1_ ; -- Begin function _ZN7rocprim17ROCPRIM_400000_NS6detail17trampoline_kernelINS0_14default_configENS1_35adjacent_difference_config_selectorILb1EiEEZNS1_24adjacent_difference_implIS3_Lb1ELb0EPiN6thrust23THRUST_200600_302600_NS16discard_iteratorINS9_11use_defaultEEENS9_5minusIiEEEE10hipError_tPvRmT2_T3_mT4_P12ihipStream_tbEUlT_E_NS1_11comp_targetILNS1_3genE0ELNS1_11target_archE4294967295ELNS1_3gpuE0ELNS1_3repE0EEENS1_30default_config_static_selectorELNS0_4arch9wavefront6targetE1EEEvT1_
	.globl	_ZN7rocprim17ROCPRIM_400000_NS6detail17trampoline_kernelINS0_14default_configENS1_35adjacent_difference_config_selectorILb1EiEEZNS1_24adjacent_difference_implIS3_Lb1ELb0EPiN6thrust23THRUST_200600_302600_NS16discard_iteratorINS9_11use_defaultEEENS9_5minusIiEEEE10hipError_tPvRmT2_T3_mT4_P12ihipStream_tbEUlT_E_NS1_11comp_targetILNS1_3genE0ELNS1_11target_archE4294967295ELNS1_3gpuE0ELNS1_3repE0EEENS1_30default_config_static_selectorELNS0_4arch9wavefront6targetE1EEEvT1_
	.p2align	8
	.type	_ZN7rocprim17ROCPRIM_400000_NS6detail17trampoline_kernelINS0_14default_configENS1_35adjacent_difference_config_selectorILb1EiEEZNS1_24adjacent_difference_implIS3_Lb1ELb0EPiN6thrust23THRUST_200600_302600_NS16discard_iteratorINS9_11use_defaultEEENS9_5minusIiEEEE10hipError_tPvRmT2_T3_mT4_P12ihipStream_tbEUlT_E_NS1_11comp_targetILNS1_3genE0ELNS1_11target_archE4294967295ELNS1_3gpuE0ELNS1_3repE0EEENS1_30default_config_static_selectorELNS0_4arch9wavefront6targetE1EEEvT1_,@function
_ZN7rocprim17ROCPRIM_400000_NS6detail17trampoline_kernelINS0_14default_configENS1_35adjacent_difference_config_selectorILb1EiEEZNS1_24adjacent_difference_implIS3_Lb1ELb0EPiN6thrust23THRUST_200600_302600_NS16discard_iteratorINS9_11use_defaultEEENS9_5minusIiEEEE10hipError_tPvRmT2_T3_mT4_P12ihipStream_tbEUlT_E_NS1_11comp_targetILNS1_3genE0ELNS1_11target_archE4294967295ELNS1_3gpuE0ELNS1_3repE0EEENS1_30default_config_static_selectorELNS0_4arch9wavefront6targetE1EEEvT1_: ; @_ZN7rocprim17ROCPRIM_400000_NS6detail17trampoline_kernelINS0_14default_configENS1_35adjacent_difference_config_selectorILb1EiEEZNS1_24adjacent_difference_implIS3_Lb1ELb0EPiN6thrust23THRUST_200600_302600_NS16discard_iteratorINS9_11use_defaultEEENS9_5minusIiEEEE10hipError_tPvRmT2_T3_mT4_P12ihipStream_tbEUlT_E_NS1_11comp_targetILNS1_3genE0ELNS1_11target_archE4294967295ELNS1_3gpuE0ELNS1_3repE0EEENS1_30default_config_static_selectorELNS0_4arch9wavefront6targetE1EEEvT1_
; %bb.0:
	.section	.rodata,"a",@progbits
	.p2align	6, 0x0
	.amdhsa_kernel _ZN7rocprim17ROCPRIM_400000_NS6detail17trampoline_kernelINS0_14default_configENS1_35adjacent_difference_config_selectorILb1EiEEZNS1_24adjacent_difference_implIS3_Lb1ELb0EPiN6thrust23THRUST_200600_302600_NS16discard_iteratorINS9_11use_defaultEEENS9_5minusIiEEEE10hipError_tPvRmT2_T3_mT4_P12ihipStream_tbEUlT_E_NS1_11comp_targetILNS1_3genE0ELNS1_11target_archE4294967295ELNS1_3gpuE0ELNS1_3repE0EEENS1_30default_config_static_selectorELNS0_4arch9wavefront6targetE1EEEvT1_
		.amdhsa_group_segment_fixed_size 0
		.amdhsa_private_segment_fixed_size 0
		.amdhsa_kernarg_size 64
		.amdhsa_user_sgpr_count 2
		.amdhsa_user_sgpr_dispatch_ptr 0
		.amdhsa_user_sgpr_queue_ptr 0
		.amdhsa_user_sgpr_kernarg_segment_ptr 1
		.amdhsa_user_sgpr_dispatch_id 0
		.amdhsa_user_sgpr_kernarg_preload_length 0
		.amdhsa_user_sgpr_kernarg_preload_offset 0
		.amdhsa_user_sgpr_private_segment_size 0
		.amdhsa_uses_dynamic_stack 0
		.amdhsa_enable_private_segment 0
		.amdhsa_system_sgpr_workgroup_id_x 1
		.amdhsa_system_sgpr_workgroup_id_y 0
		.amdhsa_system_sgpr_workgroup_id_z 0
		.amdhsa_system_sgpr_workgroup_info 0
		.amdhsa_system_vgpr_workitem_id 0
		.amdhsa_next_free_vgpr 1
		.amdhsa_next_free_sgpr 0
		.amdhsa_accum_offset 4
		.amdhsa_reserve_vcc 0
		.amdhsa_float_round_mode_32 0
		.amdhsa_float_round_mode_16_64 0
		.amdhsa_float_denorm_mode_32 3
		.amdhsa_float_denorm_mode_16_64 3
		.amdhsa_dx10_clamp 1
		.amdhsa_ieee_mode 1
		.amdhsa_fp16_overflow 0
		.amdhsa_tg_split 0
		.amdhsa_exception_fp_ieee_invalid_op 0
		.amdhsa_exception_fp_denorm_src 0
		.amdhsa_exception_fp_ieee_div_zero 0
		.amdhsa_exception_fp_ieee_overflow 0
		.amdhsa_exception_fp_ieee_underflow 0
		.amdhsa_exception_fp_ieee_inexact 0
		.amdhsa_exception_int_div_zero 0
	.end_amdhsa_kernel
	.section	.text._ZN7rocprim17ROCPRIM_400000_NS6detail17trampoline_kernelINS0_14default_configENS1_35adjacent_difference_config_selectorILb1EiEEZNS1_24adjacent_difference_implIS3_Lb1ELb0EPiN6thrust23THRUST_200600_302600_NS16discard_iteratorINS9_11use_defaultEEENS9_5minusIiEEEE10hipError_tPvRmT2_T3_mT4_P12ihipStream_tbEUlT_E_NS1_11comp_targetILNS1_3genE0ELNS1_11target_archE4294967295ELNS1_3gpuE0ELNS1_3repE0EEENS1_30default_config_static_selectorELNS0_4arch9wavefront6targetE1EEEvT1_,"axG",@progbits,_ZN7rocprim17ROCPRIM_400000_NS6detail17trampoline_kernelINS0_14default_configENS1_35adjacent_difference_config_selectorILb1EiEEZNS1_24adjacent_difference_implIS3_Lb1ELb0EPiN6thrust23THRUST_200600_302600_NS16discard_iteratorINS9_11use_defaultEEENS9_5minusIiEEEE10hipError_tPvRmT2_T3_mT4_P12ihipStream_tbEUlT_E_NS1_11comp_targetILNS1_3genE0ELNS1_11target_archE4294967295ELNS1_3gpuE0ELNS1_3repE0EEENS1_30default_config_static_selectorELNS0_4arch9wavefront6targetE1EEEvT1_,comdat
.Lfunc_end743:
	.size	_ZN7rocprim17ROCPRIM_400000_NS6detail17trampoline_kernelINS0_14default_configENS1_35adjacent_difference_config_selectorILb1EiEEZNS1_24adjacent_difference_implIS3_Lb1ELb0EPiN6thrust23THRUST_200600_302600_NS16discard_iteratorINS9_11use_defaultEEENS9_5minusIiEEEE10hipError_tPvRmT2_T3_mT4_P12ihipStream_tbEUlT_E_NS1_11comp_targetILNS1_3genE0ELNS1_11target_archE4294967295ELNS1_3gpuE0ELNS1_3repE0EEENS1_30default_config_static_selectorELNS0_4arch9wavefront6targetE1EEEvT1_, .Lfunc_end743-_ZN7rocprim17ROCPRIM_400000_NS6detail17trampoline_kernelINS0_14default_configENS1_35adjacent_difference_config_selectorILb1EiEEZNS1_24adjacent_difference_implIS3_Lb1ELb0EPiN6thrust23THRUST_200600_302600_NS16discard_iteratorINS9_11use_defaultEEENS9_5minusIiEEEE10hipError_tPvRmT2_T3_mT4_P12ihipStream_tbEUlT_E_NS1_11comp_targetILNS1_3genE0ELNS1_11target_archE4294967295ELNS1_3gpuE0ELNS1_3repE0EEENS1_30default_config_static_selectorELNS0_4arch9wavefront6targetE1EEEvT1_
                                        ; -- End function
	.section	.AMDGPU.csdata,"",@progbits
; Kernel info:
; codeLenInByte = 0
; NumSgprs: 6
; NumVgprs: 0
; NumAgprs: 0
; TotalNumVgprs: 0
; ScratchSize: 0
; MemoryBound: 0
; FloatMode: 240
; IeeeMode: 1
; LDSByteSize: 0 bytes/workgroup (compile time only)
; SGPRBlocks: 0
; VGPRBlocks: 0
; NumSGPRsForWavesPerEU: 6
; NumVGPRsForWavesPerEU: 1
; AccumOffset: 4
; Occupancy: 8
; WaveLimiterHint : 0
; COMPUTE_PGM_RSRC2:SCRATCH_EN: 0
; COMPUTE_PGM_RSRC2:USER_SGPR: 2
; COMPUTE_PGM_RSRC2:TRAP_HANDLER: 0
; COMPUTE_PGM_RSRC2:TGID_X_EN: 1
; COMPUTE_PGM_RSRC2:TGID_Y_EN: 0
; COMPUTE_PGM_RSRC2:TGID_Z_EN: 0
; COMPUTE_PGM_RSRC2:TIDIG_COMP_CNT: 0
; COMPUTE_PGM_RSRC3_GFX90A:ACCUM_OFFSET: 0
; COMPUTE_PGM_RSRC3_GFX90A:TG_SPLIT: 0
	.section	.text._ZN7rocprim17ROCPRIM_400000_NS6detail17trampoline_kernelINS0_14default_configENS1_35adjacent_difference_config_selectorILb1EiEEZNS1_24adjacent_difference_implIS3_Lb1ELb0EPiN6thrust23THRUST_200600_302600_NS16discard_iteratorINS9_11use_defaultEEENS9_5minusIiEEEE10hipError_tPvRmT2_T3_mT4_P12ihipStream_tbEUlT_E_NS1_11comp_targetILNS1_3genE10ELNS1_11target_archE1201ELNS1_3gpuE5ELNS1_3repE0EEENS1_30default_config_static_selectorELNS0_4arch9wavefront6targetE1EEEvT1_,"axG",@progbits,_ZN7rocprim17ROCPRIM_400000_NS6detail17trampoline_kernelINS0_14default_configENS1_35adjacent_difference_config_selectorILb1EiEEZNS1_24adjacent_difference_implIS3_Lb1ELb0EPiN6thrust23THRUST_200600_302600_NS16discard_iteratorINS9_11use_defaultEEENS9_5minusIiEEEE10hipError_tPvRmT2_T3_mT4_P12ihipStream_tbEUlT_E_NS1_11comp_targetILNS1_3genE10ELNS1_11target_archE1201ELNS1_3gpuE5ELNS1_3repE0EEENS1_30default_config_static_selectorELNS0_4arch9wavefront6targetE1EEEvT1_,comdat
	.protected	_ZN7rocprim17ROCPRIM_400000_NS6detail17trampoline_kernelINS0_14default_configENS1_35adjacent_difference_config_selectorILb1EiEEZNS1_24adjacent_difference_implIS3_Lb1ELb0EPiN6thrust23THRUST_200600_302600_NS16discard_iteratorINS9_11use_defaultEEENS9_5minusIiEEEE10hipError_tPvRmT2_T3_mT4_P12ihipStream_tbEUlT_E_NS1_11comp_targetILNS1_3genE10ELNS1_11target_archE1201ELNS1_3gpuE5ELNS1_3repE0EEENS1_30default_config_static_selectorELNS0_4arch9wavefront6targetE1EEEvT1_ ; -- Begin function _ZN7rocprim17ROCPRIM_400000_NS6detail17trampoline_kernelINS0_14default_configENS1_35adjacent_difference_config_selectorILb1EiEEZNS1_24adjacent_difference_implIS3_Lb1ELb0EPiN6thrust23THRUST_200600_302600_NS16discard_iteratorINS9_11use_defaultEEENS9_5minusIiEEEE10hipError_tPvRmT2_T3_mT4_P12ihipStream_tbEUlT_E_NS1_11comp_targetILNS1_3genE10ELNS1_11target_archE1201ELNS1_3gpuE5ELNS1_3repE0EEENS1_30default_config_static_selectorELNS0_4arch9wavefront6targetE1EEEvT1_
	.globl	_ZN7rocprim17ROCPRIM_400000_NS6detail17trampoline_kernelINS0_14default_configENS1_35adjacent_difference_config_selectorILb1EiEEZNS1_24adjacent_difference_implIS3_Lb1ELb0EPiN6thrust23THRUST_200600_302600_NS16discard_iteratorINS9_11use_defaultEEENS9_5minusIiEEEE10hipError_tPvRmT2_T3_mT4_P12ihipStream_tbEUlT_E_NS1_11comp_targetILNS1_3genE10ELNS1_11target_archE1201ELNS1_3gpuE5ELNS1_3repE0EEENS1_30default_config_static_selectorELNS0_4arch9wavefront6targetE1EEEvT1_
	.p2align	8
	.type	_ZN7rocprim17ROCPRIM_400000_NS6detail17trampoline_kernelINS0_14default_configENS1_35adjacent_difference_config_selectorILb1EiEEZNS1_24adjacent_difference_implIS3_Lb1ELb0EPiN6thrust23THRUST_200600_302600_NS16discard_iteratorINS9_11use_defaultEEENS9_5minusIiEEEE10hipError_tPvRmT2_T3_mT4_P12ihipStream_tbEUlT_E_NS1_11comp_targetILNS1_3genE10ELNS1_11target_archE1201ELNS1_3gpuE5ELNS1_3repE0EEENS1_30default_config_static_selectorELNS0_4arch9wavefront6targetE1EEEvT1_,@function
_ZN7rocprim17ROCPRIM_400000_NS6detail17trampoline_kernelINS0_14default_configENS1_35adjacent_difference_config_selectorILb1EiEEZNS1_24adjacent_difference_implIS3_Lb1ELb0EPiN6thrust23THRUST_200600_302600_NS16discard_iteratorINS9_11use_defaultEEENS9_5minusIiEEEE10hipError_tPvRmT2_T3_mT4_P12ihipStream_tbEUlT_E_NS1_11comp_targetILNS1_3genE10ELNS1_11target_archE1201ELNS1_3gpuE5ELNS1_3repE0EEENS1_30default_config_static_selectorELNS0_4arch9wavefront6targetE1EEEvT1_: ; @_ZN7rocprim17ROCPRIM_400000_NS6detail17trampoline_kernelINS0_14default_configENS1_35adjacent_difference_config_selectorILb1EiEEZNS1_24adjacent_difference_implIS3_Lb1ELb0EPiN6thrust23THRUST_200600_302600_NS16discard_iteratorINS9_11use_defaultEEENS9_5minusIiEEEE10hipError_tPvRmT2_T3_mT4_P12ihipStream_tbEUlT_E_NS1_11comp_targetILNS1_3genE10ELNS1_11target_archE1201ELNS1_3gpuE5ELNS1_3repE0EEENS1_30default_config_static_selectorELNS0_4arch9wavefront6targetE1EEEvT1_
; %bb.0:
	.section	.rodata,"a",@progbits
	.p2align	6, 0x0
	.amdhsa_kernel _ZN7rocprim17ROCPRIM_400000_NS6detail17trampoline_kernelINS0_14default_configENS1_35adjacent_difference_config_selectorILb1EiEEZNS1_24adjacent_difference_implIS3_Lb1ELb0EPiN6thrust23THRUST_200600_302600_NS16discard_iteratorINS9_11use_defaultEEENS9_5minusIiEEEE10hipError_tPvRmT2_T3_mT4_P12ihipStream_tbEUlT_E_NS1_11comp_targetILNS1_3genE10ELNS1_11target_archE1201ELNS1_3gpuE5ELNS1_3repE0EEENS1_30default_config_static_selectorELNS0_4arch9wavefront6targetE1EEEvT1_
		.amdhsa_group_segment_fixed_size 0
		.amdhsa_private_segment_fixed_size 0
		.amdhsa_kernarg_size 64
		.amdhsa_user_sgpr_count 2
		.amdhsa_user_sgpr_dispatch_ptr 0
		.amdhsa_user_sgpr_queue_ptr 0
		.amdhsa_user_sgpr_kernarg_segment_ptr 1
		.amdhsa_user_sgpr_dispatch_id 0
		.amdhsa_user_sgpr_kernarg_preload_length 0
		.amdhsa_user_sgpr_kernarg_preload_offset 0
		.amdhsa_user_sgpr_private_segment_size 0
		.amdhsa_uses_dynamic_stack 0
		.amdhsa_enable_private_segment 0
		.amdhsa_system_sgpr_workgroup_id_x 1
		.amdhsa_system_sgpr_workgroup_id_y 0
		.amdhsa_system_sgpr_workgroup_id_z 0
		.amdhsa_system_sgpr_workgroup_info 0
		.amdhsa_system_vgpr_workitem_id 0
		.amdhsa_next_free_vgpr 1
		.amdhsa_next_free_sgpr 0
		.amdhsa_accum_offset 4
		.amdhsa_reserve_vcc 0
		.amdhsa_float_round_mode_32 0
		.amdhsa_float_round_mode_16_64 0
		.amdhsa_float_denorm_mode_32 3
		.amdhsa_float_denorm_mode_16_64 3
		.amdhsa_dx10_clamp 1
		.amdhsa_ieee_mode 1
		.amdhsa_fp16_overflow 0
		.amdhsa_tg_split 0
		.amdhsa_exception_fp_ieee_invalid_op 0
		.amdhsa_exception_fp_denorm_src 0
		.amdhsa_exception_fp_ieee_div_zero 0
		.amdhsa_exception_fp_ieee_overflow 0
		.amdhsa_exception_fp_ieee_underflow 0
		.amdhsa_exception_fp_ieee_inexact 0
		.amdhsa_exception_int_div_zero 0
	.end_amdhsa_kernel
	.section	.text._ZN7rocprim17ROCPRIM_400000_NS6detail17trampoline_kernelINS0_14default_configENS1_35adjacent_difference_config_selectorILb1EiEEZNS1_24adjacent_difference_implIS3_Lb1ELb0EPiN6thrust23THRUST_200600_302600_NS16discard_iteratorINS9_11use_defaultEEENS9_5minusIiEEEE10hipError_tPvRmT2_T3_mT4_P12ihipStream_tbEUlT_E_NS1_11comp_targetILNS1_3genE10ELNS1_11target_archE1201ELNS1_3gpuE5ELNS1_3repE0EEENS1_30default_config_static_selectorELNS0_4arch9wavefront6targetE1EEEvT1_,"axG",@progbits,_ZN7rocprim17ROCPRIM_400000_NS6detail17trampoline_kernelINS0_14default_configENS1_35adjacent_difference_config_selectorILb1EiEEZNS1_24adjacent_difference_implIS3_Lb1ELb0EPiN6thrust23THRUST_200600_302600_NS16discard_iteratorINS9_11use_defaultEEENS9_5minusIiEEEE10hipError_tPvRmT2_T3_mT4_P12ihipStream_tbEUlT_E_NS1_11comp_targetILNS1_3genE10ELNS1_11target_archE1201ELNS1_3gpuE5ELNS1_3repE0EEENS1_30default_config_static_selectorELNS0_4arch9wavefront6targetE1EEEvT1_,comdat
.Lfunc_end744:
	.size	_ZN7rocprim17ROCPRIM_400000_NS6detail17trampoline_kernelINS0_14default_configENS1_35adjacent_difference_config_selectorILb1EiEEZNS1_24adjacent_difference_implIS3_Lb1ELb0EPiN6thrust23THRUST_200600_302600_NS16discard_iteratorINS9_11use_defaultEEENS9_5minusIiEEEE10hipError_tPvRmT2_T3_mT4_P12ihipStream_tbEUlT_E_NS1_11comp_targetILNS1_3genE10ELNS1_11target_archE1201ELNS1_3gpuE5ELNS1_3repE0EEENS1_30default_config_static_selectorELNS0_4arch9wavefront6targetE1EEEvT1_, .Lfunc_end744-_ZN7rocprim17ROCPRIM_400000_NS6detail17trampoline_kernelINS0_14default_configENS1_35adjacent_difference_config_selectorILb1EiEEZNS1_24adjacent_difference_implIS3_Lb1ELb0EPiN6thrust23THRUST_200600_302600_NS16discard_iteratorINS9_11use_defaultEEENS9_5minusIiEEEE10hipError_tPvRmT2_T3_mT4_P12ihipStream_tbEUlT_E_NS1_11comp_targetILNS1_3genE10ELNS1_11target_archE1201ELNS1_3gpuE5ELNS1_3repE0EEENS1_30default_config_static_selectorELNS0_4arch9wavefront6targetE1EEEvT1_
                                        ; -- End function
	.section	.AMDGPU.csdata,"",@progbits
; Kernel info:
; codeLenInByte = 0
; NumSgprs: 6
; NumVgprs: 0
; NumAgprs: 0
; TotalNumVgprs: 0
; ScratchSize: 0
; MemoryBound: 0
; FloatMode: 240
; IeeeMode: 1
; LDSByteSize: 0 bytes/workgroup (compile time only)
; SGPRBlocks: 0
; VGPRBlocks: 0
; NumSGPRsForWavesPerEU: 6
; NumVGPRsForWavesPerEU: 1
; AccumOffset: 4
; Occupancy: 8
; WaveLimiterHint : 0
; COMPUTE_PGM_RSRC2:SCRATCH_EN: 0
; COMPUTE_PGM_RSRC2:USER_SGPR: 2
; COMPUTE_PGM_RSRC2:TRAP_HANDLER: 0
; COMPUTE_PGM_RSRC2:TGID_X_EN: 1
; COMPUTE_PGM_RSRC2:TGID_Y_EN: 0
; COMPUTE_PGM_RSRC2:TGID_Z_EN: 0
; COMPUTE_PGM_RSRC2:TIDIG_COMP_CNT: 0
; COMPUTE_PGM_RSRC3_GFX90A:ACCUM_OFFSET: 0
; COMPUTE_PGM_RSRC3_GFX90A:TG_SPLIT: 0
	.section	.text._ZN7rocprim17ROCPRIM_400000_NS6detail17trampoline_kernelINS0_14default_configENS1_35adjacent_difference_config_selectorILb1EiEEZNS1_24adjacent_difference_implIS3_Lb1ELb0EPiN6thrust23THRUST_200600_302600_NS16discard_iteratorINS9_11use_defaultEEENS9_5minusIiEEEE10hipError_tPvRmT2_T3_mT4_P12ihipStream_tbEUlT_E_NS1_11comp_targetILNS1_3genE5ELNS1_11target_archE942ELNS1_3gpuE9ELNS1_3repE0EEENS1_30default_config_static_selectorELNS0_4arch9wavefront6targetE1EEEvT1_,"axG",@progbits,_ZN7rocprim17ROCPRIM_400000_NS6detail17trampoline_kernelINS0_14default_configENS1_35adjacent_difference_config_selectorILb1EiEEZNS1_24adjacent_difference_implIS3_Lb1ELb0EPiN6thrust23THRUST_200600_302600_NS16discard_iteratorINS9_11use_defaultEEENS9_5minusIiEEEE10hipError_tPvRmT2_T3_mT4_P12ihipStream_tbEUlT_E_NS1_11comp_targetILNS1_3genE5ELNS1_11target_archE942ELNS1_3gpuE9ELNS1_3repE0EEENS1_30default_config_static_selectorELNS0_4arch9wavefront6targetE1EEEvT1_,comdat
	.protected	_ZN7rocprim17ROCPRIM_400000_NS6detail17trampoline_kernelINS0_14default_configENS1_35adjacent_difference_config_selectorILb1EiEEZNS1_24adjacent_difference_implIS3_Lb1ELb0EPiN6thrust23THRUST_200600_302600_NS16discard_iteratorINS9_11use_defaultEEENS9_5minusIiEEEE10hipError_tPvRmT2_T3_mT4_P12ihipStream_tbEUlT_E_NS1_11comp_targetILNS1_3genE5ELNS1_11target_archE942ELNS1_3gpuE9ELNS1_3repE0EEENS1_30default_config_static_selectorELNS0_4arch9wavefront6targetE1EEEvT1_ ; -- Begin function _ZN7rocprim17ROCPRIM_400000_NS6detail17trampoline_kernelINS0_14default_configENS1_35adjacent_difference_config_selectorILb1EiEEZNS1_24adjacent_difference_implIS3_Lb1ELb0EPiN6thrust23THRUST_200600_302600_NS16discard_iteratorINS9_11use_defaultEEENS9_5minusIiEEEE10hipError_tPvRmT2_T3_mT4_P12ihipStream_tbEUlT_E_NS1_11comp_targetILNS1_3genE5ELNS1_11target_archE942ELNS1_3gpuE9ELNS1_3repE0EEENS1_30default_config_static_selectorELNS0_4arch9wavefront6targetE1EEEvT1_
	.globl	_ZN7rocprim17ROCPRIM_400000_NS6detail17trampoline_kernelINS0_14default_configENS1_35adjacent_difference_config_selectorILb1EiEEZNS1_24adjacent_difference_implIS3_Lb1ELb0EPiN6thrust23THRUST_200600_302600_NS16discard_iteratorINS9_11use_defaultEEENS9_5minusIiEEEE10hipError_tPvRmT2_T3_mT4_P12ihipStream_tbEUlT_E_NS1_11comp_targetILNS1_3genE5ELNS1_11target_archE942ELNS1_3gpuE9ELNS1_3repE0EEENS1_30default_config_static_selectorELNS0_4arch9wavefront6targetE1EEEvT1_
	.p2align	8
	.type	_ZN7rocprim17ROCPRIM_400000_NS6detail17trampoline_kernelINS0_14default_configENS1_35adjacent_difference_config_selectorILb1EiEEZNS1_24adjacent_difference_implIS3_Lb1ELb0EPiN6thrust23THRUST_200600_302600_NS16discard_iteratorINS9_11use_defaultEEENS9_5minusIiEEEE10hipError_tPvRmT2_T3_mT4_P12ihipStream_tbEUlT_E_NS1_11comp_targetILNS1_3genE5ELNS1_11target_archE942ELNS1_3gpuE9ELNS1_3repE0EEENS1_30default_config_static_selectorELNS0_4arch9wavefront6targetE1EEEvT1_,@function
_ZN7rocprim17ROCPRIM_400000_NS6detail17trampoline_kernelINS0_14default_configENS1_35adjacent_difference_config_selectorILb1EiEEZNS1_24adjacent_difference_implIS3_Lb1ELb0EPiN6thrust23THRUST_200600_302600_NS16discard_iteratorINS9_11use_defaultEEENS9_5minusIiEEEE10hipError_tPvRmT2_T3_mT4_P12ihipStream_tbEUlT_E_NS1_11comp_targetILNS1_3genE5ELNS1_11target_archE942ELNS1_3gpuE9ELNS1_3repE0EEENS1_30default_config_static_selectorELNS0_4arch9wavefront6targetE1EEEvT1_: ; @_ZN7rocprim17ROCPRIM_400000_NS6detail17trampoline_kernelINS0_14default_configENS1_35adjacent_difference_config_selectorILb1EiEEZNS1_24adjacent_difference_implIS3_Lb1ELb0EPiN6thrust23THRUST_200600_302600_NS16discard_iteratorINS9_11use_defaultEEENS9_5minusIiEEEE10hipError_tPvRmT2_T3_mT4_P12ihipStream_tbEUlT_E_NS1_11comp_targetILNS1_3genE5ELNS1_11target_archE942ELNS1_3gpuE9ELNS1_3repE0EEENS1_30default_config_static_selectorELNS0_4arch9wavefront6targetE1EEEvT1_
; %bb.0:
	s_load_dwordx4 s[12:15], s[0:1], 0x0
	s_load_dwordx2 s[8:9], s[0:1], 0x20
	s_load_dwordx4 s[4:7], s[0:1], 0x30
	s_movk_i32 s10, 0xa00
	s_mov_b32 s3, 0
	s_waitcnt lgkmcnt(0)
	s_lshl_b64 s[0:1], s[14:15], 2
	s_add_u32 s18, s12, s0
	s_addc_u32 s19, s13, s1
	s_mov_b32 s0, 0x59999780
	s_add_u32 s0, 0xe0, s0
	s_addc_u32 s11, 0, 0
	v_add_co_u32_e64 v1, s[0:1], s0, 2.0
	s_cmp_lg_u64 s[0:1], 0
	s_addc_u32 s0, s11, 0x199999
	v_readfirstlane_b32 s11, v1
	s_mul_hi_u32 s14, s11, 0xfffff600
	s_mul_i32 s1, s0, 0xfffff600
	s_sub_i32 s14, s14, s11
	s_add_i32 s14, s14, s1
	s_mul_i32 s16, s11, 0xfffff600
	s_mul_hi_u32 s1, s11, s14
	s_mul_i32 s15, s11, s14
	s_mul_hi_u32 s11, s11, s16
	s_add_u32 s11, s11, s15
	s_addc_u32 s1, 0, s1
	s_mul_hi_u32 s17, s0, s16
	s_mul_i32 s16, s0, s16
	s_add_u32 s11, s11, s16
	s_mul_hi_u32 s15, s0, s14
	s_addc_u32 s1, s1, s17
	s_addc_u32 s11, s15, 0
	s_mul_i32 s14, s0, s14
	s_add_u32 s1, s1, s14
	s_addc_u32 s11, 0, s11
	v_add_co_u32_e32 v1, vcc, s1, v1
	s_cmp_lg_u64 vcc, 0
	s_addc_u32 s0, s0, s11
	v_readfirstlane_b32 s14, v1
	s_mul_i32 s11, s8, s0
	s_mul_hi_u32 s15, s8, s14
	s_mul_hi_u32 s1, s8, s0
	s_add_u32 s11, s15, s11
	s_addc_u32 s1, 0, s1
	s_mul_hi_u32 s16, s9, s14
	s_mul_i32 s14, s9, s14
	s_add_u32 s11, s11, s14
	s_mul_hi_u32 s15, s9, s0
	s_addc_u32 s1, s1, s16
	s_addc_u32 s11, s15, 0
	s_mul_i32 s0, s9, s0
	s_add_u32 s0, s1, s0
	s_addc_u32 s1, 0, s11
	s_add_u32 s11, s0, 1
	s_addc_u32 s14, s1, 0
	s_add_u32 s15, s0, 2
	s_mul_i32 s17, s1, 0xa00
	s_mul_hi_u32 s20, s0, 0xa00
	s_addc_u32 s16, s1, 0
	s_add_i32 s20, s20, s17
	s_mul_i32 s17, s0, 0xa00
	v_mov_b32_e32 v1, s17
	v_sub_co_u32_e32 v1, vcc, s8, v1
	s_cmp_lg_u64 vcc, 0
	s_subb_u32 s17, s9, s20
	v_subrev_co_u32_e32 v2, vcc, s10, v1
	s_cmp_lg_u64 vcc, 0
	s_subb_u32 s10, s17, 0
	v_readfirstlane_b32 s20, v2
	s_cmpk_gt_u32 s20, 0x9ff
	s_cselect_b32 s20, -1, 0
	s_cmp_eq_u32 s10, 0
	s_cselect_b32 s10, s20, -1
	s_cmp_lg_u32 s10, 0
	s_cselect_b32 s10, s15, s11
	s_cselect_b32 s11, s16, s14
	v_readfirstlane_b32 s14, v1
	s_cmpk_gt_u32 s14, 0x9ff
	s_cselect_b32 s14, -1, 0
	s_cmp_eq_u32 s17, 0
	s_cselect_b32 s14, s14, -1
	s_cmp_lg_u32 s14, 0
	s_cselect_b32 s1, s11, s1
	s_cselect_b32 s0, s10, s0
	s_mul_i32 s10, s1, 0xa00
	s_mul_hi_u32 s11, s0, 0xa00
	s_add_i32 s11, s11, s10
	s_mul_i32 s10, s0, 0xa00
	s_sub_u32 s10, s8, s10
	s_subb_u32 s11, s9, s11
	s_cmp_lg_u64 s[10:11], 0
	s_cselect_b64 s[10:11], -1, 0
	v_cndmask_b32_e64 v2, 0, 1, s[10:11]
	v_mov_b32_e32 v3, s3
	v_lshl_add_u64 v[8:9], s[0:1], 0, v[2:3]
	s_add_u32 s10, s6, s2
	s_addc_u32 s11, s7, 0
	v_lshl_add_u64 v[12:13], v[8:9], 0, -1
	v_cmp_ge_u64_e64 s[0:1], s[10:11], v[12:13]
	s_mul_i32 s12, s2, 0xa00
	s_movk_i32 s13, 0xf600
	s_mov_b64 s[14:15], -1
	s_and_b64 vcc, exec, s[0:1]
	s_cbranch_vccz .LBB745_12
; %bb.1:
	v_mul_lo_u32 v1, v12, s13
	s_mov_b32 s13, s3
	s_lshl_b64 s[14:15], s[12:13], 2
	v_add_u32_e32 v1, s8, v1
	s_add_u32 s14, s18, s14
	s_addc_u32 s15, s19, s15
	v_cmp_lt_u32_e32 vcc, v0, v1
                                        ; implicit-def: $vgpr2_vgpr3_vgpr4_vgpr5_vgpr6
	s_and_saveexec_b64 s[16:17], vcc
	s_cbranch_execz .LBB745_3
; %bb.2:
	v_lshlrev_b32_e32 v2, 2, v0
	global_load_dword v2, v2, s[14:15]
.LBB745_3:
	s_or_b64 exec, exec, s[16:17]
	v_or_b32_e32 v7, 0x200, v0
	v_cmp_lt_u32_e32 vcc, v7, v1
	s_and_saveexec_b64 s[16:17], vcc
	s_cbranch_execz .LBB745_5
; %bb.4:
	v_lshlrev_b32_e32 v3, 2, v0
	global_load_dword v3, v3, s[14:15] offset:2048
.LBB745_5:
	s_or_b64 exec, exec, s[16:17]
	v_or_b32_e32 v7, 0x400, v0
	v_cmp_lt_u32_e32 vcc, v7, v1
	s_and_saveexec_b64 s[16:17], vcc
	s_cbranch_execz .LBB745_7
; %bb.6:
	v_lshlrev_b32_e32 v4, 2, v7
	global_load_dword v4, v4, s[14:15]
.LBB745_7:
	s_or_b64 exec, exec, s[16:17]
	v_or_b32_e32 v7, 0x600, v0
	v_cmp_lt_u32_e32 vcc, v7, v1
	s_and_saveexec_b64 s[16:17], vcc
	s_cbranch_execz .LBB745_9
; %bb.8:
	v_lshlrev_b32_e32 v5, 2, v7
	global_load_dword v5, v5, s[14:15]
.LBB745_9:
	;; [unrolled: 9-line block ×3, first 2 shown]
	s_or_b64 exec, exec, s[16:17]
	v_lshlrev_b32_e32 v1, 2, v0
	s_mov_b64 s[14:15], 0
	s_waitcnt vmcnt(0)
	ds_write2st64_b32 v1, v2, v3 offset1:8
	ds_write2st64_b32 v1, v4, v5 offset0:16 offset1:24
	ds_write_b32 v1, v6 offset:8192
	s_waitcnt lgkmcnt(0)
	s_barrier
.LBB745_12:
	s_and_b64 vcc, exec, s[14:15]
	v_lshlrev_b32_e32 v4, 2, v0
	s_cbranch_vccz .LBB745_14
; %bb.13:
	s_mov_b32 s13, 0
	s_lshl_b64 s[12:13], s[12:13], 2
	s_add_u32 s12, s18, s12
	s_addc_u32 s13, s19, s13
	v_mov_b32_e32 v5, 0
	v_lshl_add_u64 v[2:3], s[12:13], 0, v[4:5]
	v_add_co_u32_e32 v6, vcc, 0x1000, v2
	global_load_dword v1, v4, s[12:13]
	global_load_dword v5, v4, s[12:13] offset:2048
	v_addc_co_u32_e32 v7, vcc, 0, v3, vcc
	global_load_dword v10, v[6:7], off
	global_load_dword v11, v[6:7], off offset:2048
	v_add_co_u32_e32 v2, vcc, 0x2000, v2
	s_nop 1
	v_addc_co_u32_e32 v3, vcc, 0, v3, vcc
	global_load_dword v2, v[2:3], off
	s_waitcnt vmcnt(3)
	ds_write2st64_b32 v4, v1, v5 offset1:8
	s_waitcnt vmcnt(1)
	ds_write2st64_b32 v4, v10, v11 offset0:16 offset1:24
	s_waitcnt vmcnt(0)
	ds_write_b32 v4, v2 offset:8192
	s_waitcnt lgkmcnt(0)
	s_barrier
.LBB745_14:
	v_mul_u32_u24_e32 v1, 5, v0
	v_lshlrev_b32_e32 v1, 2, v1
	ds_read_b32 v2, v1
	ds_read2_b32 v[6:7], v1 offset0:1 offset1:2
	ds_read2_b32 v[10:11], v1 offset0:3 offset1:4
	s_cmp_eq_u64 s[10:11], 0
	s_waitcnt lgkmcnt(0)
	s_barrier
	s_cbranch_scc1 .LBB745_19
; %bb.15:
	s_lshl_b64 s[6:7], s[6:7], 2
	s_add_u32 s4, s4, s6
	s_addc_u32 s5, s5, s7
	s_lshl_b64 s[2:3], s[2:3], 2
	s_add_u32 s2, s4, s2
	s_addc_u32 s3, s5, s3
	s_add_u32 s2, s2, -4
	s_addc_u32 s3, s3, -1
	s_load_dword s4, s[2:3], 0x0
	v_cmp_eq_u64_e32 vcc, s[10:11], v[12:13]
	s_cbranch_vccnz .LBB745_21
; %bb.16:
	v_cmp_ne_u32_e32 vcc, 0, v0
	s_waitcnt lgkmcnt(0)
	v_mov_b32_e32 v13, s4
	v_mov_b32_e32 v14, 0
	ds_write_b32 v4, v11
	s_waitcnt lgkmcnt(0)
	s_barrier
	s_and_saveexec_b64 s[2:3], vcc
	s_cbranch_execz .LBB745_18
; %bb.17:
	v_add_u32_e32 v1, -4, v4
	ds_read_b32 v13, v1
	v_mov_b32_e32 v14, v0
.LBB745_18:
	s_or_b64 exec, exec, s[2:3]
	v_sub_u32_e32 v1, v11, v10
	v_sub_u32_e32 v3, v10, v7
	;; [unrolled: 1-line block ×4, first 2 shown]
	s_cbranch_execz .LBB745_22
	s_branch .LBB745_25
.LBB745_19:
	s_mov_b64 s[4:5], 0
                                        ; implicit-def: $vgpr1
                                        ; implicit-def: $vgpr3
                                        ; implicit-def: $vgpr5
                                        ; implicit-def: $vgpr12
                                        ; implicit-def: $vgpr13
                                        ; implicit-def: $vgpr14
	s_branch .LBB745_26
.LBB745_20:
                                        ; implicit-def: $vgpr8
	s_and_saveexec_b64 s[2:3], s[4:5]
	s_cbranch_execnz .LBB745_35
	s_branch .LBB745_36
.LBB745_21:
                                        ; implicit-def: $vgpr1
                                        ; implicit-def: $vgpr3
                                        ; implicit-def: $vgpr5
                                        ; implicit-def: $vgpr12
                                        ; implicit-def: $vgpr13
                                        ; implicit-def: $vgpr14
.LBB745_22:
	s_waitcnt lgkmcnt(0)
	v_mul_u32_u24_e32 v13, 5, v0
	v_cmp_ne_u32_e32 vcc, 0, v0
	v_mov_b32_e32 v14, s4
	ds_write_b32 v4, v11
	s_waitcnt lgkmcnt(0)
	s_barrier
	s_and_saveexec_b64 s[2:3], vcc
	s_cbranch_execz .LBB745_24
; %bb.23:
	v_add_u32_e32 v1, -4, v4
	ds_read_b32 v14, v1
.LBB745_24:
	s_or_b64 exec, exec, s[2:3]
	s_mul_i32 s2, s10, 0xfffff600
	s_add_i32 s2, s2, s8
	v_add_u32_e32 v1, 4, v13
	v_sub_u32_e32 v3, v11, v10
	v_cmp_gt_u32_e32 vcc, s2, v1
	v_sub_u32_e32 v5, v10, v7
	v_sub_u32_e32 v12, v7, v6
	v_cndmask_b32_e32 v1, v11, v3, vcc
	v_add_u32_e32 v3, 3, v13
	v_cmp_gt_u32_e32 vcc, s2, v3
	v_sub_u32_e32 v15, v6, v2
	s_nop 0
	v_cndmask_b32_e32 v3, v10, v5, vcc
	v_add_u32_e32 v5, 2, v13
	v_cmp_gt_u32_e32 vcc, s2, v5
	s_nop 1
	v_cndmask_b32_e32 v5, v7, v12, vcc
	v_add_u32_e32 v12, 1, v13
	v_cmp_gt_u32_e32 vcc, s2, v12
	s_nop 1
	v_cndmask_b32_e32 v12, v6, v15, vcc
	v_cmp_gt_u32_e32 vcc, s2, v13
	s_waitcnt lgkmcnt(0)
	s_nop 0
	v_cndmask_b32_e32 v13, 0, v14, vcc
	v_mov_b32_e32 v14, v0
.LBB745_25:
	s_waitcnt lgkmcnt(0)
	s_mov_b64 s[4:5], -1
	s_cbranch_execnz .LBB745_20
.LBB745_26:
	v_cmp_ne_u64_e32 vcc, 1, v[8:9]
	s_and_b64 vcc, exec, vcc
	v_sub_u32_e32 v3, v10, v7
	v_sub_u32_e32 v1, v11, v10
	;; [unrolled: 1-line block ×4, first 2 shown]
	v_cmp_ne_u32_e64 s[2:3], 0, v0
	s_cbranch_vccz .LBB745_31
; %bb.27:
	s_mov_b32 s9, 0
	ds_write_b32 v4, v11
	s_waitcnt lgkmcnt(0)
	s_barrier
	s_waitcnt lgkmcnt(0)
                                        ; implicit-def: $vgpr13
                                        ; implicit-def: $vgpr14
	s_and_saveexec_b64 s[6:7], s[2:3]
	s_cbranch_execz .LBB745_29
; %bb.28:
	v_add_u32_e32 v8, -4, v4
	ds_read_b32 v13, v8
	s_or_b64 s[4:5], s[4:5], exec
	v_mov_b32_e32 v14, v0
.LBB745_29:
	s_or_b64 exec, exec, s[6:7]
.LBB745_30:
	v_mov_b32_e32 v8, s9
	s_and_saveexec_b64 s[2:3], s[4:5]
	s_cbranch_execnz .LBB745_35
	s_branch .LBB745_36
.LBB745_31:
                                        ; implicit-def: $vgpr13
                                        ; implicit-def: $vgpr14
                                        ; implicit-def: $sgpr9
	s_cbranch_execz .LBB745_30
; %bb.32:
	v_mad_u32_u24 v9, v0, 5, 4
	v_cmp_gt_u32_e32 vcc, s8, v9
	v_mad_u32_u24 v9, v0, 5, 3
	v_mul_u32_u24_e32 v8, 5, v0
	v_cndmask_b32_e32 v1, v11, v1, vcc
	v_cmp_gt_u32_e32 vcc, s8, v9
	v_mad_u32_u24 v9, v0, 5, 2
	v_cmp_gt_u32_e64 s[2:3], s8, v8
	v_cndmask_b32_e32 v3, v10, v3, vcc
	v_cmp_gt_u32_e32 vcc, s8, v9
	ds_write_b32 v4, v11
	s_waitcnt lgkmcnt(0)
	v_cndmask_b32_e32 v5, v7, v5, vcc
	v_mad_u32_u24 v7, v0, 5, 1
	v_cmp_gt_u32_e32 vcc, s8, v7
	s_barrier
	s_nop 0
	v_cndmask_b32_e32 v12, v6, v12, vcc
	v_cmp_ne_u32_e32 vcc, 0, v0
	s_and_b64 s[6:7], vcc, s[2:3]
                                        ; implicit-def: $vgpr13
	s_and_saveexec_b64 s[2:3], s[6:7]
	s_cbranch_execz .LBB745_34
; %bb.33:
	v_add_u32_e32 v4, -4, v4
	ds_read_b32 v13, v4
	s_or_b64 s[4:5], s[4:5], exec
.LBB745_34:
	s_or_b64 exec, exec, s[2:3]
	v_mov_b32_e32 v14, v0
	v_mov_b32_e32 v8, v0
	s_and_saveexec_b64 s[2:3], s[4:5]
	s_cbranch_execz .LBB745_36
.LBB745_35:
	s_waitcnt lgkmcnt(0)
	v_sub_u32_e32 v2, v2, v13
	v_mov_b32_e32 v8, v14
.LBB745_36:
	s_or_b64 exec, exec, s[2:3]
	v_mul_i32_i24_e32 v0, 20, v8
	s_mov_b64 s[2:3], -1
	s_and_b64 vcc, exec, s[0:1]
	s_waitcnt lgkmcnt(0)
	s_barrier
	ds_write2_b32 v0, v2, v12 offset1:1
	ds_write2_b32 v0, v5, v3 offset0:2 offset1:3
	ds_write_b32 v0, v1 offset:16
	s_waitcnt lgkmcnt(0)
	s_cbranch_vccnz .LBB745_39
; %bb.37:
	s_andn2_b64 vcc, exec, s[2:3]
	s_cbranch_vccz .LBB745_40
.LBB745_38:
	s_endpgm
.LBB745_39:
	s_barrier
	s_cbranch_execnz .LBB745_38
.LBB745_40:
	s_barrier
	s_endpgm
	.section	.rodata,"a",@progbits
	.p2align	6, 0x0
	.amdhsa_kernel _ZN7rocprim17ROCPRIM_400000_NS6detail17trampoline_kernelINS0_14default_configENS1_35adjacent_difference_config_selectorILb1EiEEZNS1_24adjacent_difference_implIS3_Lb1ELb0EPiN6thrust23THRUST_200600_302600_NS16discard_iteratorINS9_11use_defaultEEENS9_5minusIiEEEE10hipError_tPvRmT2_T3_mT4_P12ihipStream_tbEUlT_E_NS1_11comp_targetILNS1_3genE5ELNS1_11target_archE942ELNS1_3gpuE9ELNS1_3repE0EEENS1_30default_config_static_selectorELNS0_4arch9wavefront6targetE1EEEvT1_
		.amdhsa_group_segment_fixed_size 10240
		.amdhsa_private_segment_fixed_size 0
		.amdhsa_kernarg_size 64
		.amdhsa_user_sgpr_count 2
		.amdhsa_user_sgpr_dispatch_ptr 0
		.amdhsa_user_sgpr_queue_ptr 0
		.amdhsa_user_sgpr_kernarg_segment_ptr 1
		.amdhsa_user_sgpr_dispatch_id 0
		.amdhsa_user_sgpr_kernarg_preload_length 0
		.amdhsa_user_sgpr_kernarg_preload_offset 0
		.amdhsa_user_sgpr_private_segment_size 0
		.amdhsa_uses_dynamic_stack 0
		.amdhsa_enable_private_segment 0
		.amdhsa_system_sgpr_workgroup_id_x 1
		.amdhsa_system_sgpr_workgroup_id_y 0
		.amdhsa_system_sgpr_workgroup_id_z 0
		.amdhsa_system_sgpr_workgroup_info 0
		.amdhsa_system_vgpr_workitem_id 0
		.amdhsa_next_free_vgpr 16
		.amdhsa_next_free_sgpr 21
		.amdhsa_accum_offset 16
		.amdhsa_reserve_vcc 1
		.amdhsa_float_round_mode_32 0
		.amdhsa_float_round_mode_16_64 0
		.amdhsa_float_denorm_mode_32 3
		.amdhsa_float_denorm_mode_16_64 3
		.amdhsa_dx10_clamp 1
		.amdhsa_ieee_mode 1
		.amdhsa_fp16_overflow 0
		.amdhsa_tg_split 0
		.amdhsa_exception_fp_ieee_invalid_op 0
		.amdhsa_exception_fp_denorm_src 0
		.amdhsa_exception_fp_ieee_div_zero 0
		.amdhsa_exception_fp_ieee_overflow 0
		.amdhsa_exception_fp_ieee_underflow 0
		.amdhsa_exception_fp_ieee_inexact 0
		.amdhsa_exception_int_div_zero 0
	.end_amdhsa_kernel
	.section	.text._ZN7rocprim17ROCPRIM_400000_NS6detail17trampoline_kernelINS0_14default_configENS1_35adjacent_difference_config_selectorILb1EiEEZNS1_24adjacent_difference_implIS3_Lb1ELb0EPiN6thrust23THRUST_200600_302600_NS16discard_iteratorINS9_11use_defaultEEENS9_5minusIiEEEE10hipError_tPvRmT2_T3_mT4_P12ihipStream_tbEUlT_E_NS1_11comp_targetILNS1_3genE5ELNS1_11target_archE942ELNS1_3gpuE9ELNS1_3repE0EEENS1_30default_config_static_selectorELNS0_4arch9wavefront6targetE1EEEvT1_,"axG",@progbits,_ZN7rocprim17ROCPRIM_400000_NS6detail17trampoline_kernelINS0_14default_configENS1_35adjacent_difference_config_selectorILb1EiEEZNS1_24adjacent_difference_implIS3_Lb1ELb0EPiN6thrust23THRUST_200600_302600_NS16discard_iteratorINS9_11use_defaultEEENS9_5minusIiEEEE10hipError_tPvRmT2_T3_mT4_P12ihipStream_tbEUlT_E_NS1_11comp_targetILNS1_3genE5ELNS1_11target_archE942ELNS1_3gpuE9ELNS1_3repE0EEENS1_30default_config_static_selectorELNS0_4arch9wavefront6targetE1EEEvT1_,comdat
.Lfunc_end745:
	.size	_ZN7rocprim17ROCPRIM_400000_NS6detail17trampoline_kernelINS0_14default_configENS1_35adjacent_difference_config_selectorILb1EiEEZNS1_24adjacent_difference_implIS3_Lb1ELb0EPiN6thrust23THRUST_200600_302600_NS16discard_iteratorINS9_11use_defaultEEENS9_5minusIiEEEE10hipError_tPvRmT2_T3_mT4_P12ihipStream_tbEUlT_E_NS1_11comp_targetILNS1_3genE5ELNS1_11target_archE942ELNS1_3gpuE9ELNS1_3repE0EEENS1_30default_config_static_selectorELNS0_4arch9wavefront6targetE1EEEvT1_, .Lfunc_end745-_ZN7rocprim17ROCPRIM_400000_NS6detail17trampoline_kernelINS0_14default_configENS1_35adjacent_difference_config_selectorILb1EiEEZNS1_24adjacent_difference_implIS3_Lb1ELb0EPiN6thrust23THRUST_200600_302600_NS16discard_iteratorINS9_11use_defaultEEENS9_5minusIiEEEE10hipError_tPvRmT2_T3_mT4_P12ihipStream_tbEUlT_E_NS1_11comp_targetILNS1_3genE5ELNS1_11target_archE942ELNS1_3gpuE9ELNS1_3repE0EEENS1_30default_config_static_selectorELNS0_4arch9wavefront6targetE1EEEvT1_
                                        ; -- End function
	.section	.AMDGPU.csdata,"",@progbits
; Kernel info:
; codeLenInByte = 1628
; NumSgprs: 27
; NumVgprs: 16
; NumAgprs: 0
; TotalNumVgprs: 16
; ScratchSize: 0
; MemoryBound: 0
; FloatMode: 240
; IeeeMode: 1
; LDSByteSize: 10240 bytes/workgroup (compile time only)
; SGPRBlocks: 3
; VGPRBlocks: 1
; NumSGPRsForWavesPerEU: 27
; NumVGPRsForWavesPerEU: 16
; AccumOffset: 16
; Occupancy: 8
; WaveLimiterHint : 1
; COMPUTE_PGM_RSRC2:SCRATCH_EN: 0
; COMPUTE_PGM_RSRC2:USER_SGPR: 2
; COMPUTE_PGM_RSRC2:TRAP_HANDLER: 0
; COMPUTE_PGM_RSRC2:TGID_X_EN: 1
; COMPUTE_PGM_RSRC2:TGID_Y_EN: 0
; COMPUTE_PGM_RSRC2:TGID_Z_EN: 0
; COMPUTE_PGM_RSRC2:TIDIG_COMP_CNT: 0
; COMPUTE_PGM_RSRC3_GFX90A:ACCUM_OFFSET: 3
; COMPUTE_PGM_RSRC3_GFX90A:TG_SPLIT: 0
	.section	.text._ZN7rocprim17ROCPRIM_400000_NS6detail17trampoline_kernelINS0_14default_configENS1_35adjacent_difference_config_selectorILb1EiEEZNS1_24adjacent_difference_implIS3_Lb1ELb0EPiN6thrust23THRUST_200600_302600_NS16discard_iteratorINS9_11use_defaultEEENS9_5minusIiEEEE10hipError_tPvRmT2_T3_mT4_P12ihipStream_tbEUlT_E_NS1_11comp_targetILNS1_3genE4ELNS1_11target_archE910ELNS1_3gpuE8ELNS1_3repE0EEENS1_30default_config_static_selectorELNS0_4arch9wavefront6targetE1EEEvT1_,"axG",@progbits,_ZN7rocprim17ROCPRIM_400000_NS6detail17trampoline_kernelINS0_14default_configENS1_35adjacent_difference_config_selectorILb1EiEEZNS1_24adjacent_difference_implIS3_Lb1ELb0EPiN6thrust23THRUST_200600_302600_NS16discard_iteratorINS9_11use_defaultEEENS9_5minusIiEEEE10hipError_tPvRmT2_T3_mT4_P12ihipStream_tbEUlT_E_NS1_11comp_targetILNS1_3genE4ELNS1_11target_archE910ELNS1_3gpuE8ELNS1_3repE0EEENS1_30default_config_static_selectorELNS0_4arch9wavefront6targetE1EEEvT1_,comdat
	.protected	_ZN7rocprim17ROCPRIM_400000_NS6detail17trampoline_kernelINS0_14default_configENS1_35adjacent_difference_config_selectorILb1EiEEZNS1_24adjacent_difference_implIS3_Lb1ELb0EPiN6thrust23THRUST_200600_302600_NS16discard_iteratorINS9_11use_defaultEEENS9_5minusIiEEEE10hipError_tPvRmT2_T3_mT4_P12ihipStream_tbEUlT_E_NS1_11comp_targetILNS1_3genE4ELNS1_11target_archE910ELNS1_3gpuE8ELNS1_3repE0EEENS1_30default_config_static_selectorELNS0_4arch9wavefront6targetE1EEEvT1_ ; -- Begin function _ZN7rocprim17ROCPRIM_400000_NS6detail17trampoline_kernelINS0_14default_configENS1_35adjacent_difference_config_selectorILb1EiEEZNS1_24adjacent_difference_implIS3_Lb1ELb0EPiN6thrust23THRUST_200600_302600_NS16discard_iteratorINS9_11use_defaultEEENS9_5minusIiEEEE10hipError_tPvRmT2_T3_mT4_P12ihipStream_tbEUlT_E_NS1_11comp_targetILNS1_3genE4ELNS1_11target_archE910ELNS1_3gpuE8ELNS1_3repE0EEENS1_30default_config_static_selectorELNS0_4arch9wavefront6targetE1EEEvT1_
	.globl	_ZN7rocprim17ROCPRIM_400000_NS6detail17trampoline_kernelINS0_14default_configENS1_35adjacent_difference_config_selectorILb1EiEEZNS1_24adjacent_difference_implIS3_Lb1ELb0EPiN6thrust23THRUST_200600_302600_NS16discard_iteratorINS9_11use_defaultEEENS9_5minusIiEEEE10hipError_tPvRmT2_T3_mT4_P12ihipStream_tbEUlT_E_NS1_11comp_targetILNS1_3genE4ELNS1_11target_archE910ELNS1_3gpuE8ELNS1_3repE0EEENS1_30default_config_static_selectorELNS0_4arch9wavefront6targetE1EEEvT1_
	.p2align	8
	.type	_ZN7rocprim17ROCPRIM_400000_NS6detail17trampoline_kernelINS0_14default_configENS1_35adjacent_difference_config_selectorILb1EiEEZNS1_24adjacent_difference_implIS3_Lb1ELb0EPiN6thrust23THRUST_200600_302600_NS16discard_iteratorINS9_11use_defaultEEENS9_5minusIiEEEE10hipError_tPvRmT2_T3_mT4_P12ihipStream_tbEUlT_E_NS1_11comp_targetILNS1_3genE4ELNS1_11target_archE910ELNS1_3gpuE8ELNS1_3repE0EEENS1_30default_config_static_selectorELNS0_4arch9wavefront6targetE1EEEvT1_,@function
_ZN7rocprim17ROCPRIM_400000_NS6detail17trampoline_kernelINS0_14default_configENS1_35adjacent_difference_config_selectorILb1EiEEZNS1_24adjacent_difference_implIS3_Lb1ELb0EPiN6thrust23THRUST_200600_302600_NS16discard_iteratorINS9_11use_defaultEEENS9_5minusIiEEEE10hipError_tPvRmT2_T3_mT4_P12ihipStream_tbEUlT_E_NS1_11comp_targetILNS1_3genE4ELNS1_11target_archE910ELNS1_3gpuE8ELNS1_3repE0EEENS1_30default_config_static_selectorELNS0_4arch9wavefront6targetE1EEEvT1_: ; @_ZN7rocprim17ROCPRIM_400000_NS6detail17trampoline_kernelINS0_14default_configENS1_35adjacent_difference_config_selectorILb1EiEEZNS1_24adjacent_difference_implIS3_Lb1ELb0EPiN6thrust23THRUST_200600_302600_NS16discard_iteratorINS9_11use_defaultEEENS9_5minusIiEEEE10hipError_tPvRmT2_T3_mT4_P12ihipStream_tbEUlT_E_NS1_11comp_targetILNS1_3genE4ELNS1_11target_archE910ELNS1_3gpuE8ELNS1_3repE0EEENS1_30default_config_static_selectorELNS0_4arch9wavefront6targetE1EEEvT1_
; %bb.0:
	.section	.rodata,"a",@progbits
	.p2align	6, 0x0
	.amdhsa_kernel _ZN7rocprim17ROCPRIM_400000_NS6detail17trampoline_kernelINS0_14default_configENS1_35adjacent_difference_config_selectorILb1EiEEZNS1_24adjacent_difference_implIS3_Lb1ELb0EPiN6thrust23THRUST_200600_302600_NS16discard_iteratorINS9_11use_defaultEEENS9_5minusIiEEEE10hipError_tPvRmT2_T3_mT4_P12ihipStream_tbEUlT_E_NS1_11comp_targetILNS1_3genE4ELNS1_11target_archE910ELNS1_3gpuE8ELNS1_3repE0EEENS1_30default_config_static_selectorELNS0_4arch9wavefront6targetE1EEEvT1_
		.amdhsa_group_segment_fixed_size 0
		.amdhsa_private_segment_fixed_size 0
		.amdhsa_kernarg_size 64
		.amdhsa_user_sgpr_count 2
		.amdhsa_user_sgpr_dispatch_ptr 0
		.amdhsa_user_sgpr_queue_ptr 0
		.amdhsa_user_sgpr_kernarg_segment_ptr 1
		.amdhsa_user_sgpr_dispatch_id 0
		.amdhsa_user_sgpr_kernarg_preload_length 0
		.amdhsa_user_sgpr_kernarg_preload_offset 0
		.amdhsa_user_sgpr_private_segment_size 0
		.amdhsa_uses_dynamic_stack 0
		.amdhsa_enable_private_segment 0
		.amdhsa_system_sgpr_workgroup_id_x 1
		.amdhsa_system_sgpr_workgroup_id_y 0
		.amdhsa_system_sgpr_workgroup_id_z 0
		.amdhsa_system_sgpr_workgroup_info 0
		.amdhsa_system_vgpr_workitem_id 0
		.amdhsa_next_free_vgpr 1
		.amdhsa_next_free_sgpr 0
		.amdhsa_accum_offset 4
		.amdhsa_reserve_vcc 0
		.amdhsa_float_round_mode_32 0
		.amdhsa_float_round_mode_16_64 0
		.amdhsa_float_denorm_mode_32 3
		.amdhsa_float_denorm_mode_16_64 3
		.amdhsa_dx10_clamp 1
		.amdhsa_ieee_mode 1
		.amdhsa_fp16_overflow 0
		.amdhsa_tg_split 0
		.amdhsa_exception_fp_ieee_invalid_op 0
		.amdhsa_exception_fp_denorm_src 0
		.amdhsa_exception_fp_ieee_div_zero 0
		.amdhsa_exception_fp_ieee_overflow 0
		.amdhsa_exception_fp_ieee_underflow 0
		.amdhsa_exception_fp_ieee_inexact 0
		.amdhsa_exception_int_div_zero 0
	.end_amdhsa_kernel
	.section	.text._ZN7rocprim17ROCPRIM_400000_NS6detail17trampoline_kernelINS0_14default_configENS1_35adjacent_difference_config_selectorILb1EiEEZNS1_24adjacent_difference_implIS3_Lb1ELb0EPiN6thrust23THRUST_200600_302600_NS16discard_iteratorINS9_11use_defaultEEENS9_5minusIiEEEE10hipError_tPvRmT2_T3_mT4_P12ihipStream_tbEUlT_E_NS1_11comp_targetILNS1_3genE4ELNS1_11target_archE910ELNS1_3gpuE8ELNS1_3repE0EEENS1_30default_config_static_selectorELNS0_4arch9wavefront6targetE1EEEvT1_,"axG",@progbits,_ZN7rocprim17ROCPRIM_400000_NS6detail17trampoline_kernelINS0_14default_configENS1_35adjacent_difference_config_selectorILb1EiEEZNS1_24adjacent_difference_implIS3_Lb1ELb0EPiN6thrust23THRUST_200600_302600_NS16discard_iteratorINS9_11use_defaultEEENS9_5minusIiEEEE10hipError_tPvRmT2_T3_mT4_P12ihipStream_tbEUlT_E_NS1_11comp_targetILNS1_3genE4ELNS1_11target_archE910ELNS1_3gpuE8ELNS1_3repE0EEENS1_30default_config_static_selectorELNS0_4arch9wavefront6targetE1EEEvT1_,comdat
.Lfunc_end746:
	.size	_ZN7rocprim17ROCPRIM_400000_NS6detail17trampoline_kernelINS0_14default_configENS1_35adjacent_difference_config_selectorILb1EiEEZNS1_24adjacent_difference_implIS3_Lb1ELb0EPiN6thrust23THRUST_200600_302600_NS16discard_iteratorINS9_11use_defaultEEENS9_5minusIiEEEE10hipError_tPvRmT2_T3_mT4_P12ihipStream_tbEUlT_E_NS1_11comp_targetILNS1_3genE4ELNS1_11target_archE910ELNS1_3gpuE8ELNS1_3repE0EEENS1_30default_config_static_selectorELNS0_4arch9wavefront6targetE1EEEvT1_, .Lfunc_end746-_ZN7rocprim17ROCPRIM_400000_NS6detail17trampoline_kernelINS0_14default_configENS1_35adjacent_difference_config_selectorILb1EiEEZNS1_24adjacent_difference_implIS3_Lb1ELb0EPiN6thrust23THRUST_200600_302600_NS16discard_iteratorINS9_11use_defaultEEENS9_5minusIiEEEE10hipError_tPvRmT2_T3_mT4_P12ihipStream_tbEUlT_E_NS1_11comp_targetILNS1_3genE4ELNS1_11target_archE910ELNS1_3gpuE8ELNS1_3repE0EEENS1_30default_config_static_selectorELNS0_4arch9wavefront6targetE1EEEvT1_
                                        ; -- End function
	.section	.AMDGPU.csdata,"",@progbits
; Kernel info:
; codeLenInByte = 0
; NumSgprs: 6
; NumVgprs: 0
; NumAgprs: 0
; TotalNumVgprs: 0
; ScratchSize: 0
; MemoryBound: 0
; FloatMode: 240
; IeeeMode: 1
; LDSByteSize: 0 bytes/workgroup (compile time only)
; SGPRBlocks: 0
; VGPRBlocks: 0
; NumSGPRsForWavesPerEU: 6
; NumVGPRsForWavesPerEU: 1
; AccumOffset: 4
; Occupancy: 8
; WaveLimiterHint : 0
; COMPUTE_PGM_RSRC2:SCRATCH_EN: 0
; COMPUTE_PGM_RSRC2:USER_SGPR: 2
; COMPUTE_PGM_RSRC2:TRAP_HANDLER: 0
; COMPUTE_PGM_RSRC2:TGID_X_EN: 1
; COMPUTE_PGM_RSRC2:TGID_Y_EN: 0
; COMPUTE_PGM_RSRC2:TGID_Z_EN: 0
; COMPUTE_PGM_RSRC2:TIDIG_COMP_CNT: 0
; COMPUTE_PGM_RSRC3_GFX90A:ACCUM_OFFSET: 0
; COMPUTE_PGM_RSRC3_GFX90A:TG_SPLIT: 0
	.section	.text._ZN7rocprim17ROCPRIM_400000_NS6detail17trampoline_kernelINS0_14default_configENS1_35adjacent_difference_config_selectorILb1EiEEZNS1_24adjacent_difference_implIS3_Lb1ELb0EPiN6thrust23THRUST_200600_302600_NS16discard_iteratorINS9_11use_defaultEEENS9_5minusIiEEEE10hipError_tPvRmT2_T3_mT4_P12ihipStream_tbEUlT_E_NS1_11comp_targetILNS1_3genE3ELNS1_11target_archE908ELNS1_3gpuE7ELNS1_3repE0EEENS1_30default_config_static_selectorELNS0_4arch9wavefront6targetE1EEEvT1_,"axG",@progbits,_ZN7rocprim17ROCPRIM_400000_NS6detail17trampoline_kernelINS0_14default_configENS1_35adjacent_difference_config_selectorILb1EiEEZNS1_24adjacent_difference_implIS3_Lb1ELb0EPiN6thrust23THRUST_200600_302600_NS16discard_iteratorINS9_11use_defaultEEENS9_5minusIiEEEE10hipError_tPvRmT2_T3_mT4_P12ihipStream_tbEUlT_E_NS1_11comp_targetILNS1_3genE3ELNS1_11target_archE908ELNS1_3gpuE7ELNS1_3repE0EEENS1_30default_config_static_selectorELNS0_4arch9wavefront6targetE1EEEvT1_,comdat
	.protected	_ZN7rocprim17ROCPRIM_400000_NS6detail17trampoline_kernelINS0_14default_configENS1_35adjacent_difference_config_selectorILb1EiEEZNS1_24adjacent_difference_implIS3_Lb1ELb0EPiN6thrust23THRUST_200600_302600_NS16discard_iteratorINS9_11use_defaultEEENS9_5minusIiEEEE10hipError_tPvRmT2_T3_mT4_P12ihipStream_tbEUlT_E_NS1_11comp_targetILNS1_3genE3ELNS1_11target_archE908ELNS1_3gpuE7ELNS1_3repE0EEENS1_30default_config_static_selectorELNS0_4arch9wavefront6targetE1EEEvT1_ ; -- Begin function _ZN7rocprim17ROCPRIM_400000_NS6detail17trampoline_kernelINS0_14default_configENS1_35adjacent_difference_config_selectorILb1EiEEZNS1_24adjacent_difference_implIS3_Lb1ELb0EPiN6thrust23THRUST_200600_302600_NS16discard_iteratorINS9_11use_defaultEEENS9_5minusIiEEEE10hipError_tPvRmT2_T3_mT4_P12ihipStream_tbEUlT_E_NS1_11comp_targetILNS1_3genE3ELNS1_11target_archE908ELNS1_3gpuE7ELNS1_3repE0EEENS1_30default_config_static_selectorELNS0_4arch9wavefront6targetE1EEEvT1_
	.globl	_ZN7rocprim17ROCPRIM_400000_NS6detail17trampoline_kernelINS0_14default_configENS1_35adjacent_difference_config_selectorILb1EiEEZNS1_24adjacent_difference_implIS3_Lb1ELb0EPiN6thrust23THRUST_200600_302600_NS16discard_iteratorINS9_11use_defaultEEENS9_5minusIiEEEE10hipError_tPvRmT2_T3_mT4_P12ihipStream_tbEUlT_E_NS1_11comp_targetILNS1_3genE3ELNS1_11target_archE908ELNS1_3gpuE7ELNS1_3repE0EEENS1_30default_config_static_selectorELNS0_4arch9wavefront6targetE1EEEvT1_
	.p2align	8
	.type	_ZN7rocprim17ROCPRIM_400000_NS6detail17trampoline_kernelINS0_14default_configENS1_35adjacent_difference_config_selectorILb1EiEEZNS1_24adjacent_difference_implIS3_Lb1ELb0EPiN6thrust23THRUST_200600_302600_NS16discard_iteratorINS9_11use_defaultEEENS9_5minusIiEEEE10hipError_tPvRmT2_T3_mT4_P12ihipStream_tbEUlT_E_NS1_11comp_targetILNS1_3genE3ELNS1_11target_archE908ELNS1_3gpuE7ELNS1_3repE0EEENS1_30default_config_static_selectorELNS0_4arch9wavefront6targetE1EEEvT1_,@function
_ZN7rocprim17ROCPRIM_400000_NS6detail17trampoline_kernelINS0_14default_configENS1_35adjacent_difference_config_selectorILb1EiEEZNS1_24adjacent_difference_implIS3_Lb1ELb0EPiN6thrust23THRUST_200600_302600_NS16discard_iteratorINS9_11use_defaultEEENS9_5minusIiEEEE10hipError_tPvRmT2_T3_mT4_P12ihipStream_tbEUlT_E_NS1_11comp_targetILNS1_3genE3ELNS1_11target_archE908ELNS1_3gpuE7ELNS1_3repE0EEENS1_30default_config_static_selectorELNS0_4arch9wavefront6targetE1EEEvT1_: ; @_ZN7rocprim17ROCPRIM_400000_NS6detail17trampoline_kernelINS0_14default_configENS1_35adjacent_difference_config_selectorILb1EiEEZNS1_24adjacent_difference_implIS3_Lb1ELb0EPiN6thrust23THRUST_200600_302600_NS16discard_iteratorINS9_11use_defaultEEENS9_5minusIiEEEE10hipError_tPvRmT2_T3_mT4_P12ihipStream_tbEUlT_E_NS1_11comp_targetILNS1_3genE3ELNS1_11target_archE908ELNS1_3gpuE7ELNS1_3repE0EEENS1_30default_config_static_selectorELNS0_4arch9wavefront6targetE1EEEvT1_
; %bb.0:
	.section	.rodata,"a",@progbits
	.p2align	6, 0x0
	.amdhsa_kernel _ZN7rocprim17ROCPRIM_400000_NS6detail17trampoline_kernelINS0_14default_configENS1_35adjacent_difference_config_selectorILb1EiEEZNS1_24adjacent_difference_implIS3_Lb1ELb0EPiN6thrust23THRUST_200600_302600_NS16discard_iteratorINS9_11use_defaultEEENS9_5minusIiEEEE10hipError_tPvRmT2_T3_mT4_P12ihipStream_tbEUlT_E_NS1_11comp_targetILNS1_3genE3ELNS1_11target_archE908ELNS1_3gpuE7ELNS1_3repE0EEENS1_30default_config_static_selectorELNS0_4arch9wavefront6targetE1EEEvT1_
		.amdhsa_group_segment_fixed_size 0
		.amdhsa_private_segment_fixed_size 0
		.amdhsa_kernarg_size 64
		.amdhsa_user_sgpr_count 2
		.amdhsa_user_sgpr_dispatch_ptr 0
		.amdhsa_user_sgpr_queue_ptr 0
		.amdhsa_user_sgpr_kernarg_segment_ptr 1
		.amdhsa_user_sgpr_dispatch_id 0
		.amdhsa_user_sgpr_kernarg_preload_length 0
		.amdhsa_user_sgpr_kernarg_preload_offset 0
		.amdhsa_user_sgpr_private_segment_size 0
		.amdhsa_uses_dynamic_stack 0
		.amdhsa_enable_private_segment 0
		.amdhsa_system_sgpr_workgroup_id_x 1
		.amdhsa_system_sgpr_workgroup_id_y 0
		.amdhsa_system_sgpr_workgroup_id_z 0
		.amdhsa_system_sgpr_workgroup_info 0
		.amdhsa_system_vgpr_workitem_id 0
		.amdhsa_next_free_vgpr 1
		.amdhsa_next_free_sgpr 0
		.amdhsa_accum_offset 4
		.amdhsa_reserve_vcc 0
		.amdhsa_float_round_mode_32 0
		.amdhsa_float_round_mode_16_64 0
		.amdhsa_float_denorm_mode_32 3
		.amdhsa_float_denorm_mode_16_64 3
		.amdhsa_dx10_clamp 1
		.amdhsa_ieee_mode 1
		.amdhsa_fp16_overflow 0
		.amdhsa_tg_split 0
		.amdhsa_exception_fp_ieee_invalid_op 0
		.amdhsa_exception_fp_denorm_src 0
		.amdhsa_exception_fp_ieee_div_zero 0
		.amdhsa_exception_fp_ieee_overflow 0
		.amdhsa_exception_fp_ieee_underflow 0
		.amdhsa_exception_fp_ieee_inexact 0
		.amdhsa_exception_int_div_zero 0
	.end_amdhsa_kernel
	.section	.text._ZN7rocprim17ROCPRIM_400000_NS6detail17trampoline_kernelINS0_14default_configENS1_35adjacent_difference_config_selectorILb1EiEEZNS1_24adjacent_difference_implIS3_Lb1ELb0EPiN6thrust23THRUST_200600_302600_NS16discard_iteratorINS9_11use_defaultEEENS9_5minusIiEEEE10hipError_tPvRmT2_T3_mT4_P12ihipStream_tbEUlT_E_NS1_11comp_targetILNS1_3genE3ELNS1_11target_archE908ELNS1_3gpuE7ELNS1_3repE0EEENS1_30default_config_static_selectorELNS0_4arch9wavefront6targetE1EEEvT1_,"axG",@progbits,_ZN7rocprim17ROCPRIM_400000_NS6detail17trampoline_kernelINS0_14default_configENS1_35adjacent_difference_config_selectorILb1EiEEZNS1_24adjacent_difference_implIS3_Lb1ELb0EPiN6thrust23THRUST_200600_302600_NS16discard_iteratorINS9_11use_defaultEEENS9_5minusIiEEEE10hipError_tPvRmT2_T3_mT4_P12ihipStream_tbEUlT_E_NS1_11comp_targetILNS1_3genE3ELNS1_11target_archE908ELNS1_3gpuE7ELNS1_3repE0EEENS1_30default_config_static_selectorELNS0_4arch9wavefront6targetE1EEEvT1_,comdat
.Lfunc_end747:
	.size	_ZN7rocprim17ROCPRIM_400000_NS6detail17trampoline_kernelINS0_14default_configENS1_35adjacent_difference_config_selectorILb1EiEEZNS1_24adjacent_difference_implIS3_Lb1ELb0EPiN6thrust23THRUST_200600_302600_NS16discard_iteratorINS9_11use_defaultEEENS9_5minusIiEEEE10hipError_tPvRmT2_T3_mT4_P12ihipStream_tbEUlT_E_NS1_11comp_targetILNS1_3genE3ELNS1_11target_archE908ELNS1_3gpuE7ELNS1_3repE0EEENS1_30default_config_static_selectorELNS0_4arch9wavefront6targetE1EEEvT1_, .Lfunc_end747-_ZN7rocprim17ROCPRIM_400000_NS6detail17trampoline_kernelINS0_14default_configENS1_35adjacent_difference_config_selectorILb1EiEEZNS1_24adjacent_difference_implIS3_Lb1ELb0EPiN6thrust23THRUST_200600_302600_NS16discard_iteratorINS9_11use_defaultEEENS9_5minusIiEEEE10hipError_tPvRmT2_T3_mT4_P12ihipStream_tbEUlT_E_NS1_11comp_targetILNS1_3genE3ELNS1_11target_archE908ELNS1_3gpuE7ELNS1_3repE0EEENS1_30default_config_static_selectorELNS0_4arch9wavefront6targetE1EEEvT1_
                                        ; -- End function
	.section	.AMDGPU.csdata,"",@progbits
; Kernel info:
; codeLenInByte = 0
; NumSgprs: 6
; NumVgprs: 0
; NumAgprs: 0
; TotalNumVgprs: 0
; ScratchSize: 0
; MemoryBound: 0
; FloatMode: 240
; IeeeMode: 1
; LDSByteSize: 0 bytes/workgroup (compile time only)
; SGPRBlocks: 0
; VGPRBlocks: 0
; NumSGPRsForWavesPerEU: 6
; NumVGPRsForWavesPerEU: 1
; AccumOffset: 4
; Occupancy: 8
; WaveLimiterHint : 0
; COMPUTE_PGM_RSRC2:SCRATCH_EN: 0
; COMPUTE_PGM_RSRC2:USER_SGPR: 2
; COMPUTE_PGM_RSRC2:TRAP_HANDLER: 0
; COMPUTE_PGM_RSRC2:TGID_X_EN: 1
; COMPUTE_PGM_RSRC2:TGID_Y_EN: 0
; COMPUTE_PGM_RSRC2:TGID_Z_EN: 0
; COMPUTE_PGM_RSRC2:TIDIG_COMP_CNT: 0
; COMPUTE_PGM_RSRC3_GFX90A:ACCUM_OFFSET: 0
; COMPUTE_PGM_RSRC3_GFX90A:TG_SPLIT: 0
	.section	.text._ZN7rocprim17ROCPRIM_400000_NS6detail17trampoline_kernelINS0_14default_configENS1_35adjacent_difference_config_selectorILb1EiEEZNS1_24adjacent_difference_implIS3_Lb1ELb0EPiN6thrust23THRUST_200600_302600_NS16discard_iteratorINS9_11use_defaultEEENS9_5minusIiEEEE10hipError_tPvRmT2_T3_mT4_P12ihipStream_tbEUlT_E_NS1_11comp_targetILNS1_3genE2ELNS1_11target_archE906ELNS1_3gpuE6ELNS1_3repE0EEENS1_30default_config_static_selectorELNS0_4arch9wavefront6targetE1EEEvT1_,"axG",@progbits,_ZN7rocprim17ROCPRIM_400000_NS6detail17trampoline_kernelINS0_14default_configENS1_35adjacent_difference_config_selectorILb1EiEEZNS1_24adjacent_difference_implIS3_Lb1ELb0EPiN6thrust23THRUST_200600_302600_NS16discard_iteratorINS9_11use_defaultEEENS9_5minusIiEEEE10hipError_tPvRmT2_T3_mT4_P12ihipStream_tbEUlT_E_NS1_11comp_targetILNS1_3genE2ELNS1_11target_archE906ELNS1_3gpuE6ELNS1_3repE0EEENS1_30default_config_static_selectorELNS0_4arch9wavefront6targetE1EEEvT1_,comdat
	.protected	_ZN7rocprim17ROCPRIM_400000_NS6detail17trampoline_kernelINS0_14default_configENS1_35adjacent_difference_config_selectorILb1EiEEZNS1_24adjacent_difference_implIS3_Lb1ELb0EPiN6thrust23THRUST_200600_302600_NS16discard_iteratorINS9_11use_defaultEEENS9_5minusIiEEEE10hipError_tPvRmT2_T3_mT4_P12ihipStream_tbEUlT_E_NS1_11comp_targetILNS1_3genE2ELNS1_11target_archE906ELNS1_3gpuE6ELNS1_3repE0EEENS1_30default_config_static_selectorELNS0_4arch9wavefront6targetE1EEEvT1_ ; -- Begin function _ZN7rocprim17ROCPRIM_400000_NS6detail17trampoline_kernelINS0_14default_configENS1_35adjacent_difference_config_selectorILb1EiEEZNS1_24adjacent_difference_implIS3_Lb1ELb0EPiN6thrust23THRUST_200600_302600_NS16discard_iteratorINS9_11use_defaultEEENS9_5minusIiEEEE10hipError_tPvRmT2_T3_mT4_P12ihipStream_tbEUlT_E_NS1_11comp_targetILNS1_3genE2ELNS1_11target_archE906ELNS1_3gpuE6ELNS1_3repE0EEENS1_30default_config_static_selectorELNS0_4arch9wavefront6targetE1EEEvT1_
	.globl	_ZN7rocprim17ROCPRIM_400000_NS6detail17trampoline_kernelINS0_14default_configENS1_35adjacent_difference_config_selectorILb1EiEEZNS1_24adjacent_difference_implIS3_Lb1ELb0EPiN6thrust23THRUST_200600_302600_NS16discard_iteratorINS9_11use_defaultEEENS9_5minusIiEEEE10hipError_tPvRmT2_T3_mT4_P12ihipStream_tbEUlT_E_NS1_11comp_targetILNS1_3genE2ELNS1_11target_archE906ELNS1_3gpuE6ELNS1_3repE0EEENS1_30default_config_static_selectorELNS0_4arch9wavefront6targetE1EEEvT1_
	.p2align	8
	.type	_ZN7rocprim17ROCPRIM_400000_NS6detail17trampoline_kernelINS0_14default_configENS1_35adjacent_difference_config_selectorILb1EiEEZNS1_24adjacent_difference_implIS3_Lb1ELb0EPiN6thrust23THRUST_200600_302600_NS16discard_iteratorINS9_11use_defaultEEENS9_5minusIiEEEE10hipError_tPvRmT2_T3_mT4_P12ihipStream_tbEUlT_E_NS1_11comp_targetILNS1_3genE2ELNS1_11target_archE906ELNS1_3gpuE6ELNS1_3repE0EEENS1_30default_config_static_selectorELNS0_4arch9wavefront6targetE1EEEvT1_,@function
_ZN7rocprim17ROCPRIM_400000_NS6detail17trampoline_kernelINS0_14default_configENS1_35adjacent_difference_config_selectorILb1EiEEZNS1_24adjacent_difference_implIS3_Lb1ELb0EPiN6thrust23THRUST_200600_302600_NS16discard_iteratorINS9_11use_defaultEEENS9_5minusIiEEEE10hipError_tPvRmT2_T3_mT4_P12ihipStream_tbEUlT_E_NS1_11comp_targetILNS1_3genE2ELNS1_11target_archE906ELNS1_3gpuE6ELNS1_3repE0EEENS1_30default_config_static_selectorELNS0_4arch9wavefront6targetE1EEEvT1_: ; @_ZN7rocprim17ROCPRIM_400000_NS6detail17trampoline_kernelINS0_14default_configENS1_35adjacent_difference_config_selectorILb1EiEEZNS1_24adjacent_difference_implIS3_Lb1ELb0EPiN6thrust23THRUST_200600_302600_NS16discard_iteratorINS9_11use_defaultEEENS9_5minusIiEEEE10hipError_tPvRmT2_T3_mT4_P12ihipStream_tbEUlT_E_NS1_11comp_targetILNS1_3genE2ELNS1_11target_archE906ELNS1_3gpuE6ELNS1_3repE0EEENS1_30default_config_static_selectorELNS0_4arch9wavefront6targetE1EEEvT1_
; %bb.0:
	.section	.rodata,"a",@progbits
	.p2align	6, 0x0
	.amdhsa_kernel _ZN7rocprim17ROCPRIM_400000_NS6detail17trampoline_kernelINS0_14default_configENS1_35adjacent_difference_config_selectorILb1EiEEZNS1_24adjacent_difference_implIS3_Lb1ELb0EPiN6thrust23THRUST_200600_302600_NS16discard_iteratorINS9_11use_defaultEEENS9_5minusIiEEEE10hipError_tPvRmT2_T3_mT4_P12ihipStream_tbEUlT_E_NS1_11comp_targetILNS1_3genE2ELNS1_11target_archE906ELNS1_3gpuE6ELNS1_3repE0EEENS1_30default_config_static_selectorELNS0_4arch9wavefront6targetE1EEEvT1_
		.amdhsa_group_segment_fixed_size 0
		.amdhsa_private_segment_fixed_size 0
		.amdhsa_kernarg_size 64
		.amdhsa_user_sgpr_count 2
		.amdhsa_user_sgpr_dispatch_ptr 0
		.amdhsa_user_sgpr_queue_ptr 0
		.amdhsa_user_sgpr_kernarg_segment_ptr 1
		.amdhsa_user_sgpr_dispatch_id 0
		.amdhsa_user_sgpr_kernarg_preload_length 0
		.amdhsa_user_sgpr_kernarg_preload_offset 0
		.amdhsa_user_sgpr_private_segment_size 0
		.amdhsa_uses_dynamic_stack 0
		.amdhsa_enable_private_segment 0
		.amdhsa_system_sgpr_workgroup_id_x 1
		.amdhsa_system_sgpr_workgroup_id_y 0
		.amdhsa_system_sgpr_workgroup_id_z 0
		.amdhsa_system_sgpr_workgroup_info 0
		.amdhsa_system_vgpr_workitem_id 0
		.amdhsa_next_free_vgpr 1
		.amdhsa_next_free_sgpr 0
		.amdhsa_accum_offset 4
		.amdhsa_reserve_vcc 0
		.amdhsa_float_round_mode_32 0
		.amdhsa_float_round_mode_16_64 0
		.amdhsa_float_denorm_mode_32 3
		.amdhsa_float_denorm_mode_16_64 3
		.amdhsa_dx10_clamp 1
		.amdhsa_ieee_mode 1
		.amdhsa_fp16_overflow 0
		.amdhsa_tg_split 0
		.amdhsa_exception_fp_ieee_invalid_op 0
		.amdhsa_exception_fp_denorm_src 0
		.amdhsa_exception_fp_ieee_div_zero 0
		.amdhsa_exception_fp_ieee_overflow 0
		.amdhsa_exception_fp_ieee_underflow 0
		.amdhsa_exception_fp_ieee_inexact 0
		.amdhsa_exception_int_div_zero 0
	.end_amdhsa_kernel
	.section	.text._ZN7rocprim17ROCPRIM_400000_NS6detail17trampoline_kernelINS0_14default_configENS1_35adjacent_difference_config_selectorILb1EiEEZNS1_24adjacent_difference_implIS3_Lb1ELb0EPiN6thrust23THRUST_200600_302600_NS16discard_iteratorINS9_11use_defaultEEENS9_5minusIiEEEE10hipError_tPvRmT2_T3_mT4_P12ihipStream_tbEUlT_E_NS1_11comp_targetILNS1_3genE2ELNS1_11target_archE906ELNS1_3gpuE6ELNS1_3repE0EEENS1_30default_config_static_selectorELNS0_4arch9wavefront6targetE1EEEvT1_,"axG",@progbits,_ZN7rocprim17ROCPRIM_400000_NS6detail17trampoline_kernelINS0_14default_configENS1_35adjacent_difference_config_selectorILb1EiEEZNS1_24adjacent_difference_implIS3_Lb1ELb0EPiN6thrust23THRUST_200600_302600_NS16discard_iteratorINS9_11use_defaultEEENS9_5minusIiEEEE10hipError_tPvRmT2_T3_mT4_P12ihipStream_tbEUlT_E_NS1_11comp_targetILNS1_3genE2ELNS1_11target_archE906ELNS1_3gpuE6ELNS1_3repE0EEENS1_30default_config_static_selectorELNS0_4arch9wavefront6targetE1EEEvT1_,comdat
.Lfunc_end748:
	.size	_ZN7rocprim17ROCPRIM_400000_NS6detail17trampoline_kernelINS0_14default_configENS1_35adjacent_difference_config_selectorILb1EiEEZNS1_24adjacent_difference_implIS3_Lb1ELb0EPiN6thrust23THRUST_200600_302600_NS16discard_iteratorINS9_11use_defaultEEENS9_5minusIiEEEE10hipError_tPvRmT2_T3_mT4_P12ihipStream_tbEUlT_E_NS1_11comp_targetILNS1_3genE2ELNS1_11target_archE906ELNS1_3gpuE6ELNS1_3repE0EEENS1_30default_config_static_selectorELNS0_4arch9wavefront6targetE1EEEvT1_, .Lfunc_end748-_ZN7rocprim17ROCPRIM_400000_NS6detail17trampoline_kernelINS0_14default_configENS1_35adjacent_difference_config_selectorILb1EiEEZNS1_24adjacent_difference_implIS3_Lb1ELb0EPiN6thrust23THRUST_200600_302600_NS16discard_iteratorINS9_11use_defaultEEENS9_5minusIiEEEE10hipError_tPvRmT2_T3_mT4_P12ihipStream_tbEUlT_E_NS1_11comp_targetILNS1_3genE2ELNS1_11target_archE906ELNS1_3gpuE6ELNS1_3repE0EEENS1_30default_config_static_selectorELNS0_4arch9wavefront6targetE1EEEvT1_
                                        ; -- End function
	.section	.AMDGPU.csdata,"",@progbits
; Kernel info:
; codeLenInByte = 0
; NumSgprs: 6
; NumVgprs: 0
; NumAgprs: 0
; TotalNumVgprs: 0
; ScratchSize: 0
; MemoryBound: 0
; FloatMode: 240
; IeeeMode: 1
; LDSByteSize: 0 bytes/workgroup (compile time only)
; SGPRBlocks: 0
; VGPRBlocks: 0
; NumSGPRsForWavesPerEU: 6
; NumVGPRsForWavesPerEU: 1
; AccumOffset: 4
; Occupancy: 8
; WaveLimiterHint : 0
; COMPUTE_PGM_RSRC2:SCRATCH_EN: 0
; COMPUTE_PGM_RSRC2:USER_SGPR: 2
; COMPUTE_PGM_RSRC2:TRAP_HANDLER: 0
; COMPUTE_PGM_RSRC2:TGID_X_EN: 1
; COMPUTE_PGM_RSRC2:TGID_Y_EN: 0
; COMPUTE_PGM_RSRC2:TGID_Z_EN: 0
; COMPUTE_PGM_RSRC2:TIDIG_COMP_CNT: 0
; COMPUTE_PGM_RSRC3_GFX90A:ACCUM_OFFSET: 0
; COMPUTE_PGM_RSRC3_GFX90A:TG_SPLIT: 0
	.section	.text._ZN7rocprim17ROCPRIM_400000_NS6detail17trampoline_kernelINS0_14default_configENS1_35adjacent_difference_config_selectorILb1EiEEZNS1_24adjacent_difference_implIS3_Lb1ELb0EPiN6thrust23THRUST_200600_302600_NS16discard_iteratorINS9_11use_defaultEEENS9_5minusIiEEEE10hipError_tPvRmT2_T3_mT4_P12ihipStream_tbEUlT_E_NS1_11comp_targetILNS1_3genE9ELNS1_11target_archE1100ELNS1_3gpuE3ELNS1_3repE0EEENS1_30default_config_static_selectorELNS0_4arch9wavefront6targetE1EEEvT1_,"axG",@progbits,_ZN7rocprim17ROCPRIM_400000_NS6detail17trampoline_kernelINS0_14default_configENS1_35adjacent_difference_config_selectorILb1EiEEZNS1_24adjacent_difference_implIS3_Lb1ELb0EPiN6thrust23THRUST_200600_302600_NS16discard_iteratorINS9_11use_defaultEEENS9_5minusIiEEEE10hipError_tPvRmT2_T3_mT4_P12ihipStream_tbEUlT_E_NS1_11comp_targetILNS1_3genE9ELNS1_11target_archE1100ELNS1_3gpuE3ELNS1_3repE0EEENS1_30default_config_static_selectorELNS0_4arch9wavefront6targetE1EEEvT1_,comdat
	.protected	_ZN7rocprim17ROCPRIM_400000_NS6detail17trampoline_kernelINS0_14default_configENS1_35adjacent_difference_config_selectorILb1EiEEZNS1_24adjacent_difference_implIS3_Lb1ELb0EPiN6thrust23THRUST_200600_302600_NS16discard_iteratorINS9_11use_defaultEEENS9_5minusIiEEEE10hipError_tPvRmT2_T3_mT4_P12ihipStream_tbEUlT_E_NS1_11comp_targetILNS1_3genE9ELNS1_11target_archE1100ELNS1_3gpuE3ELNS1_3repE0EEENS1_30default_config_static_selectorELNS0_4arch9wavefront6targetE1EEEvT1_ ; -- Begin function _ZN7rocprim17ROCPRIM_400000_NS6detail17trampoline_kernelINS0_14default_configENS1_35adjacent_difference_config_selectorILb1EiEEZNS1_24adjacent_difference_implIS3_Lb1ELb0EPiN6thrust23THRUST_200600_302600_NS16discard_iteratorINS9_11use_defaultEEENS9_5minusIiEEEE10hipError_tPvRmT2_T3_mT4_P12ihipStream_tbEUlT_E_NS1_11comp_targetILNS1_3genE9ELNS1_11target_archE1100ELNS1_3gpuE3ELNS1_3repE0EEENS1_30default_config_static_selectorELNS0_4arch9wavefront6targetE1EEEvT1_
	.globl	_ZN7rocprim17ROCPRIM_400000_NS6detail17trampoline_kernelINS0_14default_configENS1_35adjacent_difference_config_selectorILb1EiEEZNS1_24adjacent_difference_implIS3_Lb1ELb0EPiN6thrust23THRUST_200600_302600_NS16discard_iteratorINS9_11use_defaultEEENS9_5minusIiEEEE10hipError_tPvRmT2_T3_mT4_P12ihipStream_tbEUlT_E_NS1_11comp_targetILNS1_3genE9ELNS1_11target_archE1100ELNS1_3gpuE3ELNS1_3repE0EEENS1_30default_config_static_selectorELNS0_4arch9wavefront6targetE1EEEvT1_
	.p2align	8
	.type	_ZN7rocprim17ROCPRIM_400000_NS6detail17trampoline_kernelINS0_14default_configENS1_35adjacent_difference_config_selectorILb1EiEEZNS1_24adjacent_difference_implIS3_Lb1ELb0EPiN6thrust23THRUST_200600_302600_NS16discard_iteratorINS9_11use_defaultEEENS9_5minusIiEEEE10hipError_tPvRmT2_T3_mT4_P12ihipStream_tbEUlT_E_NS1_11comp_targetILNS1_3genE9ELNS1_11target_archE1100ELNS1_3gpuE3ELNS1_3repE0EEENS1_30default_config_static_selectorELNS0_4arch9wavefront6targetE1EEEvT1_,@function
_ZN7rocprim17ROCPRIM_400000_NS6detail17trampoline_kernelINS0_14default_configENS1_35adjacent_difference_config_selectorILb1EiEEZNS1_24adjacent_difference_implIS3_Lb1ELb0EPiN6thrust23THRUST_200600_302600_NS16discard_iteratorINS9_11use_defaultEEENS9_5minusIiEEEE10hipError_tPvRmT2_T3_mT4_P12ihipStream_tbEUlT_E_NS1_11comp_targetILNS1_3genE9ELNS1_11target_archE1100ELNS1_3gpuE3ELNS1_3repE0EEENS1_30default_config_static_selectorELNS0_4arch9wavefront6targetE1EEEvT1_: ; @_ZN7rocprim17ROCPRIM_400000_NS6detail17trampoline_kernelINS0_14default_configENS1_35adjacent_difference_config_selectorILb1EiEEZNS1_24adjacent_difference_implIS3_Lb1ELb0EPiN6thrust23THRUST_200600_302600_NS16discard_iteratorINS9_11use_defaultEEENS9_5minusIiEEEE10hipError_tPvRmT2_T3_mT4_P12ihipStream_tbEUlT_E_NS1_11comp_targetILNS1_3genE9ELNS1_11target_archE1100ELNS1_3gpuE3ELNS1_3repE0EEENS1_30default_config_static_selectorELNS0_4arch9wavefront6targetE1EEEvT1_
; %bb.0:
	.section	.rodata,"a",@progbits
	.p2align	6, 0x0
	.amdhsa_kernel _ZN7rocprim17ROCPRIM_400000_NS6detail17trampoline_kernelINS0_14default_configENS1_35adjacent_difference_config_selectorILb1EiEEZNS1_24adjacent_difference_implIS3_Lb1ELb0EPiN6thrust23THRUST_200600_302600_NS16discard_iteratorINS9_11use_defaultEEENS9_5minusIiEEEE10hipError_tPvRmT2_T3_mT4_P12ihipStream_tbEUlT_E_NS1_11comp_targetILNS1_3genE9ELNS1_11target_archE1100ELNS1_3gpuE3ELNS1_3repE0EEENS1_30default_config_static_selectorELNS0_4arch9wavefront6targetE1EEEvT1_
		.amdhsa_group_segment_fixed_size 0
		.amdhsa_private_segment_fixed_size 0
		.amdhsa_kernarg_size 64
		.amdhsa_user_sgpr_count 2
		.amdhsa_user_sgpr_dispatch_ptr 0
		.amdhsa_user_sgpr_queue_ptr 0
		.amdhsa_user_sgpr_kernarg_segment_ptr 1
		.amdhsa_user_sgpr_dispatch_id 0
		.amdhsa_user_sgpr_kernarg_preload_length 0
		.amdhsa_user_sgpr_kernarg_preload_offset 0
		.amdhsa_user_sgpr_private_segment_size 0
		.amdhsa_uses_dynamic_stack 0
		.amdhsa_enable_private_segment 0
		.amdhsa_system_sgpr_workgroup_id_x 1
		.amdhsa_system_sgpr_workgroup_id_y 0
		.amdhsa_system_sgpr_workgroup_id_z 0
		.amdhsa_system_sgpr_workgroup_info 0
		.amdhsa_system_vgpr_workitem_id 0
		.amdhsa_next_free_vgpr 1
		.amdhsa_next_free_sgpr 0
		.amdhsa_accum_offset 4
		.amdhsa_reserve_vcc 0
		.amdhsa_float_round_mode_32 0
		.amdhsa_float_round_mode_16_64 0
		.amdhsa_float_denorm_mode_32 3
		.amdhsa_float_denorm_mode_16_64 3
		.amdhsa_dx10_clamp 1
		.amdhsa_ieee_mode 1
		.amdhsa_fp16_overflow 0
		.amdhsa_tg_split 0
		.amdhsa_exception_fp_ieee_invalid_op 0
		.amdhsa_exception_fp_denorm_src 0
		.amdhsa_exception_fp_ieee_div_zero 0
		.amdhsa_exception_fp_ieee_overflow 0
		.amdhsa_exception_fp_ieee_underflow 0
		.amdhsa_exception_fp_ieee_inexact 0
		.amdhsa_exception_int_div_zero 0
	.end_amdhsa_kernel
	.section	.text._ZN7rocprim17ROCPRIM_400000_NS6detail17trampoline_kernelINS0_14default_configENS1_35adjacent_difference_config_selectorILb1EiEEZNS1_24adjacent_difference_implIS3_Lb1ELb0EPiN6thrust23THRUST_200600_302600_NS16discard_iteratorINS9_11use_defaultEEENS9_5minusIiEEEE10hipError_tPvRmT2_T3_mT4_P12ihipStream_tbEUlT_E_NS1_11comp_targetILNS1_3genE9ELNS1_11target_archE1100ELNS1_3gpuE3ELNS1_3repE0EEENS1_30default_config_static_selectorELNS0_4arch9wavefront6targetE1EEEvT1_,"axG",@progbits,_ZN7rocprim17ROCPRIM_400000_NS6detail17trampoline_kernelINS0_14default_configENS1_35adjacent_difference_config_selectorILb1EiEEZNS1_24adjacent_difference_implIS3_Lb1ELb0EPiN6thrust23THRUST_200600_302600_NS16discard_iteratorINS9_11use_defaultEEENS9_5minusIiEEEE10hipError_tPvRmT2_T3_mT4_P12ihipStream_tbEUlT_E_NS1_11comp_targetILNS1_3genE9ELNS1_11target_archE1100ELNS1_3gpuE3ELNS1_3repE0EEENS1_30default_config_static_selectorELNS0_4arch9wavefront6targetE1EEEvT1_,comdat
.Lfunc_end749:
	.size	_ZN7rocprim17ROCPRIM_400000_NS6detail17trampoline_kernelINS0_14default_configENS1_35adjacent_difference_config_selectorILb1EiEEZNS1_24adjacent_difference_implIS3_Lb1ELb0EPiN6thrust23THRUST_200600_302600_NS16discard_iteratorINS9_11use_defaultEEENS9_5minusIiEEEE10hipError_tPvRmT2_T3_mT4_P12ihipStream_tbEUlT_E_NS1_11comp_targetILNS1_3genE9ELNS1_11target_archE1100ELNS1_3gpuE3ELNS1_3repE0EEENS1_30default_config_static_selectorELNS0_4arch9wavefront6targetE1EEEvT1_, .Lfunc_end749-_ZN7rocprim17ROCPRIM_400000_NS6detail17trampoline_kernelINS0_14default_configENS1_35adjacent_difference_config_selectorILb1EiEEZNS1_24adjacent_difference_implIS3_Lb1ELb0EPiN6thrust23THRUST_200600_302600_NS16discard_iteratorINS9_11use_defaultEEENS9_5minusIiEEEE10hipError_tPvRmT2_T3_mT4_P12ihipStream_tbEUlT_E_NS1_11comp_targetILNS1_3genE9ELNS1_11target_archE1100ELNS1_3gpuE3ELNS1_3repE0EEENS1_30default_config_static_selectorELNS0_4arch9wavefront6targetE1EEEvT1_
                                        ; -- End function
	.section	.AMDGPU.csdata,"",@progbits
; Kernel info:
; codeLenInByte = 0
; NumSgprs: 6
; NumVgprs: 0
; NumAgprs: 0
; TotalNumVgprs: 0
; ScratchSize: 0
; MemoryBound: 0
; FloatMode: 240
; IeeeMode: 1
; LDSByteSize: 0 bytes/workgroup (compile time only)
; SGPRBlocks: 0
; VGPRBlocks: 0
; NumSGPRsForWavesPerEU: 6
; NumVGPRsForWavesPerEU: 1
; AccumOffset: 4
; Occupancy: 8
; WaveLimiterHint : 0
; COMPUTE_PGM_RSRC2:SCRATCH_EN: 0
; COMPUTE_PGM_RSRC2:USER_SGPR: 2
; COMPUTE_PGM_RSRC2:TRAP_HANDLER: 0
; COMPUTE_PGM_RSRC2:TGID_X_EN: 1
; COMPUTE_PGM_RSRC2:TGID_Y_EN: 0
; COMPUTE_PGM_RSRC2:TGID_Z_EN: 0
; COMPUTE_PGM_RSRC2:TIDIG_COMP_CNT: 0
; COMPUTE_PGM_RSRC3_GFX90A:ACCUM_OFFSET: 0
; COMPUTE_PGM_RSRC3_GFX90A:TG_SPLIT: 0
	.section	.text._ZN7rocprim17ROCPRIM_400000_NS6detail17trampoline_kernelINS0_14default_configENS1_35adjacent_difference_config_selectorILb1EiEEZNS1_24adjacent_difference_implIS3_Lb1ELb0EPiN6thrust23THRUST_200600_302600_NS16discard_iteratorINS9_11use_defaultEEENS9_5minusIiEEEE10hipError_tPvRmT2_T3_mT4_P12ihipStream_tbEUlT_E_NS1_11comp_targetILNS1_3genE8ELNS1_11target_archE1030ELNS1_3gpuE2ELNS1_3repE0EEENS1_30default_config_static_selectorELNS0_4arch9wavefront6targetE1EEEvT1_,"axG",@progbits,_ZN7rocprim17ROCPRIM_400000_NS6detail17trampoline_kernelINS0_14default_configENS1_35adjacent_difference_config_selectorILb1EiEEZNS1_24adjacent_difference_implIS3_Lb1ELb0EPiN6thrust23THRUST_200600_302600_NS16discard_iteratorINS9_11use_defaultEEENS9_5minusIiEEEE10hipError_tPvRmT2_T3_mT4_P12ihipStream_tbEUlT_E_NS1_11comp_targetILNS1_3genE8ELNS1_11target_archE1030ELNS1_3gpuE2ELNS1_3repE0EEENS1_30default_config_static_selectorELNS0_4arch9wavefront6targetE1EEEvT1_,comdat
	.protected	_ZN7rocprim17ROCPRIM_400000_NS6detail17trampoline_kernelINS0_14default_configENS1_35adjacent_difference_config_selectorILb1EiEEZNS1_24adjacent_difference_implIS3_Lb1ELb0EPiN6thrust23THRUST_200600_302600_NS16discard_iteratorINS9_11use_defaultEEENS9_5minusIiEEEE10hipError_tPvRmT2_T3_mT4_P12ihipStream_tbEUlT_E_NS1_11comp_targetILNS1_3genE8ELNS1_11target_archE1030ELNS1_3gpuE2ELNS1_3repE0EEENS1_30default_config_static_selectorELNS0_4arch9wavefront6targetE1EEEvT1_ ; -- Begin function _ZN7rocprim17ROCPRIM_400000_NS6detail17trampoline_kernelINS0_14default_configENS1_35adjacent_difference_config_selectorILb1EiEEZNS1_24adjacent_difference_implIS3_Lb1ELb0EPiN6thrust23THRUST_200600_302600_NS16discard_iteratorINS9_11use_defaultEEENS9_5minusIiEEEE10hipError_tPvRmT2_T3_mT4_P12ihipStream_tbEUlT_E_NS1_11comp_targetILNS1_3genE8ELNS1_11target_archE1030ELNS1_3gpuE2ELNS1_3repE0EEENS1_30default_config_static_selectorELNS0_4arch9wavefront6targetE1EEEvT1_
	.globl	_ZN7rocprim17ROCPRIM_400000_NS6detail17trampoline_kernelINS0_14default_configENS1_35adjacent_difference_config_selectorILb1EiEEZNS1_24adjacent_difference_implIS3_Lb1ELb0EPiN6thrust23THRUST_200600_302600_NS16discard_iteratorINS9_11use_defaultEEENS9_5minusIiEEEE10hipError_tPvRmT2_T3_mT4_P12ihipStream_tbEUlT_E_NS1_11comp_targetILNS1_3genE8ELNS1_11target_archE1030ELNS1_3gpuE2ELNS1_3repE0EEENS1_30default_config_static_selectorELNS0_4arch9wavefront6targetE1EEEvT1_
	.p2align	8
	.type	_ZN7rocprim17ROCPRIM_400000_NS6detail17trampoline_kernelINS0_14default_configENS1_35adjacent_difference_config_selectorILb1EiEEZNS1_24adjacent_difference_implIS3_Lb1ELb0EPiN6thrust23THRUST_200600_302600_NS16discard_iteratorINS9_11use_defaultEEENS9_5minusIiEEEE10hipError_tPvRmT2_T3_mT4_P12ihipStream_tbEUlT_E_NS1_11comp_targetILNS1_3genE8ELNS1_11target_archE1030ELNS1_3gpuE2ELNS1_3repE0EEENS1_30default_config_static_selectorELNS0_4arch9wavefront6targetE1EEEvT1_,@function
_ZN7rocprim17ROCPRIM_400000_NS6detail17trampoline_kernelINS0_14default_configENS1_35adjacent_difference_config_selectorILb1EiEEZNS1_24adjacent_difference_implIS3_Lb1ELb0EPiN6thrust23THRUST_200600_302600_NS16discard_iteratorINS9_11use_defaultEEENS9_5minusIiEEEE10hipError_tPvRmT2_T3_mT4_P12ihipStream_tbEUlT_E_NS1_11comp_targetILNS1_3genE8ELNS1_11target_archE1030ELNS1_3gpuE2ELNS1_3repE0EEENS1_30default_config_static_selectorELNS0_4arch9wavefront6targetE1EEEvT1_: ; @_ZN7rocprim17ROCPRIM_400000_NS6detail17trampoline_kernelINS0_14default_configENS1_35adjacent_difference_config_selectorILb1EiEEZNS1_24adjacent_difference_implIS3_Lb1ELb0EPiN6thrust23THRUST_200600_302600_NS16discard_iteratorINS9_11use_defaultEEENS9_5minusIiEEEE10hipError_tPvRmT2_T3_mT4_P12ihipStream_tbEUlT_E_NS1_11comp_targetILNS1_3genE8ELNS1_11target_archE1030ELNS1_3gpuE2ELNS1_3repE0EEENS1_30default_config_static_selectorELNS0_4arch9wavefront6targetE1EEEvT1_
; %bb.0:
	.section	.rodata,"a",@progbits
	.p2align	6, 0x0
	.amdhsa_kernel _ZN7rocprim17ROCPRIM_400000_NS6detail17trampoline_kernelINS0_14default_configENS1_35adjacent_difference_config_selectorILb1EiEEZNS1_24adjacent_difference_implIS3_Lb1ELb0EPiN6thrust23THRUST_200600_302600_NS16discard_iteratorINS9_11use_defaultEEENS9_5minusIiEEEE10hipError_tPvRmT2_T3_mT4_P12ihipStream_tbEUlT_E_NS1_11comp_targetILNS1_3genE8ELNS1_11target_archE1030ELNS1_3gpuE2ELNS1_3repE0EEENS1_30default_config_static_selectorELNS0_4arch9wavefront6targetE1EEEvT1_
		.amdhsa_group_segment_fixed_size 0
		.amdhsa_private_segment_fixed_size 0
		.amdhsa_kernarg_size 64
		.amdhsa_user_sgpr_count 2
		.amdhsa_user_sgpr_dispatch_ptr 0
		.amdhsa_user_sgpr_queue_ptr 0
		.amdhsa_user_sgpr_kernarg_segment_ptr 1
		.amdhsa_user_sgpr_dispatch_id 0
		.amdhsa_user_sgpr_kernarg_preload_length 0
		.amdhsa_user_sgpr_kernarg_preload_offset 0
		.amdhsa_user_sgpr_private_segment_size 0
		.amdhsa_uses_dynamic_stack 0
		.amdhsa_enable_private_segment 0
		.amdhsa_system_sgpr_workgroup_id_x 1
		.amdhsa_system_sgpr_workgroup_id_y 0
		.amdhsa_system_sgpr_workgroup_id_z 0
		.amdhsa_system_sgpr_workgroup_info 0
		.amdhsa_system_vgpr_workitem_id 0
		.amdhsa_next_free_vgpr 1
		.amdhsa_next_free_sgpr 0
		.amdhsa_accum_offset 4
		.amdhsa_reserve_vcc 0
		.amdhsa_float_round_mode_32 0
		.amdhsa_float_round_mode_16_64 0
		.amdhsa_float_denorm_mode_32 3
		.amdhsa_float_denorm_mode_16_64 3
		.amdhsa_dx10_clamp 1
		.amdhsa_ieee_mode 1
		.amdhsa_fp16_overflow 0
		.amdhsa_tg_split 0
		.amdhsa_exception_fp_ieee_invalid_op 0
		.amdhsa_exception_fp_denorm_src 0
		.amdhsa_exception_fp_ieee_div_zero 0
		.amdhsa_exception_fp_ieee_overflow 0
		.amdhsa_exception_fp_ieee_underflow 0
		.amdhsa_exception_fp_ieee_inexact 0
		.amdhsa_exception_int_div_zero 0
	.end_amdhsa_kernel
	.section	.text._ZN7rocprim17ROCPRIM_400000_NS6detail17trampoline_kernelINS0_14default_configENS1_35adjacent_difference_config_selectorILb1EiEEZNS1_24adjacent_difference_implIS3_Lb1ELb0EPiN6thrust23THRUST_200600_302600_NS16discard_iteratorINS9_11use_defaultEEENS9_5minusIiEEEE10hipError_tPvRmT2_T3_mT4_P12ihipStream_tbEUlT_E_NS1_11comp_targetILNS1_3genE8ELNS1_11target_archE1030ELNS1_3gpuE2ELNS1_3repE0EEENS1_30default_config_static_selectorELNS0_4arch9wavefront6targetE1EEEvT1_,"axG",@progbits,_ZN7rocprim17ROCPRIM_400000_NS6detail17trampoline_kernelINS0_14default_configENS1_35adjacent_difference_config_selectorILb1EiEEZNS1_24adjacent_difference_implIS3_Lb1ELb0EPiN6thrust23THRUST_200600_302600_NS16discard_iteratorINS9_11use_defaultEEENS9_5minusIiEEEE10hipError_tPvRmT2_T3_mT4_P12ihipStream_tbEUlT_E_NS1_11comp_targetILNS1_3genE8ELNS1_11target_archE1030ELNS1_3gpuE2ELNS1_3repE0EEENS1_30default_config_static_selectorELNS0_4arch9wavefront6targetE1EEEvT1_,comdat
.Lfunc_end750:
	.size	_ZN7rocprim17ROCPRIM_400000_NS6detail17trampoline_kernelINS0_14default_configENS1_35adjacent_difference_config_selectorILb1EiEEZNS1_24adjacent_difference_implIS3_Lb1ELb0EPiN6thrust23THRUST_200600_302600_NS16discard_iteratorINS9_11use_defaultEEENS9_5minusIiEEEE10hipError_tPvRmT2_T3_mT4_P12ihipStream_tbEUlT_E_NS1_11comp_targetILNS1_3genE8ELNS1_11target_archE1030ELNS1_3gpuE2ELNS1_3repE0EEENS1_30default_config_static_selectorELNS0_4arch9wavefront6targetE1EEEvT1_, .Lfunc_end750-_ZN7rocprim17ROCPRIM_400000_NS6detail17trampoline_kernelINS0_14default_configENS1_35adjacent_difference_config_selectorILb1EiEEZNS1_24adjacent_difference_implIS3_Lb1ELb0EPiN6thrust23THRUST_200600_302600_NS16discard_iteratorINS9_11use_defaultEEENS9_5minusIiEEEE10hipError_tPvRmT2_T3_mT4_P12ihipStream_tbEUlT_E_NS1_11comp_targetILNS1_3genE8ELNS1_11target_archE1030ELNS1_3gpuE2ELNS1_3repE0EEENS1_30default_config_static_selectorELNS0_4arch9wavefront6targetE1EEEvT1_
                                        ; -- End function
	.section	.AMDGPU.csdata,"",@progbits
; Kernel info:
; codeLenInByte = 0
; NumSgprs: 6
; NumVgprs: 0
; NumAgprs: 0
; TotalNumVgprs: 0
; ScratchSize: 0
; MemoryBound: 0
; FloatMode: 240
; IeeeMode: 1
; LDSByteSize: 0 bytes/workgroup (compile time only)
; SGPRBlocks: 0
; VGPRBlocks: 0
; NumSGPRsForWavesPerEU: 6
; NumVGPRsForWavesPerEU: 1
; AccumOffset: 4
; Occupancy: 8
; WaveLimiterHint : 0
; COMPUTE_PGM_RSRC2:SCRATCH_EN: 0
; COMPUTE_PGM_RSRC2:USER_SGPR: 2
; COMPUTE_PGM_RSRC2:TRAP_HANDLER: 0
; COMPUTE_PGM_RSRC2:TGID_X_EN: 1
; COMPUTE_PGM_RSRC2:TGID_Y_EN: 0
; COMPUTE_PGM_RSRC2:TGID_Z_EN: 0
; COMPUTE_PGM_RSRC2:TIDIG_COMP_CNT: 0
; COMPUTE_PGM_RSRC3_GFX90A:ACCUM_OFFSET: 0
; COMPUTE_PGM_RSRC3_GFX90A:TG_SPLIT: 0
	.section	.text._ZN7rocprim17ROCPRIM_400000_NS6detail17trampoline_kernelINS0_14default_configENS1_25transform_config_selectorIjLb0EEEZNS1_14transform_implILb0ES3_S5_NS0_18transform_iteratorINS0_17counting_iteratorImlEEZNS1_24adjacent_difference_implIS3_Lb1ELb0EPjN6thrust23THRUST_200600_302600_NS16discard_iteratorINSD_11use_defaultEEENSD_5minusIjEEEE10hipError_tPvRmT2_T3_mT4_P12ihipStream_tbEUlmE_jEESB_NS0_8identityIvEEEESJ_SM_SN_mSO_SQ_bEUlT_E_NS1_11comp_targetILNS1_3genE0ELNS1_11target_archE4294967295ELNS1_3gpuE0ELNS1_3repE0EEENS1_30default_config_static_selectorELNS0_4arch9wavefront6targetE1EEEvT1_,"axG",@progbits,_ZN7rocprim17ROCPRIM_400000_NS6detail17trampoline_kernelINS0_14default_configENS1_25transform_config_selectorIjLb0EEEZNS1_14transform_implILb0ES3_S5_NS0_18transform_iteratorINS0_17counting_iteratorImlEEZNS1_24adjacent_difference_implIS3_Lb1ELb0EPjN6thrust23THRUST_200600_302600_NS16discard_iteratorINSD_11use_defaultEEENSD_5minusIjEEEE10hipError_tPvRmT2_T3_mT4_P12ihipStream_tbEUlmE_jEESB_NS0_8identityIvEEEESJ_SM_SN_mSO_SQ_bEUlT_E_NS1_11comp_targetILNS1_3genE0ELNS1_11target_archE4294967295ELNS1_3gpuE0ELNS1_3repE0EEENS1_30default_config_static_selectorELNS0_4arch9wavefront6targetE1EEEvT1_,comdat
	.protected	_ZN7rocprim17ROCPRIM_400000_NS6detail17trampoline_kernelINS0_14default_configENS1_25transform_config_selectorIjLb0EEEZNS1_14transform_implILb0ES3_S5_NS0_18transform_iteratorINS0_17counting_iteratorImlEEZNS1_24adjacent_difference_implIS3_Lb1ELb0EPjN6thrust23THRUST_200600_302600_NS16discard_iteratorINSD_11use_defaultEEENSD_5minusIjEEEE10hipError_tPvRmT2_T3_mT4_P12ihipStream_tbEUlmE_jEESB_NS0_8identityIvEEEESJ_SM_SN_mSO_SQ_bEUlT_E_NS1_11comp_targetILNS1_3genE0ELNS1_11target_archE4294967295ELNS1_3gpuE0ELNS1_3repE0EEENS1_30default_config_static_selectorELNS0_4arch9wavefront6targetE1EEEvT1_ ; -- Begin function _ZN7rocprim17ROCPRIM_400000_NS6detail17trampoline_kernelINS0_14default_configENS1_25transform_config_selectorIjLb0EEEZNS1_14transform_implILb0ES3_S5_NS0_18transform_iteratorINS0_17counting_iteratorImlEEZNS1_24adjacent_difference_implIS3_Lb1ELb0EPjN6thrust23THRUST_200600_302600_NS16discard_iteratorINSD_11use_defaultEEENSD_5minusIjEEEE10hipError_tPvRmT2_T3_mT4_P12ihipStream_tbEUlmE_jEESB_NS0_8identityIvEEEESJ_SM_SN_mSO_SQ_bEUlT_E_NS1_11comp_targetILNS1_3genE0ELNS1_11target_archE4294967295ELNS1_3gpuE0ELNS1_3repE0EEENS1_30default_config_static_selectorELNS0_4arch9wavefront6targetE1EEEvT1_
	.globl	_ZN7rocprim17ROCPRIM_400000_NS6detail17trampoline_kernelINS0_14default_configENS1_25transform_config_selectorIjLb0EEEZNS1_14transform_implILb0ES3_S5_NS0_18transform_iteratorINS0_17counting_iteratorImlEEZNS1_24adjacent_difference_implIS3_Lb1ELb0EPjN6thrust23THRUST_200600_302600_NS16discard_iteratorINSD_11use_defaultEEENSD_5minusIjEEEE10hipError_tPvRmT2_T3_mT4_P12ihipStream_tbEUlmE_jEESB_NS0_8identityIvEEEESJ_SM_SN_mSO_SQ_bEUlT_E_NS1_11comp_targetILNS1_3genE0ELNS1_11target_archE4294967295ELNS1_3gpuE0ELNS1_3repE0EEENS1_30default_config_static_selectorELNS0_4arch9wavefront6targetE1EEEvT1_
	.p2align	8
	.type	_ZN7rocprim17ROCPRIM_400000_NS6detail17trampoline_kernelINS0_14default_configENS1_25transform_config_selectorIjLb0EEEZNS1_14transform_implILb0ES3_S5_NS0_18transform_iteratorINS0_17counting_iteratorImlEEZNS1_24adjacent_difference_implIS3_Lb1ELb0EPjN6thrust23THRUST_200600_302600_NS16discard_iteratorINSD_11use_defaultEEENSD_5minusIjEEEE10hipError_tPvRmT2_T3_mT4_P12ihipStream_tbEUlmE_jEESB_NS0_8identityIvEEEESJ_SM_SN_mSO_SQ_bEUlT_E_NS1_11comp_targetILNS1_3genE0ELNS1_11target_archE4294967295ELNS1_3gpuE0ELNS1_3repE0EEENS1_30default_config_static_selectorELNS0_4arch9wavefront6targetE1EEEvT1_,@function
_ZN7rocprim17ROCPRIM_400000_NS6detail17trampoline_kernelINS0_14default_configENS1_25transform_config_selectorIjLb0EEEZNS1_14transform_implILb0ES3_S5_NS0_18transform_iteratorINS0_17counting_iteratorImlEEZNS1_24adjacent_difference_implIS3_Lb1ELb0EPjN6thrust23THRUST_200600_302600_NS16discard_iteratorINSD_11use_defaultEEENSD_5minusIjEEEE10hipError_tPvRmT2_T3_mT4_P12ihipStream_tbEUlmE_jEESB_NS0_8identityIvEEEESJ_SM_SN_mSO_SQ_bEUlT_E_NS1_11comp_targetILNS1_3genE0ELNS1_11target_archE4294967295ELNS1_3gpuE0ELNS1_3repE0EEENS1_30default_config_static_selectorELNS0_4arch9wavefront6targetE1EEEvT1_: ; @_ZN7rocprim17ROCPRIM_400000_NS6detail17trampoline_kernelINS0_14default_configENS1_25transform_config_selectorIjLb0EEEZNS1_14transform_implILb0ES3_S5_NS0_18transform_iteratorINS0_17counting_iteratorImlEEZNS1_24adjacent_difference_implIS3_Lb1ELb0EPjN6thrust23THRUST_200600_302600_NS16discard_iteratorINSD_11use_defaultEEENSD_5minusIjEEEE10hipError_tPvRmT2_T3_mT4_P12ihipStream_tbEUlmE_jEESB_NS0_8identityIvEEEESJ_SM_SN_mSO_SQ_bEUlT_E_NS1_11comp_targetILNS1_3genE0ELNS1_11target_archE4294967295ELNS1_3gpuE0ELNS1_3repE0EEENS1_30default_config_static_selectorELNS0_4arch9wavefront6targetE1EEEvT1_
; %bb.0:
	.section	.rodata,"a",@progbits
	.p2align	6, 0x0
	.amdhsa_kernel _ZN7rocprim17ROCPRIM_400000_NS6detail17trampoline_kernelINS0_14default_configENS1_25transform_config_selectorIjLb0EEEZNS1_14transform_implILb0ES3_S5_NS0_18transform_iteratorINS0_17counting_iteratorImlEEZNS1_24adjacent_difference_implIS3_Lb1ELb0EPjN6thrust23THRUST_200600_302600_NS16discard_iteratorINSD_11use_defaultEEENSD_5minusIjEEEE10hipError_tPvRmT2_T3_mT4_P12ihipStream_tbEUlmE_jEESB_NS0_8identityIvEEEESJ_SM_SN_mSO_SQ_bEUlT_E_NS1_11comp_targetILNS1_3genE0ELNS1_11target_archE4294967295ELNS1_3gpuE0ELNS1_3repE0EEENS1_30default_config_static_selectorELNS0_4arch9wavefront6targetE1EEEvT1_
		.amdhsa_group_segment_fixed_size 0
		.amdhsa_private_segment_fixed_size 0
		.amdhsa_kernarg_size 56
		.amdhsa_user_sgpr_count 2
		.amdhsa_user_sgpr_dispatch_ptr 0
		.amdhsa_user_sgpr_queue_ptr 0
		.amdhsa_user_sgpr_kernarg_segment_ptr 1
		.amdhsa_user_sgpr_dispatch_id 0
		.amdhsa_user_sgpr_kernarg_preload_length 0
		.amdhsa_user_sgpr_kernarg_preload_offset 0
		.amdhsa_user_sgpr_private_segment_size 0
		.amdhsa_uses_dynamic_stack 0
		.amdhsa_enable_private_segment 0
		.amdhsa_system_sgpr_workgroup_id_x 1
		.amdhsa_system_sgpr_workgroup_id_y 0
		.amdhsa_system_sgpr_workgroup_id_z 0
		.amdhsa_system_sgpr_workgroup_info 0
		.amdhsa_system_vgpr_workitem_id 0
		.amdhsa_next_free_vgpr 1
		.amdhsa_next_free_sgpr 0
		.amdhsa_accum_offset 4
		.amdhsa_reserve_vcc 0
		.amdhsa_float_round_mode_32 0
		.amdhsa_float_round_mode_16_64 0
		.amdhsa_float_denorm_mode_32 3
		.amdhsa_float_denorm_mode_16_64 3
		.amdhsa_dx10_clamp 1
		.amdhsa_ieee_mode 1
		.amdhsa_fp16_overflow 0
		.amdhsa_tg_split 0
		.amdhsa_exception_fp_ieee_invalid_op 0
		.amdhsa_exception_fp_denorm_src 0
		.amdhsa_exception_fp_ieee_div_zero 0
		.amdhsa_exception_fp_ieee_overflow 0
		.amdhsa_exception_fp_ieee_underflow 0
		.amdhsa_exception_fp_ieee_inexact 0
		.amdhsa_exception_int_div_zero 0
	.end_amdhsa_kernel
	.section	.text._ZN7rocprim17ROCPRIM_400000_NS6detail17trampoline_kernelINS0_14default_configENS1_25transform_config_selectorIjLb0EEEZNS1_14transform_implILb0ES3_S5_NS0_18transform_iteratorINS0_17counting_iteratorImlEEZNS1_24adjacent_difference_implIS3_Lb1ELb0EPjN6thrust23THRUST_200600_302600_NS16discard_iteratorINSD_11use_defaultEEENSD_5minusIjEEEE10hipError_tPvRmT2_T3_mT4_P12ihipStream_tbEUlmE_jEESB_NS0_8identityIvEEEESJ_SM_SN_mSO_SQ_bEUlT_E_NS1_11comp_targetILNS1_3genE0ELNS1_11target_archE4294967295ELNS1_3gpuE0ELNS1_3repE0EEENS1_30default_config_static_selectorELNS0_4arch9wavefront6targetE1EEEvT1_,"axG",@progbits,_ZN7rocprim17ROCPRIM_400000_NS6detail17trampoline_kernelINS0_14default_configENS1_25transform_config_selectorIjLb0EEEZNS1_14transform_implILb0ES3_S5_NS0_18transform_iteratorINS0_17counting_iteratorImlEEZNS1_24adjacent_difference_implIS3_Lb1ELb0EPjN6thrust23THRUST_200600_302600_NS16discard_iteratorINSD_11use_defaultEEENSD_5minusIjEEEE10hipError_tPvRmT2_T3_mT4_P12ihipStream_tbEUlmE_jEESB_NS0_8identityIvEEEESJ_SM_SN_mSO_SQ_bEUlT_E_NS1_11comp_targetILNS1_3genE0ELNS1_11target_archE4294967295ELNS1_3gpuE0ELNS1_3repE0EEENS1_30default_config_static_selectorELNS0_4arch9wavefront6targetE1EEEvT1_,comdat
.Lfunc_end751:
	.size	_ZN7rocprim17ROCPRIM_400000_NS6detail17trampoline_kernelINS0_14default_configENS1_25transform_config_selectorIjLb0EEEZNS1_14transform_implILb0ES3_S5_NS0_18transform_iteratorINS0_17counting_iteratorImlEEZNS1_24adjacent_difference_implIS3_Lb1ELb0EPjN6thrust23THRUST_200600_302600_NS16discard_iteratorINSD_11use_defaultEEENSD_5minusIjEEEE10hipError_tPvRmT2_T3_mT4_P12ihipStream_tbEUlmE_jEESB_NS0_8identityIvEEEESJ_SM_SN_mSO_SQ_bEUlT_E_NS1_11comp_targetILNS1_3genE0ELNS1_11target_archE4294967295ELNS1_3gpuE0ELNS1_3repE0EEENS1_30default_config_static_selectorELNS0_4arch9wavefront6targetE1EEEvT1_, .Lfunc_end751-_ZN7rocprim17ROCPRIM_400000_NS6detail17trampoline_kernelINS0_14default_configENS1_25transform_config_selectorIjLb0EEEZNS1_14transform_implILb0ES3_S5_NS0_18transform_iteratorINS0_17counting_iteratorImlEEZNS1_24adjacent_difference_implIS3_Lb1ELb0EPjN6thrust23THRUST_200600_302600_NS16discard_iteratorINSD_11use_defaultEEENSD_5minusIjEEEE10hipError_tPvRmT2_T3_mT4_P12ihipStream_tbEUlmE_jEESB_NS0_8identityIvEEEESJ_SM_SN_mSO_SQ_bEUlT_E_NS1_11comp_targetILNS1_3genE0ELNS1_11target_archE4294967295ELNS1_3gpuE0ELNS1_3repE0EEENS1_30default_config_static_selectorELNS0_4arch9wavefront6targetE1EEEvT1_
                                        ; -- End function
	.section	.AMDGPU.csdata,"",@progbits
; Kernel info:
; codeLenInByte = 0
; NumSgprs: 6
; NumVgprs: 0
; NumAgprs: 0
; TotalNumVgprs: 0
; ScratchSize: 0
; MemoryBound: 0
; FloatMode: 240
; IeeeMode: 1
; LDSByteSize: 0 bytes/workgroup (compile time only)
; SGPRBlocks: 0
; VGPRBlocks: 0
; NumSGPRsForWavesPerEU: 6
; NumVGPRsForWavesPerEU: 1
; AccumOffset: 4
; Occupancy: 8
; WaveLimiterHint : 0
; COMPUTE_PGM_RSRC2:SCRATCH_EN: 0
; COMPUTE_PGM_RSRC2:USER_SGPR: 2
; COMPUTE_PGM_RSRC2:TRAP_HANDLER: 0
; COMPUTE_PGM_RSRC2:TGID_X_EN: 1
; COMPUTE_PGM_RSRC2:TGID_Y_EN: 0
; COMPUTE_PGM_RSRC2:TGID_Z_EN: 0
; COMPUTE_PGM_RSRC2:TIDIG_COMP_CNT: 0
; COMPUTE_PGM_RSRC3_GFX90A:ACCUM_OFFSET: 0
; COMPUTE_PGM_RSRC3_GFX90A:TG_SPLIT: 0
	.section	.text._ZN7rocprim17ROCPRIM_400000_NS6detail17trampoline_kernelINS0_14default_configENS1_25transform_config_selectorIjLb0EEEZNS1_14transform_implILb0ES3_S5_NS0_18transform_iteratorINS0_17counting_iteratorImlEEZNS1_24adjacent_difference_implIS3_Lb1ELb0EPjN6thrust23THRUST_200600_302600_NS16discard_iteratorINSD_11use_defaultEEENSD_5minusIjEEEE10hipError_tPvRmT2_T3_mT4_P12ihipStream_tbEUlmE_jEESB_NS0_8identityIvEEEESJ_SM_SN_mSO_SQ_bEUlT_E_NS1_11comp_targetILNS1_3genE5ELNS1_11target_archE942ELNS1_3gpuE9ELNS1_3repE0EEENS1_30default_config_static_selectorELNS0_4arch9wavefront6targetE1EEEvT1_,"axG",@progbits,_ZN7rocprim17ROCPRIM_400000_NS6detail17trampoline_kernelINS0_14default_configENS1_25transform_config_selectorIjLb0EEEZNS1_14transform_implILb0ES3_S5_NS0_18transform_iteratorINS0_17counting_iteratorImlEEZNS1_24adjacent_difference_implIS3_Lb1ELb0EPjN6thrust23THRUST_200600_302600_NS16discard_iteratorINSD_11use_defaultEEENSD_5minusIjEEEE10hipError_tPvRmT2_T3_mT4_P12ihipStream_tbEUlmE_jEESB_NS0_8identityIvEEEESJ_SM_SN_mSO_SQ_bEUlT_E_NS1_11comp_targetILNS1_3genE5ELNS1_11target_archE942ELNS1_3gpuE9ELNS1_3repE0EEENS1_30default_config_static_selectorELNS0_4arch9wavefront6targetE1EEEvT1_,comdat
	.protected	_ZN7rocprim17ROCPRIM_400000_NS6detail17trampoline_kernelINS0_14default_configENS1_25transform_config_selectorIjLb0EEEZNS1_14transform_implILb0ES3_S5_NS0_18transform_iteratorINS0_17counting_iteratorImlEEZNS1_24adjacent_difference_implIS3_Lb1ELb0EPjN6thrust23THRUST_200600_302600_NS16discard_iteratorINSD_11use_defaultEEENSD_5minusIjEEEE10hipError_tPvRmT2_T3_mT4_P12ihipStream_tbEUlmE_jEESB_NS0_8identityIvEEEESJ_SM_SN_mSO_SQ_bEUlT_E_NS1_11comp_targetILNS1_3genE5ELNS1_11target_archE942ELNS1_3gpuE9ELNS1_3repE0EEENS1_30default_config_static_selectorELNS0_4arch9wavefront6targetE1EEEvT1_ ; -- Begin function _ZN7rocprim17ROCPRIM_400000_NS6detail17trampoline_kernelINS0_14default_configENS1_25transform_config_selectorIjLb0EEEZNS1_14transform_implILb0ES3_S5_NS0_18transform_iteratorINS0_17counting_iteratorImlEEZNS1_24adjacent_difference_implIS3_Lb1ELb0EPjN6thrust23THRUST_200600_302600_NS16discard_iteratorINSD_11use_defaultEEENSD_5minusIjEEEE10hipError_tPvRmT2_T3_mT4_P12ihipStream_tbEUlmE_jEESB_NS0_8identityIvEEEESJ_SM_SN_mSO_SQ_bEUlT_E_NS1_11comp_targetILNS1_3genE5ELNS1_11target_archE942ELNS1_3gpuE9ELNS1_3repE0EEENS1_30default_config_static_selectorELNS0_4arch9wavefront6targetE1EEEvT1_
	.globl	_ZN7rocprim17ROCPRIM_400000_NS6detail17trampoline_kernelINS0_14default_configENS1_25transform_config_selectorIjLb0EEEZNS1_14transform_implILb0ES3_S5_NS0_18transform_iteratorINS0_17counting_iteratorImlEEZNS1_24adjacent_difference_implIS3_Lb1ELb0EPjN6thrust23THRUST_200600_302600_NS16discard_iteratorINSD_11use_defaultEEENSD_5minusIjEEEE10hipError_tPvRmT2_T3_mT4_P12ihipStream_tbEUlmE_jEESB_NS0_8identityIvEEEESJ_SM_SN_mSO_SQ_bEUlT_E_NS1_11comp_targetILNS1_3genE5ELNS1_11target_archE942ELNS1_3gpuE9ELNS1_3repE0EEENS1_30default_config_static_selectorELNS0_4arch9wavefront6targetE1EEEvT1_
	.p2align	8
	.type	_ZN7rocprim17ROCPRIM_400000_NS6detail17trampoline_kernelINS0_14default_configENS1_25transform_config_selectorIjLb0EEEZNS1_14transform_implILb0ES3_S5_NS0_18transform_iteratorINS0_17counting_iteratorImlEEZNS1_24adjacent_difference_implIS3_Lb1ELb0EPjN6thrust23THRUST_200600_302600_NS16discard_iteratorINSD_11use_defaultEEENSD_5minusIjEEEE10hipError_tPvRmT2_T3_mT4_P12ihipStream_tbEUlmE_jEESB_NS0_8identityIvEEEESJ_SM_SN_mSO_SQ_bEUlT_E_NS1_11comp_targetILNS1_3genE5ELNS1_11target_archE942ELNS1_3gpuE9ELNS1_3repE0EEENS1_30default_config_static_selectorELNS0_4arch9wavefront6targetE1EEEvT1_,@function
_ZN7rocprim17ROCPRIM_400000_NS6detail17trampoline_kernelINS0_14default_configENS1_25transform_config_selectorIjLb0EEEZNS1_14transform_implILb0ES3_S5_NS0_18transform_iteratorINS0_17counting_iteratorImlEEZNS1_24adjacent_difference_implIS3_Lb1ELb0EPjN6thrust23THRUST_200600_302600_NS16discard_iteratorINSD_11use_defaultEEENSD_5minusIjEEEE10hipError_tPvRmT2_T3_mT4_P12ihipStream_tbEUlmE_jEESB_NS0_8identityIvEEEESJ_SM_SN_mSO_SQ_bEUlT_E_NS1_11comp_targetILNS1_3genE5ELNS1_11target_archE942ELNS1_3gpuE9ELNS1_3repE0EEENS1_30default_config_static_selectorELNS0_4arch9wavefront6targetE1EEEvT1_: ; @_ZN7rocprim17ROCPRIM_400000_NS6detail17trampoline_kernelINS0_14default_configENS1_25transform_config_selectorIjLb0EEEZNS1_14transform_implILb0ES3_S5_NS0_18transform_iteratorINS0_17counting_iteratorImlEEZNS1_24adjacent_difference_implIS3_Lb1ELb0EPjN6thrust23THRUST_200600_302600_NS16discard_iteratorINSD_11use_defaultEEENSD_5minusIjEEEE10hipError_tPvRmT2_T3_mT4_P12ihipStream_tbEUlmE_jEESB_NS0_8identityIvEEEESJ_SM_SN_mSO_SQ_bEUlT_E_NS1_11comp_targetILNS1_3genE5ELNS1_11target_archE942ELNS1_3gpuE9ELNS1_3repE0EEENS1_30default_config_static_selectorELNS0_4arch9wavefront6targetE1EEEvT1_
; %bb.0:
	s_load_dwordx4 s[8:11], s[0:1], 0x18
	s_load_dwordx2 s[14:15], s[0:1], 0x28
	s_load_dwordx4 s[4:7], s[0:1], 0x0
	s_load_dword s12, s[0:1], 0x10
	s_load_dword s3, s[0:1], 0x38
	s_waitcnt lgkmcnt(0)
	s_lshl_b64 s[0:1], s[8:9], 2
	s_add_u32 s18, s14, s0
	s_addc_u32 s19, s15, s1
	s_lshl_b32 s14, s2, 11
	s_add_i32 s3, s3, -1
	s_add_u32 s0, s4, s14
	s_addc_u32 s1, s5, 0
	s_add_u32 s16, s0, s8
	s_addc_u32 s17, s1, s9
	s_mov_b32 s15, 0
	s_cmp_lg_u32 s2, s3
	v_lshlrev_b32_e32 v6, 2, v0
	s_cbranch_scc0 .LBB752_2
; %bb.1:
	v_mov_b32_e32 v1, 0
	v_lshl_add_u64 v[2:3], s[16:17], 0, v[0:1]
	v_mad_u64_u32 v[4:5], s[0:1], v2, s12, 0
	v_mov_b32_e32 v2, v5
	v_mad_u64_u32 v[2:3], s[0:1], v3, s12, v[2:3]
	s_mov_b32 s13, s15
	v_mov_b32_e32 v5, v2
	v_lshl_add_u64 v[2:3], v[4:5], 2, s[6:7]
	s_lshl_b64 s[0:1], s[12:13], 11
	v_lshl_add_u64 v[4:5], v[2:3], 0, s[0:1]
	v_lshl_add_u64 v[8:9], v[4:5], 0, s[0:1]
	global_load_dword v10, v[2:3], off
	global_load_dword v11, v[4:5], off
	;; [unrolled: 1-line block ×3, first 2 shown]
	v_lshl_add_u64 v[2:3], v[8:9], 0, s[0:1]
	global_load_dword v2, v[2:3], off
	s_lshl_b64 s[2:3], s[14:15], 2
	s_add_u32 s2, s18, s2
	v_mov_b32_e32 v7, v1
	s_addc_u32 s3, s19, s3
	v_lshl_add_u64 v[8:9], s[2:3], 0, v[6:7]
	v_add_co_u32_e32 v4, vcc, 0x1000, v8
	s_nop 1
	v_addc_co_u32_e32 v5, vcc, 0, v9, vcc
	s_mov_b64 s[8:9], -1
	s_waitcnt vmcnt(3)
	global_store_dword v6, v10, s[2:3]
	s_waitcnt vmcnt(3)
	global_store_dword v6, v11, s[2:3] offset:2048
	s_waitcnt vmcnt(3)
	global_store_dword v[4:5], v12, off
	s_cbranch_execz .LBB752_3
	s_branch .LBB752_17
.LBB752_2:
	s_mov_b64 s[8:9], 0
                                        ; implicit-def: $vgpr2
                                        ; implicit-def: $vgpr8_vgpr9
.LBB752_3:
	s_sub_i32 s10, s10, s14
	v_cmp_gt_u32_e32 vcc, s10, v0
                                        ; implicit-def: $vgpr2_vgpr3_vgpr4_vgpr5
	s_and_saveexec_b64 s[0:1], vcc
	s_cbranch_execz .LBB752_5
; %bb.4:
	v_mov_b32_e32 v1, 0
	s_waitcnt vmcnt(3)
	v_lshl_add_u64 v[2:3], s[16:17], 0, v[0:1]
	v_mad_u64_u32 v[4:5], s[2:3], v2, s12, 0
	v_mov_b32_e32 v2, v5
	v_mad_u64_u32 v[2:3], s[2:3], v3, s12, v[2:3]
	v_mov_b32_e32 v5, v2
	v_lshl_add_u64 v[2:3], v[4:5], 2, s[6:7]
	global_load_dword v2, v[2:3], off
.LBB752_5:
	s_or_b64 exec, exec, s[0:1]
	v_or_b32_e32 v8, 0x200, v0
	v_cmp_gt_u32_e64 s[0:1], s10, v8
	s_and_saveexec_b64 s[2:3], s[0:1]
	s_cbranch_execz .LBB752_7
; %bb.6:
	v_mov_b32_e32 v9, 0
	v_lshl_add_u64 v[8:9], s[16:17], 0, v[8:9]
	v_mad_u64_u32 v[10:11], s[4:5], v8, s12, 0
	v_mov_b32_e32 v8, v11
	v_mad_u64_u32 v[8:9], s[4:5], v9, s12, v[8:9]
	v_mov_b32_e32 v11, v8
	v_lshl_add_u64 v[8:9], v[10:11], 2, s[6:7]
	global_load_dword v3, v[8:9], off
.LBB752_7:
	s_or_b64 exec, exec, s[2:3]
	v_or_b32_e32 v8, 0x400, v0
	v_cmp_gt_u32_e64 s[2:3], s10, v8
	s_and_saveexec_b64 s[4:5], s[2:3]
	s_cbranch_execz .LBB752_9
; %bb.8:
	v_mov_b32_e32 v9, 0
	v_lshl_add_u64 v[8:9], s[16:17], 0, v[8:9]
	v_mad_u64_u32 v[10:11], s[20:21], v8, s12, 0
	v_mov_b32_e32 v4, v11
	v_mad_u64_u32 v[8:9], s[20:21], v9, s12, v[4:5]
	v_mov_b32_e32 v11, v8
	v_lshl_add_u64 v[8:9], v[10:11], 2, s[6:7]
	global_load_dword v4, v[8:9], off
.LBB752_9:
	;; [unrolled: 15-line block ×3, first 2 shown]
	s_or_b64 exec, exec, s[10:11]
	s_lshl_b64 s[6:7], s[14:15], 2
	s_add_u32 s6, s18, s6
	s_addc_u32 s7, s19, s7
	v_mov_b32_e32 v7, 0
	v_lshl_add_u64 v[8:9], s[6:7], 0, v[6:7]
	s_and_saveexec_b64 s[6:7], vcc
	s_cbranch_execnz .LBB752_20
; %bb.12:
	s_or_b64 exec, exec, s[6:7]
	s_and_saveexec_b64 s[6:7], s[0:1]
	s_cbranch_execnz .LBB752_21
.LBB752_13:
	s_or_b64 exec, exec, s[6:7]
	s_and_saveexec_b64 s[0:1], s[2:3]
	s_cbranch_execnz .LBB752_22
.LBB752_14:
	s_or_b64 exec, exec, s[0:1]
                                        ; implicit-def: $vgpr2
	s_and_saveexec_b64 s[0:1], s[4:5]
	s_cbranch_execz .LBB752_16
.LBB752_15:
	s_waitcnt vmcnt(0)
	v_cndmask_b32_e64 v2, v5, v5, s[4:5]
	s_or_b64 s[8:9], s[8:9], exec
.LBB752_16:
	s_or_b64 exec, exec, s[0:1]
.LBB752_17:
	s_and_saveexec_b64 s[0:1], s[8:9]
	s_cbranch_execnz .LBB752_19
; %bb.18:
	s_endpgm
.LBB752_19:
	v_add_co_u32_e32 v0, vcc, 0x1000, v8
	s_nop 1
	v_addc_co_u32_e32 v1, vcc, 0, v9, vcc
	s_waitcnt vmcnt(0)
	global_store_dword v[0:1], v2, off offset:2048
	s_endpgm
.LBB752_20:
	s_waitcnt vmcnt(0)
	global_store_dword v[8:9], v2, off
	s_or_b64 exec, exec, s[6:7]
	s_and_saveexec_b64 s[6:7], s[0:1]
	s_cbranch_execz .LBB752_13
.LBB752_21:
	s_waitcnt vmcnt(0)
	global_store_dword v[8:9], v3, off offset:2048
	s_or_b64 exec, exec, s[6:7]
	s_and_saveexec_b64 s[0:1], s[2:3]
	s_cbranch_execz .LBB752_14
.LBB752_22:
	v_add_co_u32_e32 v0, vcc, 0x1000, v8
	s_waitcnt vmcnt(0)
	v_cndmask_b32_e64 v2, v4, v4, s[2:3]
	v_addc_co_u32_e32 v1, vcc, 0, v9, vcc
	global_store_dword v[0:1], v2, off
	s_or_b64 exec, exec, s[0:1]
                                        ; implicit-def: $vgpr2
	s_and_saveexec_b64 s[0:1], s[4:5]
	s_cbranch_execnz .LBB752_15
	s_branch .LBB752_16
	.section	.rodata,"a",@progbits
	.p2align	6, 0x0
	.amdhsa_kernel _ZN7rocprim17ROCPRIM_400000_NS6detail17trampoline_kernelINS0_14default_configENS1_25transform_config_selectorIjLb0EEEZNS1_14transform_implILb0ES3_S5_NS0_18transform_iteratorINS0_17counting_iteratorImlEEZNS1_24adjacent_difference_implIS3_Lb1ELb0EPjN6thrust23THRUST_200600_302600_NS16discard_iteratorINSD_11use_defaultEEENSD_5minusIjEEEE10hipError_tPvRmT2_T3_mT4_P12ihipStream_tbEUlmE_jEESB_NS0_8identityIvEEEESJ_SM_SN_mSO_SQ_bEUlT_E_NS1_11comp_targetILNS1_3genE5ELNS1_11target_archE942ELNS1_3gpuE9ELNS1_3repE0EEENS1_30default_config_static_selectorELNS0_4arch9wavefront6targetE1EEEvT1_
		.amdhsa_group_segment_fixed_size 0
		.amdhsa_private_segment_fixed_size 0
		.amdhsa_kernarg_size 312
		.amdhsa_user_sgpr_count 2
		.amdhsa_user_sgpr_dispatch_ptr 0
		.amdhsa_user_sgpr_queue_ptr 0
		.amdhsa_user_sgpr_kernarg_segment_ptr 1
		.amdhsa_user_sgpr_dispatch_id 0
		.amdhsa_user_sgpr_kernarg_preload_length 0
		.amdhsa_user_sgpr_kernarg_preload_offset 0
		.amdhsa_user_sgpr_private_segment_size 0
		.amdhsa_uses_dynamic_stack 0
		.amdhsa_enable_private_segment 0
		.amdhsa_system_sgpr_workgroup_id_x 1
		.amdhsa_system_sgpr_workgroup_id_y 0
		.amdhsa_system_sgpr_workgroup_id_z 0
		.amdhsa_system_sgpr_workgroup_info 0
		.amdhsa_system_vgpr_workitem_id 0
		.amdhsa_next_free_vgpr 13
		.amdhsa_next_free_sgpr 22
		.amdhsa_accum_offset 16
		.amdhsa_reserve_vcc 1
		.amdhsa_float_round_mode_32 0
		.amdhsa_float_round_mode_16_64 0
		.amdhsa_float_denorm_mode_32 3
		.amdhsa_float_denorm_mode_16_64 3
		.amdhsa_dx10_clamp 1
		.amdhsa_ieee_mode 1
		.amdhsa_fp16_overflow 0
		.amdhsa_tg_split 0
		.amdhsa_exception_fp_ieee_invalid_op 0
		.amdhsa_exception_fp_denorm_src 0
		.amdhsa_exception_fp_ieee_div_zero 0
		.amdhsa_exception_fp_ieee_overflow 0
		.amdhsa_exception_fp_ieee_underflow 0
		.amdhsa_exception_fp_ieee_inexact 0
		.amdhsa_exception_int_div_zero 0
	.end_amdhsa_kernel
	.section	.text._ZN7rocprim17ROCPRIM_400000_NS6detail17trampoline_kernelINS0_14default_configENS1_25transform_config_selectorIjLb0EEEZNS1_14transform_implILb0ES3_S5_NS0_18transform_iteratorINS0_17counting_iteratorImlEEZNS1_24adjacent_difference_implIS3_Lb1ELb0EPjN6thrust23THRUST_200600_302600_NS16discard_iteratorINSD_11use_defaultEEENSD_5minusIjEEEE10hipError_tPvRmT2_T3_mT4_P12ihipStream_tbEUlmE_jEESB_NS0_8identityIvEEEESJ_SM_SN_mSO_SQ_bEUlT_E_NS1_11comp_targetILNS1_3genE5ELNS1_11target_archE942ELNS1_3gpuE9ELNS1_3repE0EEENS1_30default_config_static_selectorELNS0_4arch9wavefront6targetE1EEEvT1_,"axG",@progbits,_ZN7rocprim17ROCPRIM_400000_NS6detail17trampoline_kernelINS0_14default_configENS1_25transform_config_selectorIjLb0EEEZNS1_14transform_implILb0ES3_S5_NS0_18transform_iteratorINS0_17counting_iteratorImlEEZNS1_24adjacent_difference_implIS3_Lb1ELb0EPjN6thrust23THRUST_200600_302600_NS16discard_iteratorINSD_11use_defaultEEENSD_5minusIjEEEE10hipError_tPvRmT2_T3_mT4_P12ihipStream_tbEUlmE_jEESB_NS0_8identityIvEEEESJ_SM_SN_mSO_SQ_bEUlT_E_NS1_11comp_targetILNS1_3genE5ELNS1_11target_archE942ELNS1_3gpuE9ELNS1_3repE0EEENS1_30default_config_static_selectorELNS0_4arch9wavefront6targetE1EEEvT1_,comdat
.Lfunc_end752:
	.size	_ZN7rocprim17ROCPRIM_400000_NS6detail17trampoline_kernelINS0_14default_configENS1_25transform_config_selectorIjLb0EEEZNS1_14transform_implILb0ES3_S5_NS0_18transform_iteratorINS0_17counting_iteratorImlEEZNS1_24adjacent_difference_implIS3_Lb1ELb0EPjN6thrust23THRUST_200600_302600_NS16discard_iteratorINSD_11use_defaultEEENSD_5minusIjEEEE10hipError_tPvRmT2_T3_mT4_P12ihipStream_tbEUlmE_jEESB_NS0_8identityIvEEEESJ_SM_SN_mSO_SQ_bEUlT_E_NS1_11comp_targetILNS1_3genE5ELNS1_11target_archE942ELNS1_3gpuE9ELNS1_3repE0EEENS1_30default_config_static_selectorELNS0_4arch9wavefront6targetE1EEEvT1_, .Lfunc_end752-_ZN7rocprim17ROCPRIM_400000_NS6detail17trampoline_kernelINS0_14default_configENS1_25transform_config_selectorIjLb0EEEZNS1_14transform_implILb0ES3_S5_NS0_18transform_iteratorINS0_17counting_iteratorImlEEZNS1_24adjacent_difference_implIS3_Lb1ELb0EPjN6thrust23THRUST_200600_302600_NS16discard_iteratorINSD_11use_defaultEEENSD_5minusIjEEEE10hipError_tPvRmT2_T3_mT4_P12ihipStream_tbEUlmE_jEESB_NS0_8identityIvEEEESJ_SM_SN_mSO_SQ_bEUlT_E_NS1_11comp_targetILNS1_3genE5ELNS1_11target_archE942ELNS1_3gpuE9ELNS1_3repE0EEENS1_30default_config_static_selectorELNS0_4arch9wavefront6targetE1EEEvT1_
                                        ; -- End function
	.section	.AMDGPU.csdata,"",@progbits
; Kernel info:
; codeLenInByte = 840
; NumSgprs: 28
; NumVgprs: 13
; NumAgprs: 0
; TotalNumVgprs: 13
; ScratchSize: 0
; MemoryBound: 0
; FloatMode: 240
; IeeeMode: 1
; LDSByteSize: 0 bytes/workgroup (compile time only)
; SGPRBlocks: 3
; VGPRBlocks: 1
; NumSGPRsForWavesPerEU: 28
; NumVGPRsForWavesPerEU: 13
; AccumOffset: 16
; Occupancy: 8
; WaveLimiterHint : 1
; COMPUTE_PGM_RSRC2:SCRATCH_EN: 0
; COMPUTE_PGM_RSRC2:USER_SGPR: 2
; COMPUTE_PGM_RSRC2:TRAP_HANDLER: 0
; COMPUTE_PGM_RSRC2:TGID_X_EN: 1
; COMPUTE_PGM_RSRC2:TGID_Y_EN: 0
; COMPUTE_PGM_RSRC2:TGID_Z_EN: 0
; COMPUTE_PGM_RSRC2:TIDIG_COMP_CNT: 0
; COMPUTE_PGM_RSRC3_GFX90A:ACCUM_OFFSET: 3
; COMPUTE_PGM_RSRC3_GFX90A:TG_SPLIT: 0
	.section	.text._ZN7rocprim17ROCPRIM_400000_NS6detail17trampoline_kernelINS0_14default_configENS1_25transform_config_selectorIjLb0EEEZNS1_14transform_implILb0ES3_S5_NS0_18transform_iteratorINS0_17counting_iteratorImlEEZNS1_24adjacent_difference_implIS3_Lb1ELb0EPjN6thrust23THRUST_200600_302600_NS16discard_iteratorINSD_11use_defaultEEENSD_5minusIjEEEE10hipError_tPvRmT2_T3_mT4_P12ihipStream_tbEUlmE_jEESB_NS0_8identityIvEEEESJ_SM_SN_mSO_SQ_bEUlT_E_NS1_11comp_targetILNS1_3genE4ELNS1_11target_archE910ELNS1_3gpuE8ELNS1_3repE0EEENS1_30default_config_static_selectorELNS0_4arch9wavefront6targetE1EEEvT1_,"axG",@progbits,_ZN7rocprim17ROCPRIM_400000_NS6detail17trampoline_kernelINS0_14default_configENS1_25transform_config_selectorIjLb0EEEZNS1_14transform_implILb0ES3_S5_NS0_18transform_iteratorINS0_17counting_iteratorImlEEZNS1_24adjacent_difference_implIS3_Lb1ELb0EPjN6thrust23THRUST_200600_302600_NS16discard_iteratorINSD_11use_defaultEEENSD_5minusIjEEEE10hipError_tPvRmT2_T3_mT4_P12ihipStream_tbEUlmE_jEESB_NS0_8identityIvEEEESJ_SM_SN_mSO_SQ_bEUlT_E_NS1_11comp_targetILNS1_3genE4ELNS1_11target_archE910ELNS1_3gpuE8ELNS1_3repE0EEENS1_30default_config_static_selectorELNS0_4arch9wavefront6targetE1EEEvT1_,comdat
	.protected	_ZN7rocprim17ROCPRIM_400000_NS6detail17trampoline_kernelINS0_14default_configENS1_25transform_config_selectorIjLb0EEEZNS1_14transform_implILb0ES3_S5_NS0_18transform_iteratorINS0_17counting_iteratorImlEEZNS1_24adjacent_difference_implIS3_Lb1ELb0EPjN6thrust23THRUST_200600_302600_NS16discard_iteratorINSD_11use_defaultEEENSD_5minusIjEEEE10hipError_tPvRmT2_T3_mT4_P12ihipStream_tbEUlmE_jEESB_NS0_8identityIvEEEESJ_SM_SN_mSO_SQ_bEUlT_E_NS1_11comp_targetILNS1_3genE4ELNS1_11target_archE910ELNS1_3gpuE8ELNS1_3repE0EEENS1_30default_config_static_selectorELNS0_4arch9wavefront6targetE1EEEvT1_ ; -- Begin function _ZN7rocprim17ROCPRIM_400000_NS6detail17trampoline_kernelINS0_14default_configENS1_25transform_config_selectorIjLb0EEEZNS1_14transform_implILb0ES3_S5_NS0_18transform_iteratorINS0_17counting_iteratorImlEEZNS1_24adjacent_difference_implIS3_Lb1ELb0EPjN6thrust23THRUST_200600_302600_NS16discard_iteratorINSD_11use_defaultEEENSD_5minusIjEEEE10hipError_tPvRmT2_T3_mT4_P12ihipStream_tbEUlmE_jEESB_NS0_8identityIvEEEESJ_SM_SN_mSO_SQ_bEUlT_E_NS1_11comp_targetILNS1_3genE4ELNS1_11target_archE910ELNS1_3gpuE8ELNS1_3repE0EEENS1_30default_config_static_selectorELNS0_4arch9wavefront6targetE1EEEvT1_
	.globl	_ZN7rocprim17ROCPRIM_400000_NS6detail17trampoline_kernelINS0_14default_configENS1_25transform_config_selectorIjLb0EEEZNS1_14transform_implILb0ES3_S5_NS0_18transform_iteratorINS0_17counting_iteratorImlEEZNS1_24adjacent_difference_implIS3_Lb1ELb0EPjN6thrust23THRUST_200600_302600_NS16discard_iteratorINSD_11use_defaultEEENSD_5minusIjEEEE10hipError_tPvRmT2_T3_mT4_P12ihipStream_tbEUlmE_jEESB_NS0_8identityIvEEEESJ_SM_SN_mSO_SQ_bEUlT_E_NS1_11comp_targetILNS1_3genE4ELNS1_11target_archE910ELNS1_3gpuE8ELNS1_3repE0EEENS1_30default_config_static_selectorELNS0_4arch9wavefront6targetE1EEEvT1_
	.p2align	8
	.type	_ZN7rocprim17ROCPRIM_400000_NS6detail17trampoline_kernelINS0_14default_configENS1_25transform_config_selectorIjLb0EEEZNS1_14transform_implILb0ES3_S5_NS0_18transform_iteratorINS0_17counting_iteratorImlEEZNS1_24adjacent_difference_implIS3_Lb1ELb0EPjN6thrust23THRUST_200600_302600_NS16discard_iteratorINSD_11use_defaultEEENSD_5minusIjEEEE10hipError_tPvRmT2_T3_mT4_P12ihipStream_tbEUlmE_jEESB_NS0_8identityIvEEEESJ_SM_SN_mSO_SQ_bEUlT_E_NS1_11comp_targetILNS1_3genE4ELNS1_11target_archE910ELNS1_3gpuE8ELNS1_3repE0EEENS1_30default_config_static_selectorELNS0_4arch9wavefront6targetE1EEEvT1_,@function
_ZN7rocprim17ROCPRIM_400000_NS6detail17trampoline_kernelINS0_14default_configENS1_25transform_config_selectorIjLb0EEEZNS1_14transform_implILb0ES3_S5_NS0_18transform_iteratorINS0_17counting_iteratorImlEEZNS1_24adjacent_difference_implIS3_Lb1ELb0EPjN6thrust23THRUST_200600_302600_NS16discard_iteratorINSD_11use_defaultEEENSD_5minusIjEEEE10hipError_tPvRmT2_T3_mT4_P12ihipStream_tbEUlmE_jEESB_NS0_8identityIvEEEESJ_SM_SN_mSO_SQ_bEUlT_E_NS1_11comp_targetILNS1_3genE4ELNS1_11target_archE910ELNS1_3gpuE8ELNS1_3repE0EEENS1_30default_config_static_selectorELNS0_4arch9wavefront6targetE1EEEvT1_: ; @_ZN7rocprim17ROCPRIM_400000_NS6detail17trampoline_kernelINS0_14default_configENS1_25transform_config_selectorIjLb0EEEZNS1_14transform_implILb0ES3_S5_NS0_18transform_iteratorINS0_17counting_iteratorImlEEZNS1_24adjacent_difference_implIS3_Lb1ELb0EPjN6thrust23THRUST_200600_302600_NS16discard_iteratorINSD_11use_defaultEEENSD_5minusIjEEEE10hipError_tPvRmT2_T3_mT4_P12ihipStream_tbEUlmE_jEESB_NS0_8identityIvEEEESJ_SM_SN_mSO_SQ_bEUlT_E_NS1_11comp_targetILNS1_3genE4ELNS1_11target_archE910ELNS1_3gpuE8ELNS1_3repE0EEENS1_30default_config_static_selectorELNS0_4arch9wavefront6targetE1EEEvT1_
; %bb.0:
	.section	.rodata,"a",@progbits
	.p2align	6, 0x0
	.amdhsa_kernel _ZN7rocprim17ROCPRIM_400000_NS6detail17trampoline_kernelINS0_14default_configENS1_25transform_config_selectorIjLb0EEEZNS1_14transform_implILb0ES3_S5_NS0_18transform_iteratorINS0_17counting_iteratorImlEEZNS1_24adjacent_difference_implIS3_Lb1ELb0EPjN6thrust23THRUST_200600_302600_NS16discard_iteratorINSD_11use_defaultEEENSD_5minusIjEEEE10hipError_tPvRmT2_T3_mT4_P12ihipStream_tbEUlmE_jEESB_NS0_8identityIvEEEESJ_SM_SN_mSO_SQ_bEUlT_E_NS1_11comp_targetILNS1_3genE4ELNS1_11target_archE910ELNS1_3gpuE8ELNS1_3repE0EEENS1_30default_config_static_selectorELNS0_4arch9wavefront6targetE1EEEvT1_
		.amdhsa_group_segment_fixed_size 0
		.amdhsa_private_segment_fixed_size 0
		.amdhsa_kernarg_size 56
		.amdhsa_user_sgpr_count 2
		.amdhsa_user_sgpr_dispatch_ptr 0
		.amdhsa_user_sgpr_queue_ptr 0
		.amdhsa_user_sgpr_kernarg_segment_ptr 1
		.amdhsa_user_sgpr_dispatch_id 0
		.amdhsa_user_sgpr_kernarg_preload_length 0
		.amdhsa_user_sgpr_kernarg_preload_offset 0
		.amdhsa_user_sgpr_private_segment_size 0
		.amdhsa_uses_dynamic_stack 0
		.amdhsa_enable_private_segment 0
		.amdhsa_system_sgpr_workgroup_id_x 1
		.amdhsa_system_sgpr_workgroup_id_y 0
		.amdhsa_system_sgpr_workgroup_id_z 0
		.amdhsa_system_sgpr_workgroup_info 0
		.amdhsa_system_vgpr_workitem_id 0
		.amdhsa_next_free_vgpr 1
		.amdhsa_next_free_sgpr 0
		.amdhsa_accum_offset 4
		.amdhsa_reserve_vcc 0
		.amdhsa_float_round_mode_32 0
		.amdhsa_float_round_mode_16_64 0
		.amdhsa_float_denorm_mode_32 3
		.amdhsa_float_denorm_mode_16_64 3
		.amdhsa_dx10_clamp 1
		.amdhsa_ieee_mode 1
		.amdhsa_fp16_overflow 0
		.amdhsa_tg_split 0
		.amdhsa_exception_fp_ieee_invalid_op 0
		.amdhsa_exception_fp_denorm_src 0
		.amdhsa_exception_fp_ieee_div_zero 0
		.amdhsa_exception_fp_ieee_overflow 0
		.amdhsa_exception_fp_ieee_underflow 0
		.amdhsa_exception_fp_ieee_inexact 0
		.amdhsa_exception_int_div_zero 0
	.end_amdhsa_kernel
	.section	.text._ZN7rocprim17ROCPRIM_400000_NS6detail17trampoline_kernelINS0_14default_configENS1_25transform_config_selectorIjLb0EEEZNS1_14transform_implILb0ES3_S5_NS0_18transform_iteratorINS0_17counting_iteratorImlEEZNS1_24adjacent_difference_implIS3_Lb1ELb0EPjN6thrust23THRUST_200600_302600_NS16discard_iteratorINSD_11use_defaultEEENSD_5minusIjEEEE10hipError_tPvRmT2_T3_mT4_P12ihipStream_tbEUlmE_jEESB_NS0_8identityIvEEEESJ_SM_SN_mSO_SQ_bEUlT_E_NS1_11comp_targetILNS1_3genE4ELNS1_11target_archE910ELNS1_3gpuE8ELNS1_3repE0EEENS1_30default_config_static_selectorELNS0_4arch9wavefront6targetE1EEEvT1_,"axG",@progbits,_ZN7rocprim17ROCPRIM_400000_NS6detail17trampoline_kernelINS0_14default_configENS1_25transform_config_selectorIjLb0EEEZNS1_14transform_implILb0ES3_S5_NS0_18transform_iteratorINS0_17counting_iteratorImlEEZNS1_24adjacent_difference_implIS3_Lb1ELb0EPjN6thrust23THRUST_200600_302600_NS16discard_iteratorINSD_11use_defaultEEENSD_5minusIjEEEE10hipError_tPvRmT2_T3_mT4_P12ihipStream_tbEUlmE_jEESB_NS0_8identityIvEEEESJ_SM_SN_mSO_SQ_bEUlT_E_NS1_11comp_targetILNS1_3genE4ELNS1_11target_archE910ELNS1_3gpuE8ELNS1_3repE0EEENS1_30default_config_static_selectorELNS0_4arch9wavefront6targetE1EEEvT1_,comdat
.Lfunc_end753:
	.size	_ZN7rocprim17ROCPRIM_400000_NS6detail17trampoline_kernelINS0_14default_configENS1_25transform_config_selectorIjLb0EEEZNS1_14transform_implILb0ES3_S5_NS0_18transform_iteratorINS0_17counting_iteratorImlEEZNS1_24adjacent_difference_implIS3_Lb1ELb0EPjN6thrust23THRUST_200600_302600_NS16discard_iteratorINSD_11use_defaultEEENSD_5minusIjEEEE10hipError_tPvRmT2_T3_mT4_P12ihipStream_tbEUlmE_jEESB_NS0_8identityIvEEEESJ_SM_SN_mSO_SQ_bEUlT_E_NS1_11comp_targetILNS1_3genE4ELNS1_11target_archE910ELNS1_3gpuE8ELNS1_3repE0EEENS1_30default_config_static_selectorELNS0_4arch9wavefront6targetE1EEEvT1_, .Lfunc_end753-_ZN7rocprim17ROCPRIM_400000_NS6detail17trampoline_kernelINS0_14default_configENS1_25transform_config_selectorIjLb0EEEZNS1_14transform_implILb0ES3_S5_NS0_18transform_iteratorINS0_17counting_iteratorImlEEZNS1_24adjacent_difference_implIS3_Lb1ELb0EPjN6thrust23THRUST_200600_302600_NS16discard_iteratorINSD_11use_defaultEEENSD_5minusIjEEEE10hipError_tPvRmT2_T3_mT4_P12ihipStream_tbEUlmE_jEESB_NS0_8identityIvEEEESJ_SM_SN_mSO_SQ_bEUlT_E_NS1_11comp_targetILNS1_3genE4ELNS1_11target_archE910ELNS1_3gpuE8ELNS1_3repE0EEENS1_30default_config_static_selectorELNS0_4arch9wavefront6targetE1EEEvT1_
                                        ; -- End function
	.section	.AMDGPU.csdata,"",@progbits
; Kernel info:
; codeLenInByte = 0
; NumSgprs: 6
; NumVgprs: 0
; NumAgprs: 0
; TotalNumVgprs: 0
; ScratchSize: 0
; MemoryBound: 0
; FloatMode: 240
; IeeeMode: 1
; LDSByteSize: 0 bytes/workgroup (compile time only)
; SGPRBlocks: 0
; VGPRBlocks: 0
; NumSGPRsForWavesPerEU: 6
; NumVGPRsForWavesPerEU: 1
; AccumOffset: 4
; Occupancy: 8
; WaveLimiterHint : 0
; COMPUTE_PGM_RSRC2:SCRATCH_EN: 0
; COMPUTE_PGM_RSRC2:USER_SGPR: 2
; COMPUTE_PGM_RSRC2:TRAP_HANDLER: 0
; COMPUTE_PGM_RSRC2:TGID_X_EN: 1
; COMPUTE_PGM_RSRC2:TGID_Y_EN: 0
; COMPUTE_PGM_RSRC2:TGID_Z_EN: 0
; COMPUTE_PGM_RSRC2:TIDIG_COMP_CNT: 0
; COMPUTE_PGM_RSRC3_GFX90A:ACCUM_OFFSET: 0
; COMPUTE_PGM_RSRC3_GFX90A:TG_SPLIT: 0
	.section	.text._ZN7rocprim17ROCPRIM_400000_NS6detail17trampoline_kernelINS0_14default_configENS1_25transform_config_selectorIjLb0EEEZNS1_14transform_implILb0ES3_S5_NS0_18transform_iteratorINS0_17counting_iteratorImlEEZNS1_24adjacent_difference_implIS3_Lb1ELb0EPjN6thrust23THRUST_200600_302600_NS16discard_iteratorINSD_11use_defaultEEENSD_5minusIjEEEE10hipError_tPvRmT2_T3_mT4_P12ihipStream_tbEUlmE_jEESB_NS0_8identityIvEEEESJ_SM_SN_mSO_SQ_bEUlT_E_NS1_11comp_targetILNS1_3genE3ELNS1_11target_archE908ELNS1_3gpuE7ELNS1_3repE0EEENS1_30default_config_static_selectorELNS0_4arch9wavefront6targetE1EEEvT1_,"axG",@progbits,_ZN7rocprim17ROCPRIM_400000_NS6detail17trampoline_kernelINS0_14default_configENS1_25transform_config_selectorIjLb0EEEZNS1_14transform_implILb0ES3_S5_NS0_18transform_iteratorINS0_17counting_iteratorImlEEZNS1_24adjacent_difference_implIS3_Lb1ELb0EPjN6thrust23THRUST_200600_302600_NS16discard_iteratorINSD_11use_defaultEEENSD_5minusIjEEEE10hipError_tPvRmT2_T3_mT4_P12ihipStream_tbEUlmE_jEESB_NS0_8identityIvEEEESJ_SM_SN_mSO_SQ_bEUlT_E_NS1_11comp_targetILNS1_3genE3ELNS1_11target_archE908ELNS1_3gpuE7ELNS1_3repE0EEENS1_30default_config_static_selectorELNS0_4arch9wavefront6targetE1EEEvT1_,comdat
	.protected	_ZN7rocprim17ROCPRIM_400000_NS6detail17trampoline_kernelINS0_14default_configENS1_25transform_config_selectorIjLb0EEEZNS1_14transform_implILb0ES3_S5_NS0_18transform_iteratorINS0_17counting_iteratorImlEEZNS1_24adjacent_difference_implIS3_Lb1ELb0EPjN6thrust23THRUST_200600_302600_NS16discard_iteratorINSD_11use_defaultEEENSD_5minusIjEEEE10hipError_tPvRmT2_T3_mT4_P12ihipStream_tbEUlmE_jEESB_NS0_8identityIvEEEESJ_SM_SN_mSO_SQ_bEUlT_E_NS1_11comp_targetILNS1_3genE3ELNS1_11target_archE908ELNS1_3gpuE7ELNS1_3repE0EEENS1_30default_config_static_selectorELNS0_4arch9wavefront6targetE1EEEvT1_ ; -- Begin function _ZN7rocprim17ROCPRIM_400000_NS6detail17trampoline_kernelINS0_14default_configENS1_25transform_config_selectorIjLb0EEEZNS1_14transform_implILb0ES3_S5_NS0_18transform_iteratorINS0_17counting_iteratorImlEEZNS1_24adjacent_difference_implIS3_Lb1ELb0EPjN6thrust23THRUST_200600_302600_NS16discard_iteratorINSD_11use_defaultEEENSD_5minusIjEEEE10hipError_tPvRmT2_T3_mT4_P12ihipStream_tbEUlmE_jEESB_NS0_8identityIvEEEESJ_SM_SN_mSO_SQ_bEUlT_E_NS1_11comp_targetILNS1_3genE3ELNS1_11target_archE908ELNS1_3gpuE7ELNS1_3repE0EEENS1_30default_config_static_selectorELNS0_4arch9wavefront6targetE1EEEvT1_
	.globl	_ZN7rocprim17ROCPRIM_400000_NS6detail17trampoline_kernelINS0_14default_configENS1_25transform_config_selectorIjLb0EEEZNS1_14transform_implILb0ES3_S5_NS0_18transform_iteratorINS0_17counting_iteratorImlEEZNS1_24adjacent_difference_implIS3_Lb1ELb0EPjN6thrust23THRUST_200600_302600_NS16discard_iteratorINSD_11use_defaultEEENSD_5minusIjEEEE10hipError_tPvRmT2_T3_mT4_P12ihipStream_tbEUlmE_jEESB_NS0_8identityIvEEEESJ_SM_SN_mSO_SQ_bEUlT_E_NS1_11comp_targetILNS1_3genE3ELNS1_11target_archE908ELNS1_3gpuE7ELNS1_3repE0EEENS1_30default_config_static_selectorELNS0_4arch9wavefront6targetE1EEEvT1_
	.p2align	8
	.type	_ZN7rocprim17ROCPRIM_400000_NS6detail17trampoline_kernelINS0_14default_configENS1_25transform_config_selectorIjLb0EEEZNS1_14transform_implILb0ES3_S5_NS0_18transform_iteratorINS0_17counting_iteratorImlEEZNS1_24adjacent_difference_implIS3_Lb1ELb0EPjN6thrust23THRUST_200600_302600_NS16discard_iteratorINSD_11use_defaultEEENSD_5minusIjEEEE10hipError_tPvRmT2_T3_mT4_P12ihipStream_tbEUlmE_jEESB_NS0_8identityIvEEEESJ_SM_SN_mSO_SQ_bEUlT_E_NS1_11comp_targetILNS1_3genE3ELNS1_11target_archE908ELNS1_3gpuE7ELNS1_3repE0EEENS1_30default_config_static_selectorELNS0_4arch9wavefront6targetE1EEEvT1_,@function
_ZN7rocprim17ROCPRIM_400000_NS6detail17trampoline_kernelINS0_14default_configENS1_25transform_config_selectorIjLb0EEEZNS1_14transform_implILb0ES3_S5_NS0_18transform_iteratorINS0_17counting_iteratorImlEEZNS1_24adjacent_difference_implIS3_Lb1ELb0EPjN6thrust23THRUST_200600_302600_NS16discard_iteratorINSD_11use_defaultEEENSD_5minusIjEEEE10hipError_tPvRmT2_T3_mT4_P12ihipStream_tbEUlmE_jEESB_NS0_8identityIvEEEESJ_SM_SN_mSO_SQ_bEUlT_E_NS1_11comp_targetILNS1_3genE3ELNS1_11target_archE908ELNS1_3gpuE7ELNS1_3repE0EEENS1_30default_config_static_selectorELNS0_4arch9wavefront6targetE1EEEvT1_: ; @_ZN7rocprim17ROCPRIM_400000_NS6detail17trampoline_kernelINS0_14default_configENS1_25transform_config_selectorIjLb0EEEZNS1_14transform_implILb0ES3_S5_NS0_18transform_iteratorINS0_17counting_iteratorImlEEZNS1_24adjacent_difference_implIS3_Lb1ELb0EPjN6thrust23THRUST_200600_302600_NS16discard_iteratorINSD_11use_defaultEEENSD_5minusIjEEEE10hipError_tPvRmT2_T3_mT4_P12ihipStream_tbEUlmE_jEESB_NS0_8identityIvEEEESJ_SM_SN_mSO_SQ_bEUlT_E_NS1_11comp_targetILNS1_3genE3ELNS1_11target_archE908ELNS1_3gpuE7ELNS1_3repE0EEENS1_30default_config_static_selectorELNS0_4arch9wavefront6targetE1EEEvT1_
; %bb.0:
	.section	.rodata,"a",@progbits
	.p2align	6, 0x0
	.amdhsa_kernel _ZN7rocprim17ROCPRIM_400000_NS6detail17trampoline_kernelINS0_14default_configENS1_25transform_config_selectorIjLb0EEEZNS1_14transform_implILb0ES3_S5_NS0_18transform_iteratorINS0_17counting_iteratorImlEEZNS1_24adjacent_difference_implIS3_Lb1ELb0EPjN6thrust23THRUST_200600_302600_NS16discard_iteratorINSD_11use_defaultEEENSD_5minusIjEEEE10hipError_tPvRmT2_T3_mT4_P12ihipStream_tbEUlmE_jEESB_NS0_8identityIvEEEESJ_SM_SN_mSO_SQ_bEUlT_E_NS1_11comp_targetILNS1_3genE3ELNS1_11target_archE908ELNS1_3gpuE7ELNS1_3repE0EEENS1_30default_config_static_selectorELNS0_4arch9wavefront6targetE1EEEvT1_
		.amdhsa_group_segment_fixed_size 0
		.amdhsa_private_segment_fixed_size 0
		.amdhsa_kernarg_size 56
		.amdhsa_user_sgpr_count 2
		.amdhsa_user_sgpr_dispatch_ptr 0
		.amdhsa_user_sgpr_queue_ptr 0
		.amdhsa_user_sgpr_kernarg_segment_ptr 1
		.amdhsa_user_sgpr_dispatch_id 0
		.amdhsa_user_sgpr_kernarg_preload_length 0
		.amdhsa_user_sgpr_kernarg_preload_offset 0
		.amdhsa_user_sgpr_private_segment_size 0
		.amdhsa_uses_dynamic_stack 0
		.amdhsa_enable_private_segment 0
		.amdhsa_system_sgpr_workgroup_id_x 1
		.amdhsa_system_sgpr_workgroup_id_y 0
		.amdhsa_system_sgpr_workgroup_id_z 0
		.amdhsa_system_sgpr_workgroup_info 0
		.amdhsa_system_vgpr_workitem_id 0
		.amdhsa_next_free_vgpr 1
		.amdhsa_next_free_sgpr 0
		.amdhsa_accum_offset 4
		.amdhsa_reserve_vcc 0
		.amdhsa_float_round_mode_32 0
		.amdhsa_float_round_mode_16_64 0
		.amdhsa_float_denorm_mode_32 3
		.amdhsa_float_denorm_mode_16_64 3
		.amdhsa_dx10_clamp 1
		.amdhsa_ieee_mode 1
		.amdhsa_fp16_overflow 0
		.amdhsa_tg_split 0
		.amdhsa_exception_fp_ieee_invalid_op 0
		.amdhsa_exception_fp_denorm_src 0
		.amdhsa_exception_fp_ieee_div_zero 0
		.amdhsa_exception_fp_ieee_overflow 0
		.amdhsa_exception_fp_ieee_underflow 0
		.amdhsa_exception_fp_ieee_inexact 0
		.amdhsa_exception_int_div_zero 0
	.end_amdhsa_kernel
	.section	.text._ZN7rocprim17ROCPRIM_400000_NS6detail17trampoline_kernelINS0_14default_configENS1_25transform_config_selectorIjLb0EEEZNS1_14transform_implILb0ES3_S5_NS0_18transform_iteratorINS0_17counting_iteratorImlEEZNS1_24adjacent_difference_implIS3_Lb1ELb0EPjN6thrust23THRUST_200600_302600_NS16discard_iteratorINSD_11use_defaultEEENSD_5minusIjEEEE10hipError_tPvRmT2_T3_mT4_P12ihipStream_tbEUlmE_jEESB_NS0_8identityIvEEEESJ_SM_SN_mSO_SQ_bEUlT_E_NS1_11comp_targetILNS1_3genE3ELNS1_11target_archE908ELNS1_3gpuE7ELNS1_3repE0EEENS1_30default_config_static_selectorELNS0_4arch9wavefront6targetE1EEEvT1_,"axG",@progbits,_ZN7rocprim17ROCPRIM_400000_NS6detail17trampoline_kernelINS0_14default_configENS1_25transform_config_selectorIjLb0EEEZNS1_14transform_implILb0ES3_S5_NS0_18transform_iteratorINS0_17counting_iteratorImlEEZNS1_24adjacent_difference_implIS3_Lb1ELb0EPjN6thrust23THRUST_200600_302600_NS16discard_iteratorINSD_11use_defaultEEENSD_5minusIjEEEE10hipError_tPvRmT2_T3_mT4_P12ihipStream_tbEUlmE_jEESB_NS0_8identityIvEEEESJ_SM_SN_mSO_SQ_bEUlT_E_NS1_11comp_targetILNS1_3genE3ELNS1_11target_archE908ELNS1_3gpuE7ELNS1_3repE0EEENS1_30default_config_static_selectorELNS0_4arch9wavefront6targetE1EEEvT1_,comdat
.Lfunc_end754:
	.size	_ZN7rocprim17ROCPRIM_400000_NS6detail17trampoline_kernelINS0_14default_configENS1_25transform_config_selectorIjLb0EEEZNS1_14transform_implILb0ES3_S5_NS0_18transform_iteratorINS0_17counting_iteratorImlEEZNS1_24adjacent_difference_implIS3_Lb1ELb0EPjN6thrust23THRUST_200600_302600_NS16discard_iteratorINSD_11use_defaultEEENSD_5minusIjEEEE10hipError_tPvRmT2_T3_mT4_P12ihipStream_tbEUlmE_jEESB_NS0_8identityIvEEEESJ_SM_SN_mSO_SQ_bEUlT_E_NS1_11comp_targetILNS1_3genE3ELNS1_11target_archE908ELNS1_3gpuE7ELNS1_3repE0EEENS1_30default_config_static_selectorELNS0_4arch9wavefront6targetE1EEEvT1_, .Lfunc_end754-_ZN7rocprim17ROCPRIM_400000_NS6detail17trampoline_kernelINS0_14default_configENS1_25transform_config_selectorIjLb0EEEZNS1_14transform_implILb0ES3_S5_NS0_18transform_iteratorINS0_17counting_iteratorImlEEZNS1_24adjacent_difference_implIS3_Lb1ELb0EPjN6thrust23THRUST_200600_302600_NS16discard_iteratorINSD_11use_defaultEEENSD_5minusIjEEEE10hipError_tPvRmT2_T3_mT4_P12ihipStream_tbEUlmE_jEESB_NS0_8identityIvEEEESJ_SM_SN_mSO_SQ_bEUlT_E_NS1_11comp_targetILNS1_3genE3ELNS1_11target_archE908ELNS1_3gpuE7ELNS1_3repE0EEENS1_30default_config_static_selectorELNS0_4arch9wavefront6targetE1EEEvT1_
                                        ; -- End function
	.section	.AMDGPU.csdata,"",@progbits
; Kernel info:
; codeLenInByte = 0
; NumSgprs: 6
; NumVgprs: 0
; NumAgprs: 0
; TotalNumVgprs: 0
; ScratchSize: 0
; MemoryBound: 0
; FloatMode: 240
; IeeeMode: 1
; LDSByteSize: 0 bytes/workgroup (compile time only)
; SGPRBlocks: 0
; VGPRBlocks: 0
; NumSGPRsForWavesPerEU: 6
; NumVGPRsForWavesPerEU: 1
; AccumOffset: 4
; Occupancy: 8
; WaveLimiterHint : 0
; COMPUTE_PGM_RSRC2:SCRATCH_EN: 0
; COMPUTE_PGM_RSRC2:USER_SGPR: 2
; COMPUTE_PGM_RSRC2:TRAP_HANDLER: 0
; COMPUTE_PGM_RSRC2:TGID_X_EN: 1
; COMPUTE_PGM_RSRC2:TGID_Y_EN: 0
; COMPUTE_PGM_RSRC2:TGID_Z_EN: 0
; COMPUTE_PGM_RSRC2:TIDIG_COMP_CNT: 0
; COMPUTE_PGM_RSRC3_GFX90A:ACCUM_OFFSET: 0
; COMPUTE_PGM_RSRC3_GFX90A:TG_SPLIT: 0
	.section	.text._ZN7rocprim17ROCPRIM_400000_NS6detail17trampoline_kernelINS0_14default_configENS1_25transform_config_selectorIjLb0EEEZNS1_14transform_implILb0ES3_S5_NS0_18transform_iteratorINS0_17counting_iteratorImlEEZNS1_24adjacent_difference_implIS3_Lb1ELb0EPjN6thrust23THRUST_200600_302600_NS16discard_iteratorINSD_11use_defaultEEENSD_5minusIjEEEE10hipError_tPvRmT2_T3_mT4_P12ihipStream_tbEUlmE_jEESB_NS0_8identityIvEEEESJ_SM_SN_mSO_SQ_bEUlT_E_NS1_11comp_targetILNS1_3genE2ELNS1_11target_archE906ELNS1_3gpuE6ELNS1_3repE0EEENS1_30default_config_static_selectorELNS0_4arch9wavefront6targetE1EEEvT1_,"axG",@progbits,_ZN7rocprim17ROCPRIM_400000_NS6detail17trampoline_kernelINS0_14default_configENS1_25transform_config_selectorIjLb0EEEZNS1_14transform_implILb0ES3_S5_NS0_18transform_iteratorINS0_17counting_iteratorImlEEZNS1_24adjacent_difference_implIS3_Lb1ELb0EPjN6thrust23THRUST_200600_302600_NS16discard_iteratorINSD_11use_defaultEEENSD_5minusIjEEEE10hipError_tPvRmT2_T3_mT4_P12ihipStream_tbEUlmE_jEESB_NS0_8identityIvEEEESJ_SM_SN_mSO_SQ_bEUlT_E_NS1_11comp_targetILNS1_3genE2ELNS1_11target_archE906ELNS1_3gpuE6ELNS1_3repE0EEENS1_30default_config_static_selectorELNS0_4arch9wavefront6targetE1EEEvT1_,comdat
	.protected	_ZN7rocprim17ROCPRIM_400000_NS6detail17trampoline_kernelINS0_14default_configENS1_25transform_config_selectorIjLb0EEEZNS1_14transform_implILb0ES3_S5_NS0_18transform_iteratorINS0_17counting_iteratorImlEEZNS1_24adjacent_difference_implIS3_Lb1ELb0EPjN6thrust23THRUST_200600_302600_NS16discard_iteratorINSD_11use_defaultEEENSD_5minusIjEEEE10hipError_tPvRmT2_T3_mT4_P12ihipStream_tbEUlmE_jEESB_NS0_8identityIvEEEESJ_SM_SN_mSO_SQ_bEUlT_E_NS1_11comp_targetILNS1_3genE2ELNS1_11target_archE906ELNS1_3gpuE6ELNS1_3repE0EEENS1_30default_config_static_selectorELNS0_4arch9wavefront6targetE1EEEvT1_ ; -- Begin function _ZN7rocprim17ROCPRIM_400000_NS6detail17trampoline_kernelINS0_14default_configENS1_25transform_config_selectorIjLb0EEEZNS1_14transform_implILb0ES3_S5_NS0_18transform_iteratorINS0_17counting_iteratorImlEEZNS1_24adjacent_difference_implIS3_Lb1ELb0EPjN6thrust23THRUST_200600_302600_NS16discard_iteratorINSD_11use_defaultEEENSD_5minusIjEEEE10hipError_tPvRmT2_T3_mT4_P12ihipStream_tbEUlmE_jEESB_NS0_8identityIvEEEESJ_SM_SN_mSO_SQ_bEUlT_E_NS1_11comp_targetILNS1_3genE2ELNS1_11target_archE906ELNS1_3gpuE6ELNS1_3repE0EEENS1_30default_config_static_selectorELNS0_4arch9wavefront6targetE1EEEvT1_
	.globl	_ZN7rocprim17ROCPRIM_400000_NS6detail17trampoline_kernelINS0_14default_configENS1_25transform_config_selectorIjLb0EEEZNS1_14transform_implILb0ES3_S5_NS0_18transform_iteratorINS0_17counting_iteratorImlEEZNS1_24adjacent_difference_implIS3_Lb1ELb0EPjN6thrust23THRUST_200600_302600_NS16discard_iteratorINSD_11use_defaultEEENSD_5minusIjEEEE10hipError_tPvRmT2_T3_mT4_P12ihipStream_tbEUlmE_jEESB_NS0_8identityIvEEEESJ_SM_SN_mSO_SQ_bEUlT_E_NS1_11comp_targetILNS1_3genE2ELNS1_11target_archE906ELNS1_3gpuE6ELNS1_3repE0EEENS1_30default_config_static_selectorELNS0_4arch9wavefront6targetE1EEEvT1_
	.p2align	8
	.type	_ZN7rocprim17ROCPRIM_400000_NS6detail17trampoline_kernelINS0_14default_configENS1_25transform_config_selectorIjLb0EEEZNS1_14transform_implILb0ES3_S5_NS0_18transform_iteratorINS0_17counting_iteratorImlEEZNS1_24adjacent_difference_implIS3_Lb1ELb0EPjN6thrust23THRUST_200600_302600_NS16discard_iteratorINSD_11use_defaultEEENSD_5minusIjEEEE10hipError_tPvRmT2_T3_mT4_P12ihipStream_tbEUlmE_jEESB_NS0_8identityIvEEEESJ_SM_SN_mSO_SQ_bEUlT_E_NS1_11comp_targetILNS1_3genE2ELNS1_11target_archE906ELNS1_3gpuE6ELNS1_3repE0EEENS1_30default_config_static_selectorELNS0_4arch9wavefront6targetE1EEEvT1_,@function
_ZN7rocprim17ROCPRIM_400000_NS6detail17trampoline_kernelINS0_14default_configENS1_25transform_config_selectorIjLb0EEEZNS1_14transform_implILb0ES3_S5_NS0_18transform_iteratorINS0_17counting_iteratorImlEEZNS1_24adjacent_difference_implIS3_Lb1ELb0EPjN6thrust23THRUST_200600_302600_NS16discard_iteratorINSD_11use_defaultEEENSD_5minusIjEEEE10hipError_tPvRmT2_T3_mT4_P12ihipStream_tbEUlmE_jEESB_NS0_8identityIvEEEESJ_SM_SN_mSO_SQ_bEUlT_E_NS1_11comp_targetILNS1_3genE2ELNS1_11target_archE906ELNS1_3gpuE6ELNS1_3repE0EEENS1_30default_config_static_selectorELNS0_4arch9wavefront6targetE1EEEvT1_: ; @_ZN7rocprim17ROCPRIM_400000_NS6detail17trampoline_kernelINS0_14default_configENS1_25transform_config_selectorIjLb0EEEZNS1_14transform_implILb0ES3_S5_NS0_18transform_iteratorINS0_17counting_iteratorImlEEZNS1_24adjacent_difference_implIS3_Lb1ELb0EPjN6thrust23THRUST_200600_302600_NS16discard_iteratorINSD_11use_defaultEEENSD_5minusIjEEEE10hipError_tPvRmT2_T3_mT4_P12ihipStream_tbEUlmE_jEESB_NS0_8identityIvEEEESJ_SM_SN_mSO_SQ_bEUlT_E_NS1_11comp_targetILNS1_3genE2ELNS1_11target_archE906ELNS1_3gpuE6ELNS1_3repE0EEENS1_30default_config_static_selectorELNS0_4arch9wavefront6targetE1EEEvT1_
; %bb.0:
	.section	.rodata,"a",@progbits
	.p2align	6, 0x0
	.amdhsa_kernel _ZN7rocprim17ROCPRIM_400000_NS6detail17trampoline_kernelINS0_14default_configENS1_25transform_config_selectorIjLb0EEEZNS1_14transform_implILb0ES3_S5_NS0_18transform_iteratorINS0_17counting_iteratorImlEEZNS1_24adjacent_difference_implIS3_Lb1ELb0EPjN6thrust23THRUST_200600_302600_NS16discard_iteratorINSD_11use_defaultEEENSD_5minusIjEEEE10hipError_tPvRmT2_T3_mT4_P12ihipStream_tbEUlmE_jEESB_NS0_8identityIvEEEESJ_SM_SN_mSO_SQ_bEUlT_E_NS1_11comp_targetILNS1_3genE2ELNS1_11target_archE906ELNS1_3gpuE6ELNS1_3repE0EEENS1_30default_config_static_selectorELNS0_4arch9wavefront6targetE1EEEvT1_
		.amdhsa_group_segment_fixed_size 0
		.amdhsa_private_segment_fixed_size 0
		.amdhsa_kernarg_size 56
		.amdhsa_user_sgpr_count 2
		.amdhsa_user_sgpr_dispatch_ptr 0
		.amdhsa_user_sgpr_queue_ptr 0
		.amdhsa_user_sgpr_kernarg_segment_ptr 1
		.amdhsa_user_sgpr_dispatch_id 0
		.amdhsa_user_sgpr_kernarg_preload_length 0
		.amdhsa_user_sgpr_kernarg_preload_offset 0
		.amdhsa_user_sgpr_private_segment_size 0
		.amdhsa_uses_dynamic_stack 0
		.amdhsa_enable_private_segment 0
		.amdhsa_system_sgpr_workgroup_id_x 1
		.amdhsa_system_sgpr_workgroup_id_y 0
		.amdhsa_system_sgpr_workgroup_id_z 0
		.amdhsa_system_sgpr_workgroup_info 0
		.amdhsa_system_vgpr_workitem_id 0
		.amdhsa_next_free_vgpr 1
		.amdhsa_next_free_sgpr 0
		.amdhsa_accum_offset 4
		.amdhsa_reserve_vcc 0
		.amdhsa_float_round_mode_32 0
		.amdhsa_float_round_mode_16_64 0
		.amdhsa_float_denorm_mode_32 3
		.amdhsa_float_denorm_mode_16_64 3
		.amdhsa_dx10_clamp 1
		.amdhsa_ieee_mode 1
		.amdhsa_fp16_overflow 0
		.amdhsa_tg_split 0
		.amdhsa_exception_fp_ieee_invalid_op 0
		.amdhsa_exception_fp_denorm_src 0
		.amdhsa_exception_fp_ieee_div_zero 0
		.amdhsa_exception_fp_ieee_overflow 0
		.amdhsa_exception_fp_ieee_underflow 0
		.amdhsa_exception_fp_ieee_inexact 0
		.amdhsa_exception_int_div_zero 0
	.end_amdhsa_kernel
	.section	.text._ZN7rocprim17ROCPRIM_400000_NS6detail17trampoline_kernelINS0_14default_configENS1_25transform_config_selectorIjLb0EEEZNS1_14transform_implILb0ES3_S5_NS0_18transform_iteratorINS0_17counting_iteratorImlEEZNS1_24adjacent_difference_implIS3_Lb1ELb0EPjN6thrust23THRUST_200600_302600_NS16discard_iteratorINSD_11use_defaultEEENSD_5minusIjEEEE10hipError_tPvRmT2_T3_mT4_P12ihipStream_tbEUlmE_jEESB_NS0_8identityIvEEEESJ_SM_SN_mSO_SQ_bEUlT_E_NS1_11comp_targetILNS1_3genE2ELNS1_11target_archE906ELNS1_3gpuE6ELNS1_3repE0EEENS1_30default_config_static_selectorELNS0_4arch9wavefront6targetE1EEEvT1_,"axG",@progbits,_ZN7rocprim17ROCPRIM_400000_NS6detail17trampoline_kernelINS0_14default_configENS1_25transform_config_selectorIjLb0EEEZNS1_14transform_implILb0ES3_S5_NS0_18transform_iteratorINS0_17counting_iteratorImlEEZNS1_24adjacent_difference_implIS3_Lb1ELb0EPjN6thrust23THRUST_200600_302600_NS16discard_iteratorINSD_11use_defaultEEENSD_5minusIjEEEE10hipError_tPvRmT2_T3_mT4_P12ihipStream_tbEUlmE_jEESB_NS0_8identityIvEEEESJ_SM_SN_mSO_SQ_bEUlT_E_NS1_11comp_targetILNS1_3genE2ELNS1_11target_archE906ELNS1_3gpuE6ELNS1_3repE0EEENS1_30default_config_static_selectorELNS0_4arch9wavefront6targetE1EEEvT1_,comdat
.Lfunc_end755:
	.size	_ZN7rocprim17ROCPRIM_400000_NS6detail17trampoline_kernelINS0_14default_configENS1_25transform_config_selectorIjLb0EEEZNS1_14transform_implILb0ES3_S5_NS0_18transform_iteratorINS0_17counting_iteratorImlEEZNS1_24adjacent_difference_implIS3_Lb1ELb0EPjN6thrust23THRUST_200600_302600_NS16discard_iteratorINSD_11use_defaultEEENSD_5minusIjEEEE10hipError_tPvRmT2_T3_mT4_P12ihipStream_tbEUlmE_jEESB_NS0_8identityIvEEEESJ_SM_SN_mSO_SQ_bEUlT_E_NS1_11comp_targetILNS1_3genE2ELNS1_11target_archE906ELNS1_3gpuE6ELNS1_3repE0EEENS1_30default_config_static_selectorELNS0_4arch9wavefront6targetE1EEEvT1_, .Lfunc_end755-_ZN7rocprim17ROCPRIM_400000_NS6detail17trampoline_kernelINS0_14default_configENS1_25transform_config_selectorIjLb0EEEZNS1_14transform_implILb0ES3_S5_NS0_18transform_iteratorINS0_17counting_iteratorImlEEZNS1_24adjacent_difference_implIS3_Lb1ELb0EPjN6thrust23THRUST_200600_302600_NS16discard_iteratorINSD_11use_defaultEEENSD_5minusIjEEEE10hipError_tPvRmT2_T3_mT4_P12ihipStream_tbEUlmE_jEESB_NS0_8identityIvEEEESJ_SM_SN_mSO_SQ_bEUlT_E_NS1_11comp_targetILNS1_3genE2ELNS1_11target_archE906ELNS1_3gpuE6ELNS1_3repE0EEENS1_30default_config_static_selectorELNS0_4arch9wavefront6targetE1EEEvT1_
                                        ; -- End function
	.section	.AMDGPU.csdata,"",@progbits
; Kernel info:
; codeLenInByte = 0
; NumSgprs: 6
; NumVgprs: 0
; NumAgprs: 0
; TotalNumVgprs: 0
; ScratchSize: 0
; MemoryBound: 0
; FloatMode: 240
; IeeeMode: 1
; LDSByteSize: 0 bytes/workgroup (compile time only)
; SGPRBlocks: 0
; VGPRBlocks: 0
; NumSGPRsForWavesPerEU: 6
; NumVGPRsForWavesPerEU: 1
; AccumOffset: 4
; Occupancy: 8
; WaveLimiterHint : 0
; COMPUTE_PGM_RSRC2:SCRATCH_EN: 0
; COMPUTE_PGM_RSRC2:USER_SGPR: 2
; COMPUTE_PGM_RSRC2:TRAP_HANDLER: 0
; COMPUTE_PGM_RSRC2:TGID_X_EN: 1
; COMPUTE_PGM_RSRC2:TGID_Y_EN: 0
; COMPUTE_PGM_RSRC2:TGID_Z_EN: 0
; COMPUTE_PGM_RSRC2:TIDIG_COMP_CNT: 0
; COMPUTE_PGM_RSRC3_GFX90A:ACCUM_OFFSET: 0
; COMPUTE_PGM_RSRC3_GFX90A:TG_SPLIT: 0
	.section	.text._ZN7rocprim17ROCPRIM_400000_NS6detail17trampoline_kernelINS0_14default_configENS1_25transform_config_selectorIjLb0EEEZNS1_14transform_implILb0ES3_S5_NS0_18transform_iteratorINS0_17counting_iteratorImlEEZNS1_24adjacent_difference_implIS3_Lb1ELb0EPjN6thrust23THRUST_200600_302600_NS16discard_iteratorINSD_11use_defaultEEENSD_5minusIjEEEE10hipError_tPvRmT2_T3_mT4_P12ihipStream_tbEUlmE_jEESB_NS0_8identityIvEEEESJ_SM_SN_mSO_SQ_bEUlT_E_NS1_11comp_targetILNS1_3genE10ELNS1_11target_archE1201ELNS1_3gpuE5ELNS1_3repE0EEENS1_30default_config_static_selectorELNS0_4arch9wavefront6targetE1EEEvT1_,"axG",@progbits,_ZN7rocprim17ROCPRIM_400000_NS6detail17trampoline_kernelINS0_14default_configENS1_25transform_config_selectorIjLb0EEEZNS1_14transform_implILb0ES3_S5_NS0_18transform_iteratorINS0_17counting_iteratorImlEEZNS1_24adjacent_difference_implIS3_Lb1ELb0EPjN6thrust23THRUST_200600_302600_NS16discard_iteratorINSD_11use_defaultEEENSD_5minusIjEEEE10hipError_tPvRmT2_T3_mT4_P12ihipStream_tbEUlmE_jEESB_NS0_8identityIvEEEESJ_SM_SN_mSO_SQ_bEUlT_E_NS1_11comp_targetILNS1_3genE10ELNS1_11target_archE1201ELNS1_3gpuE5ELNS1_3repE0EEENS1_30default_config_static_selectorELNS0_4arch9wavefront6targetE1EEEvT1_,comdat
	.protected	_ZN7rocprim17ROCPRIM_400000_NS6detail17trampoline_kernelINS0_14default_configENS1_25transform_config_selectorIjLb0EEEZNS1_14transform_implILb0ES3_S5_NS0_18transform_iteratorINS0_17counting_iteratorImlEEZNS1_24adjacent_difference_implIS3_Lb1ELb0EPjN6thrust23THRUST_200600_302600_NS16discard_iteratorINSD_11use_defaultEEENSD_5minusIjEEEE10hipError_tPvRmT2_T3_mT4_P12ihipStream_tbEUlmE_jEESB_NS0_8identityIvEEEESJ_SM_SN_mSO_SQ_bEUlT_E_NS1_11comp_targetILNS1_3genE10ELNS1_11target_archE1201ELNS1_3gpuE5ELNS1_3repE0EEENS1_30default_config_static_selectorELNS0_4arch9wavefront6targetE1EEEvT1_ ; -- Begin function _ZN7rocprim17ROCPRIM_400000_NS6detail17trampoline_kernelINS0_14default_configENS1_25transform_config_selectorIjLb0EEEZNS1_14transform_implILb0ES3_S5_NS0_18transform_iteratorINS0_17counting_iteratorImlEEZNS1_24adjacent_difference_implIS3_Lb1ELb0EPjN6thrust23THRUST_200600_302600_NS16discard_iteratorINSD_11use_defaultEEENSD_5minusIjEEEE10hipError_tPvRmT2_T3_mT4_P12ihipStream_tbEUlmE_jEESB_NS0_8identityIvEEEESJ_SM_SN_mSO_SQ_bEUlT_E_NS1_11comp_targetILNS1_3genE10ELNS1_11target_archE1201ELNS1_3gpuE5ELNS1_3repE0EEENS1_30default_config_static_selectorELNS0_4arch9wavefront6targetE1EEEvT1_
	.globl	_ZN7rocprim17ROCPRIM_400000_NS6detail17trampoline_kernelINS0_14default_configENS1_25transform_config_selectorIjLb0EEEZNS1_14transform_implILb0ES3_S5_NS0_18transform_iteratorINS0_17counting_iteratorImlEEZNS1_24adjacent_difference_implIS3_Lb1ELb0EPjN6thrust23THRUST_200600_302600_NS16discard_iteratorINSD_11use_defaultEEENSD_5minusIjEEEE10hipError_tPvRmT2_T3_mT4_P12ihipStream_tbEUlmE_jEESB_NS0_8identityIvEEEESJ_SM_SN_mSO_SQ_bEUlT_E_NS1_11comp_targetILNS1_3genE10ELNS1_11target_archE1201ELNS1_3gpuE5ELNS1_3repE0EEENS1_30default_config_static_selectorELNS0_4arch9wavefront6targetE1EEEvT1_
	.p2align	8
	.type	_ZN7rocprim17ROCPRIM_400000_NS6detail17trampoline_kernelINS0_14default_configENS1_25transform_config_selectorIjLb0EEEZNS1_14transform_implILb0ES3_S5_NS0_18transform_iteratorINS0_17counting_iteratorImlEEZNS1_24adjacent_difference_implIS3_Lb1ELb0EPjN6thrust23THRUST_200600_302600_NS16discard_iteratorINSD_11use_defaultEEENSD_5minusIjEEEE10hipError_tPvRmT2_T3_mT4_P12ihipStream_tbEUlmE_jEESB_NS0_8identityIvEEEESJ_SM_SN_mSO_SQ_bEUlT_E_NS1_11comp_targetILNS1_3genE10ELNS1_11target_archE1201ELNS1_3gpuE5ELNS1_3repE0EEENS1_30default_config_static_selectorELNS0_4arch9wavefront6targetE1EEEvT1_,@function
_ZN7rocprim17ROCPRIM_400000_NS6detail17trampoline_kernelINS0_14default_configENS1_25transform_config_selectorIjLb0EEEZNS1_14transform_implILb0ES3_S5_NS0_18transform_iteratorINS0_17counting_iteratorImlEEZNS1_24adjacent_difference_implIS3_Lb1ELb0EPjN6thrust23THRUST_200600_302600_NS16discard_iteratorINSD_11use_defaultEEENSD_5minusIjEEEE10hipError_tPvRmT2_T3_mT4_P12ihipStream_tbEUlmE_jEESB_NS0_8identityIvEEEESJ_SM_SN_mSO_SQ_bEUlT_E_NS1_11comp_targetILNS1_3genE10ELNS1_11target_archE1201ELNS1_3gpuE5ELNS1_3repE0EEENS1_30default_config_static_selectorELNS0_4arch9wavefront6targetE1EEEvT1_: ; @_ZN7rocprim17ROCPRIM_400000_NS6detail17trampoline_kernelINS0_14default_configENS1_25transform_config_selectorIjLb0EEEZNS1_14transform_implILb0ES3_S5_NS0_18transform_iteratorINS0_17counting_iteratorImlEEZNS1_24adjacent_difference_implIS3_Lb1ELb0EPjN6thrust23THRUST_200600_302600_NS16discard_iteratorINSD_11use_defaultEEENSD_5minusIjEEEE10hipError_tPvRmT2_T3_mT4_P12ihipStream_tbEUlmE_jEESB_NS0_8identityIvEEEESJ_SM_SN_mSO_SQ_bEUlT_E_NS1_11comp_targetILNS1_3genE10ELNS1_11target_archE1201ELNS1_3gpuE5ELNS1_3repE0EEENS1_30default_config_static_selectorELNS0_4arch9wavefront6targetE1EEEvT1_
; %bb.0:
	.section	.rodata,"a",@progbits
	.p2align	6, 0x0
	.amdhsa_kernel _ZN7rocprim17ROCPRIM_400000_NS6detail17trampoline_kernelINS0_14default_configENS1_25transform_config_selectorIjLb0EEEZNS1_14transform_implILb0ES3_S5_NS0_18transform_iteratorINS0_17counting_iteratorImlEEZNS1_24adjacent_difference_implIS3_Lb1ELb0EPjN6thrust23THRUST_200600_302600_NS16discard_iteratorINSD_11use_defaultEEENSD_5minusIjEEEE10hipError_tPvRmT2_T3_mT4_P12ihipStream_tbEUlmE_jEESB_NS0_8identityIvEEEESJ_SM_SN_mSO_SQ_bEUlT_E_NS1_11comp_targetILNS1_3genE10ELNS1_11target_archE1201ELNS1_3gpuE5ELNS1_3repE0EEENS1_30default_config_static_selectorELNS0_4arch9wavefront6targetE1EEEvT1_
		.amdhsa_group_segment_fixed_size 0
		.amdhsa_private_segment_fixed_size 0
		.amdhsa_kernarg_size 56
		.amdhsa_user_sgpr_count 2
		.amdhsa_user_sgpr_dispatch_ptr 0
		.amdhsa_user_sgpr_queue_ptr 0
		.amdhsa_user_sgpr_kernarg_segment_ptr 1
		.amdhsa_user_sgpr_dispatch_id 0
		.amdhsa_user_sgpr_kernarg_preload_length 0
		.amdhsa_user_sgpr_kernarg_preload_offset 0
		.amdhsa_user_sgpr_private_segment_size 0
		.amdhsa_uses_dynamic_stack 0
		.amdhsa_enable_private_segment 0
		.amdhsa_system_sgpr_workgroup_id_x 1
		.amdhsa_system_sgpr_workgroup_id_y 0
		.amdhsa_system_sgpr_workgroup_id_z 0
		.amdhsa_system_sgpr_workgroup_info 0
		.amdhsa_system_vgpr_workitem_id 0
		.amdhsa_next_free_vgpr 1
		.amdhsa_next_free_sgpr 0
		.amdhsa_accum_offset 4
		.amdhsa_reserve_vcc 0
		.amdhsa_float_round_mode_32 0
		.amdhsa_float_round_mode_16_64 0
		.amdhsa_float_denorm_mode_32 3
		.amdhsa_float_denorm_mode_16_64 3
		.amdhsa_dx10_clamp 1
		.amdhsa_ieee_mode 1
		.amdhsa_fp16_overflow 0
		.amdhsa_tg_split 0
		.amdhsa_exception_fp_ieee_invalid_op 0
		.amdhsa_exception_fp_denorm_src 0
		.amdhsa_exception_fp_ieee_div_zero 0
		.amdhsa_exception_fp_ieee_overflow 0
		.amdhsa_exception_fp_ieee_underflow 0
		.amdhsa_exception_fp_ieee_inexact 0
		.amdhsa_exception_int_div_zero 0
	.end_amdhsa_kernel
	.section	.text._ZN7rocprim17ROCPRIM_400000_NS6detail17trampoline_kernelINS0_14default_configENS1_25transform_config_selectorIjLb0EEEZNS1_14transform_implILb0ES3_S5_NS0_18transform_iteratorINS0_17counting_iteratorImlEEZNS1_24adjacent_difference_implIS3_Lb1ELb0EPjN6thrust23THRUST_200600_302600_NS16discard_iteratorINSD_11use_defaultEEENSD_5minusIjEEEE10hipError_tPvRmT2_T3_mT4_P12ihipStream_tbEUlmE_jEESB_NS0_8identityIvEEEESJ_SM_SN_mSO_SQ_bEUlT_E_NS1_11comp_targetILNS1_3genE10ELNS1_11target_archE1201ELNS1_3gpuE5ELNS1_3repE0EEENS1_30default_config_static_selectorELNS0_4arch9wavefront6targetE1EEEvT1_,"axG",@progbits,_ZN7rocprim17ROCPRIM_400000_NS6detail17trampoline_kernelINS0_14default_configENS1_25transform_config_selectorIjLb0EEEZNS1_14transform_implILb0ES3_S5_NS0_18transform_iteratorINS0_17counting_iteratorImlEEZNS1_24adjacent_difference_implIS3_Lb1ELb0EPjN6thrust23THRUST_200600_302600_NS16discard_iteratorINSD_11use_defaultEEENSD_5minusIjEEEE10hipError_tPvRmT2_T3_mT4_P12ihipStream_tbEUlmE_jEESB_NS0_8identityIvEEEESJ_SM_SN_mSO_SQ_bEUlT_E_NS1_11comp_targetILNS1_3genE10ELNS1_11target_archE1201ELNS1_3gpuE5ELNS1_3repE0EEENS1_30default_config_static_selectorELNS0_4arch9wavefront6targetE1EEEvT1_,comdat
.Lfunc_end756:
	.size	_ZN7rocprim17ROCPRIM_400000_NS6detail17trampoline_kernelINS0_14default_configENS1_25transform_config_selectorIjLb0EEEZNS1_14transform_implILb0ES3_S5_NS0_18transform_iteratorINS0_17counting_iteratorImlEEZNS1_24adjacent_difference_implIS3_Lb1ELb0EPjN6thrust23THRUST_200600_302600_NS16discard_iteratorINSD_11use_defaultEEENSD_5minusIjEEEE10hipError_tPvRmT2_T3_mT4_P12ihipStream_tbEUlmE_jEESB_NS0_8identityIvEEEESJ_SM_SN_mSO_SQ_bEUlT_E_NS1_11comp_targetILNS1_3genE10ELNS1_11target_archE1201ELNS1_3gpuE5ELNS1_3repE0EEENS1_30default_config_static_selectorELNS0_4arch9wavefront6targetE1EEEvT1_, .Lfunc_end756-_ZN7rocprim17ROCPRIM_400000_NS6detail17trampoline_kernelINS0_14default_configENS1_25transform_config_selectorIjLb0EEEZNS1_14transform_implILb0ES3_S5_NS0_18transform_iteratorINS0_17counting_iteratorImlEEZNS1_24adjacent_difference_implIS3_Lb1ELb0EPjN6thrust23THRUST_200600_302600_NS16discard_iteratorINSD_11use_defaultEEENSD_5minusIjEEEE10hipError_tPvRmT2_T3_mT4_P12ihipStream_tbEUlmE_jEESB_NS0_8identityIvEEEESJ_SM_SN_mSO_SQ_bEUlT_E_NS1_11comp_targetILNS1_3genE10ELNS1_11target_archE1201ELNS1_3gpuE5ELNS1_3repE0EEENS1_30default_config_static_selectorELNS0_4arch9wavefront6targetE1EEEvT1_
                                        ; -- End function
	.section	.AMDGPU.csdata,"",@progbits
; Kernel info:
; codeLenInByte = 0
; NumSgprs: 6
; NumVgprs: 0
; NumAgprs: 0
; TotalNumVgprs: 0
; ScratchSize: 0
; MemoryBound: 0
; FloatMode: 240
; IeeeMode: 1
; LDSByteSize: 0 bytes/workgroup (compile time only)
; SGPRBlocks: 0
; VGPRBlocks: 0
; NumSGPRsForWavesPerEU: 6
; NumVGPRsForWavesPerEU: 1
; AccumOffset: 4
; Occupancy: 8
; WaveLimiterHint : 0
; COMPUTE_PGM_RSRC2:SCRATCH_EN: 0
; COMPUTE_PGM_RSRC2:USER_SGPR: 2
; COMPUTE_PGM_RSRC2:TRAP_HANDLER: 0
; COMPUTE_PGM_RSRC2:TGID_X_EN: 1
; COMPUTE_PGM_RSRC2:TGID_Y_EN: 0
; COMPUTE_PGM_RSRC2:TGID_Z_EN: 0
; COMPUTE_PGM_RSRC2:TIDIG_COMP_CNT: 0
; COMPUTE_PGM_RSRC3_GFX90A:ACCUM_OFFSET: 0
; COMPUTE_PGM_RSRC3_GFX90A:TG_SPLIT: 0
	.section	.text._ZN7rocprim17ROCPRIM_400000_NS6detail17trampoline_kernelINS0_14default_configENS1_25transform_config_selectorIjLb0EEEZNS1_14transform_implILb0ES3_S5_NS0_18transform_iteratorINS0_17counting_iteratorImlEEZNS1_24adjacent_difference_implIS3_Lb1ELb0EPjN6thrust23THRUST_200600_302600_NS16discard_iteratorINSD_11use_defaultEEENSD_5minusIjEEEE10hipError_tPvRmT2_T3_mT4_P12ihipStream_tbEUlmE_jEESB_NS0_8identityIvEEEESJ_SM_SN_mSO_SQ_bEUlT_E_NS1_11comp_targetILNS1_3genE10ELNS1_11target_archE1200ELNS1_3gpuE4ELNS1_3repE0EEENS1_30default_config_static_selectorELNS0_4arch9wavefront6targetE1EEEvT1_,"axG",@progbits,_ZN7rocprim17ROCPRIM_400000_NS6detail17trampoline_kernelINS0_14default_configENS1_25transform_config_selectorIjLb0EEEZNS1_14transform_implILb0ES3_S5_NS0_18transform_iteratorINS0_17counting_iteratorImlEEZNS1_24adjacent_difference_implIS3_Lb1ELb0EPjN6thrust23THRUST_200600_302600_NS16discard_iteratorINSD_11use_defaultEEENSD_5minusIjEEEE10hipError_tPvRmT2_T3_mT4_P12ihipStream_tbEUlmE_jEESB_NS0_8identityIvEEEESJ_SM_SN_mSO_SQ_bEUlT_E_NS1_11comp_targetILNS1_3genE10ELNS1_11target_archE1200ELNS1_3gpuE4ELNS1_3repE0EEENS1_30default_config_static_selectorELNS0_4arch9wavefront6targetE1EEEvT1_,comdat
	.protected	_ZN7rocprim17ROCPRIM_400000_NS6detail17trampoline_kernelINS0_14default_configENS1_25transform_config_selectorIjLb0EEEZNS1_14transform_implILb0ES3_S5_NS0_18transform_iteratorINS0_17counting_iteratorImlEEZNS1_24adjacent_difference_implIS3_Lb1ELb0EPjN6thrust23THRUST_200600_302600_NS16discard_iteratorINSD_11use_defaultEEENSD_5minusIjEEEE10hipError_tPvRmT2_T3_mT4_P12ihipStream_tbEUlmE_jEESB_NS0_8identityIvEEEESJ_SM_SN_mSO_SQ_bEUlT_E_NS1_11comp_targetILNS1_3genE10ELNS1_11target_archE1200ELNS1_3gpuE4ELNS1_3repE0EEENS1_30default_config_static_selectorELNS0_4arch9wavefront6targetE1EEEvT1_ ; -- Begin function _ZN7rocprim17ROCPRIM_400000_NS6detail17trampoline_kernelINS0_14default_configENS1_25transform_config_selectorIjLb0EEEZNS1_14transform_implILb0ES3_S5_NS0_18transform_iteratorINS0_17counting_iteratorImlEEZNS1_24adjacent_difference_implIS3_Lb1ELb0EPjN6thrust23THRUST_200600_302600_NS16discard_iteratorINSD_11use_defaultEEENSD_5minusIjEEEE10hipError_tPvRmT2_T3_mT4_P12ihipStream_tbEUlmE_jEESB_NS0_8identityIvEEEESJ_SM_SN_mSO_SQ_bEUlT_E_NS1_11comp_targetILNS1_3genE10ELNS1_11target_archE1200ELNS1_3gpuE4ELNS1_3repE0EEENS1_30default_config_static_selectorELNS0_4arch9wavefront6targetE1EEEvT1_
	.globl	_ZN7rocprim17ROCPRIM_400000_NS6detail17trampoline_kernelINS0_14default_configENS1_25transform_config_selectorIjLb0EEEZNS1_14transform_implILb0ES3_S5_NS0_18transform_iteratorINS0_17counting_iteratorImlEEZNS1_24adjacent_difference_implIS3_Lb1ELb0EPjN6thrust23THRUST_200600_302600_NS16discard_iteratorINSD_11use_defaultEEENSD_5minusIjEEEE10hipError_tPvRmT2_T3_mT4_P12ihipStream_tbEUlmE_jEESB_NS0_8identityIvEEEESJ_SM_SN_mSO_SQ_bEUlT_E_NS1_11comp_targetILNS1_3genE10ELNS1_11target_archE1200ELNS1_3gpuE4ELNS1_3repE0EEENS1_30default_config_static_selectorELNS0_4arch9wavefront6targetE1EEEvT1_
	.p2align	8
	.type	_ZN7rocprim17ROCPRIM_400000_NS6detail17trampoline_kernelINS0_14default_configENS1_25transform_config_selectorIjLb0EEEZNS1_14transform_implILb0ES3_S5_NS0_18transform_iteratorINS0_17counting_iteratorImlEEZNS1_24adjacent_difference_implIS3_Lb1ELb0EPjN6thrust23THRUST_200600_302600_NS16discard_iteratorINSD_11use_defaultEEENSD_5minusIjEEEE10hipError_tPvRmT2_T3_mT4_P12ihipStream_tbEUlmE_jEESB_NS0_8identityIvEEEESJ_SM_SN_mSO_SQ_bEUlT_E_NS1_11comp_targetILNS1_3genE10ELNS1_11target_archE1200ELNS1_3gpuE4ELNS1_3repE0EEENS1_30default_config_static_selectorELNS0_4arch9wavefront6targetE1EEEvT1_,@function
_ZN7rocprim17ROCPRIM_400000_NS6detail17trampoline_kernelINS0_14default_configENS1_25transform_config_selectorIjLb0EEEZNS1_14transform_implILb0ES3_S5_NS0_18transform_iteratorINS0_17counting_iteratorImlEEZNS1_24adjacent_difference_implIS3_Lb1ELb0EPjN6thrust23THRUST_200600_302600_NS16discard_iteratorINSD_11use_defaultEEENSD_5minusIjEEEE10hipError_tPvRmT2_T3_mT4_P12ihipStream_tbEUlmE_jEESB_NS0_8identityIvEEEESJ_SM_SN_mSO_SQ_bEUlT_E_NS1_11comp_targetILNS1_3genE10ELNS1_11target_archE1200ELNS1_3gpuE4ELNS1_3repE0EEENS1_30default_config_static_selectorELNS0_4arch9wavefront6targetE1EEEvT1_: ; @_ZN7rocprim17ROCPRIM_400000_NS6detail17trampoline_kernelINS0_14default_configENS1_25transform_config_selectorIjLb0EEEZNS1_14transform_implILb0ES3_S5_NS0_18transform_iteratorINS0_17counting_iteratorImlEEZNS1_24adjacent_difference_implIS3_Lb1ELb0EPjN6thrust23THRUST_200600_302600_NS16discard_iteratorINSD_11use_defaultEEENSD_5minusIjEEEE10hipError_tPvRmT2_T3_mT4_P12ihipStream_tbEUlmE_jEESB_NS0_8identityIvEEEESJ_SM_SN_mSO_SQ_bEUlT_E_NS1_11comp_targetILNS1_3genE10ELNS1_11target_archE1200ELNS1_3gpuE4ELNS1_3repE0EEENS1_30default_config_static_selectorELNS0_4arch9wavefront6targetE1EEEvT1_
; %bb.0:
	.section	.rodata,"a",@progbits
	.p2align	6, 0x0
	.amdhsa_kernel _ZN7rocprim17ROCPRIM_400000_NS6detail17trampoline_kernelINS0_14default_configENS1_25transform_config_selectorIjLb0EEEZNS1_14transform_implILb0ES3_S5_NS0_18transform_iteratorINS0_17counting_iteratorImlEEZNS1_24adjacent_difference_implIS3_Lb1ELb0EPjN6thrust23THRUST_200600_302600_NS16discard_iteratorINSD_11use_defaultEEENSD_5minusIjEEEE10hipError_tPvRmT2_T3_mT4_P12ihipStream_tbEUlmE_jEESB_NS0_8identityIvEEEESJ_SM_SN_mSO_SQ_bEUlT_E_NS1_11comp_targetILNS1_3genE10ELNS1_11target_archE1200ELNS1_3gpuE4ELNS1_3repE0EEENS1_30default_config_static_selectorELNS0_4arch9wavefront6targetE1EEEvT1_
		.amdhsa_group_segment_fixed_size 0
		.amdhsa_private_segment_fixed_size 0
		.amdhsa_kernarg_size 56
		.amdhsa_user_sgpr_count 2
		.amdhsa_user_sgpr_dispatch_ptr 0
		.amdhsa_user_sgpr_queue_ptr 0
		.amdhsa_user_sgpr_kernarg_segment_ptr 1
		.amdhsa_user_sgpr_dispatch_id 0
		.amdhsa_user_sgpr_kernarg_preload_length 0
		.amdhsa_user_sgpr_kernarg_preload_offset 0
		.amdhsa_user_sgpr_private_segment_size 0
		.amdhsa_uses_dynamic_stack 0
		.amdhsa_enable_private_segment 0
		.amdhsa_system_sgpr_workgroup_id_x 1
		.amdhsa_system_sgpr_workgroup_id_y 0
		.amdhsa_system_sgpr_workgroup_id_z 0
		.amdhsa_system_sgpr_workgroup_info 0
		.amdhsa_system_vgpr_workitem_id 0
		.amdhsa_next_free_vgpr 1
		.amdhsa_next_free_sgpr 0
		.amdhsa_accum_offset 4
		.amdhsa_reserve_vcc 0
		.amdhsa_float_round_mode_32 0
		.amdhsa_float_round_mode_16_64 0
		.amdhsa_float_denorm_mode_32 3
		.amdhsa_float_denorm_mode_16_64 3
		.amdhsa_dx10_clamp 1
		.amdhsa_ieee_mode 1
		.amdhsa_fp16_overflow 0
		.amdhsa_tg_split 0
		.amdhsa_exception_fp_ieee_invalid_op 0
		.amdhsa_exception_fp_denorm_src 0
		.amdhsa_exception_fp_ieee_div_zero 0
		.amdhsa_exception_fp_ieee_overflow 0
		.amdhsa_exception_fp_ieee_underflow 0
		.amdhsa_exception_fp_ieee_inexact 0
		.amdhsa_exception_int_div_zero 0
	.end_amdhsa_kernel
	.section	.text._ZN7rocprim17ROCPRIM_400000_NS6detail17trampoline_kernelINS0_14default_configENS1_25transform_config_selectorIjLb0EEEZNS1_14transform_implILb0ES3_S5_NS0_18transform_iteratorINS0_17counting_iteratorImlEEZNS1_24adjacent_difference_implIS3_Lb1ELb0EPjN6thrust23THRUST_200600_302600_NS16discard_iteratorINSD_11use_defaultEEENSD_5minusIjEEEE10hipError_tPvRmT2_T3_mT4_P12ihipStream_tbEUlmE_jEESB_NS0_8identityIvEEEESJ_SM_SN_mSO_SQ_bEUlT_E_NS1_11comp_targetILNS1_3genE10ELNS1_11target_archE1200ELNS1_3gpuE4ELNS1_3repE0EEENS1_30default_config_static_selectorELNS0_4arch9wavefront6targetE1EEEvT1_,"axG",@progbits,_ZN7rocprim17ROCPRIM_400000_NS6detail17trampoline_kernelINS0_14default_configENS1_25transform_config_selectorIjLb0EEEZNS1_14transform_implILb0ES3_S5_NS0_18transform_iteratorINS0_17counting_iteratorImlEEZNS1_24adjacent_difference_implIS3_Lb1ELb0EPjN6thrust23THRUST_200600_302600_NS16discard_iteratorINSD_11use_defaultEEENSD_5minusIjEEEE10hipError_tPvRmT2_T3_mT4_P12ihipStream_tbEUlmE_jEESB_NS0_8identityIvEEEESJ_SM_SN_mSO_SQ_bEUlT_E_NS1_11comp_targetILNS1_3genE10ELNS1_11target_archE1200ELNS1_3gpuE4ELNS1_3repE0EEENS1_30default_config_static_selectorELNS0_4arch9wavefront6targetE1EEEvT1_,comdat
.Lfunc_end757:
	.size	_ZN7rocprim17ROCPRIM_400000_NS6detail17trampoline_kernelINS0_14default_configENS1_25transform_config_selectorIjLb0EEEZNS1_14transform_implILb0ES3_S5_NS0_18transform_iteratorINS0_17counting_iteratorImlEEZNS1_24adjacent_difference_implIS3_Lb1ELb0EPjN6thrust23THRUST_200600_302600_NS16discard_iteratorINSD_11use_defaultEEENSD_5minusIjEEEE10hipError_tPvRmT2_T3_mT4_P12ihipStream_tbEUlmE_jEESB_NS0_8identityIvEEEESJ_SM_SN_mSO_SQ_bEUlT_E_NS1_11comp_targetILNS1_3genE10ELNS1_11target_archE1200ELNS1_3gpuE4ELNS1_3repE0EEENS1_30default_config_static_selectorELNS0_4arch9wavefront6targetE1EEEvT1_, .Lfunc_end757-_ZN7rocprim17ROCPRIM_400000_NS6detail17trampoline_kernelINS0_14default_configENS1_25transform_config_selectorIjLb0EEEZNS1_14transform_implILb0ES3_S5_NS0_18transform_iteratorINS0_17counting_iteratorImlEEZNS1_24adjacent_difference_implIS3_Lb1ELb0EPjN6thrust23THRUST_200600_302600_NS16discard_iteratorINSD_11use_defaultEEENSD_5minusIjEEEE10hipError_tPvRmT2_T3_mT4_P12ihipStream_tbEUlmE_jEESB_NS0_8identityIvEEEESJ_SM_SN_mSO_SQ_bEUlT_E_NS1_11comp_targetILNS1_3genE10ELNS1_11target_archE1200ELNS1_3gpuE4ELNS1_3repE0EEENS1_30default_config_static_selectorELNS0_4arch9wavefront6targetE1EEEvT1_
                                        ; -- End function
	.section	.AMDGPU.csdata,"",@progbits
; Kernel info:
; codeLenInByte = 0
; NumSgprs: 6
; NumVgprs: 0
; NumAgprs: 0
; TotalNumVgprs: 0
; ScratchSize: 0
; MemoryBound: 0
; FloatMode: 240
; IeeeMode: 1
; LDSByteSize: 0 bytes/workgroup (compile time only)
; SGPRBlocks: 0
; VGPRBlocks: 0
; NumSGPRsForWavesPerEU: 6
; NumVGPRsForWavesPerEU: 1
; AccumOffset: 4
; Occupancy: 8
; WaveLimiterHint : 0
; COMPUTE_PGM_RSRC2:SCRATCH_EN: 0
; COMPUTE_PGM_RSRC2:USER_SGPR: 2
; COMPUTE_PGM_RSRC2:TRAP_HANDLER: 0
; COMPUTE_PGM_RSRC2:TGID_X_EN: 1
; COMPUTE_PGM_RSRC2:TGID_Y_EN: 0
; COMPUTE_PGM_RSRC2:TGID_Z_EN: 0
; COMPUTE_PGM_RSRC2:TIDIG_COMP_CNT: 0
; COMPUTE_PGM_RSRC3_GFX90A:ACCUM_OFFSET: 0
; COMPUTE_PGM_RSRC3_GFX90A:TG_SPLIT: 0
	.section	.text._ZN7rocprim17ROCPRIM_400000_NS6detail17trampoline_kernelINS0_14default_configENS1_25transform_config_selectorIjLb0EEEZNS1_14transform_implILb0ES3_S5_NS0_18transform_iteratorINS0_17counting_iteratorImlEEZNS1_24adjacent_difference_implIS3_Lb1ELb0EPjN6thrust23THRUST_200600_302600_NS16discard_iteratorINSD_11use_defaultEEENSD_5minusIjEEEE10hipError_tPvRmT2_T3_mT4_P12ihipStream_tbEUlmE_jEESB_NS0_8identityIvEEEESJ_SM_SN_mSO_SQ_bEUlT_E_NS1_11comp_targetILNS1_3genE9ELNS1_11target_archE1100ELNS1_3gpuE3ELNS1_3repE0EEENS1_30default_config_static_selectorELNS0_4arch9wavefront6targetE1EEEvT1_,"axG",@progbits,_ZN7rocprim17ROCPRIM_400000_NS6detail17trampoline_kernelINS0_14default_configENS1_25transform_config_selectorIjLb0EEEZNS1_14transform_implILb0ES3_S5_NS0_18transform_iteratorINS0_17counting_iteratorImlEEZNS1_24adjacent_difference_implIS3_Lb1ELb0EPjN6thrust23THRUST_200600_302600_NS16discard_iteratorINSD_11use_defaultEEENSD_5minusIjEEEE10hipError_tPvRmT2_T3_mT4_P12ihipStream_tbEUlmE_jEESB_NS0_8identityIvEEEESJ_SM_SN_mSO_SQ_bEUlT_E_NS1_11comp_targetILNS1_3genE9ELNS1_11target_archE1100ELNS1_3gpuE3ELNS1_3repE0EEENS1_30default_config_static_selectorELNS0_4arch9wavefront6targetE1EEEvT1_,comdat
	.protected	_ZN7rocprim17ROCPRIM_400000_NS6detail17trampoline_kernelINS0_14default_configENS1_25transform_config_selectorIjLb0EEEZNS1_14transform_implILb0ES3_S5_NS0_18transform_iteratorINS0_17counting_iteratorImlEEZNS1_24adjacent_difference_implIS3_Lb1ELb0EPjN6thrust23THRUST_200600_302600_NS16discard_iteratorINSD_11use_defaultEEENSD_5minusIjEEEE10hipError_tPvRmT2_T3_mT4_P12ihipStream_tbEUlmE_jEESB_NS0_8identityIvEEEESJ_SM_SN_mSO_SQ_bEUlT_E_NS1_11comp_targetILNS1_3genE9ELNS1_11target_archE1100ELNS1_3gpuE3ELNS1_3repE0EEENS1_30default_config_static_selectorELNS0_4arch9wavefront6targetE1EEEvT1_ ; -- Begin function _ZN7rocprim17ROCPRIM_400000_NS6detail17trampoline_kernelINS0_14default_configENS1_25transform_config_selectorIjLb0EEEZNS1_14transform_implILb0ES3_S5_NS0_18transform_iteratorINS0_17counting_iteratorImlEEZNS1_24adjacent_difference_implIS3_Lb1ELb0EPjN6thrust23THRUST_200600_302600_NS16discard_iteratorINSD_11use_defaultEEENSD_5minusIjEEEE10hipError_tPvRmT2_T3_mT4_P12ihipStream_tbEUlmE_jEESB_NS0_8identityIvEEEESJ_SM_SN_mSO_SQ_bEUlT_E_NS1_11comp_targetILNS1_3genE9ELNS1_11target_archE1100ELNS1_3gpuE3ELNS1_3repE0EEENS1_30default_config_static_selectorELNS0_4arch9wavefront6targetE1EEEvT1_
	.globl	_ZN7rocprim17ROCPRIM_400000_NS6detail17trampoline_kernelINS0_14default_configENS1_25transform_config_selectorIjLb0EEEZNS1_14transform_implILb0ES3_S5_NS0_18transform_iteratorINS0_17counting_iteratorImlEEZNS1_24adjacent_difference_implIS3_Lb1ELb0EPjN6thrust23THRUST_200600_302600_NS16discard_iteratorINSD_11use_defaultEEENSD_5minusIjEEEE10hipError_tPvRmT2_T3_mT4_P12ihipStream_tbEUlmE_jEESB_NS0_8identityIvEEEESJ_SM_SN_mSO_SQ_bEUlT_E_NS1_11comp_targetILNS1_3genE9ELNS1_11target_archE1100ELNS1_3gpuE3ELNS1_3repE0EEENS1_30default_config_static_selectorELNS0_4arch9wavefront6targetE1EEEvT1_
	.p2align	8
	.type	_ZN7rocprim17ROCPRIM_400000_NS6detail17trampoline_kernelINS0_14default_configENS1_25transform_config_selectorIjLb0EEEZNS1_14transform_implILb0ES3_S5_NS0_18transform_iteratorINS0_17counting_iteratorImlEEZNS1_24adjacent_difference_implIS3_Lb1ELb0EPjN6thrust23THRUST_200600_302600_NS16discard_iteratorINSD_11use_defaultEEENSD_5minusIjEEEE10hipError_tPvRmT2_T3_mT4_P12ihipStream_tbEUlmE_jEESB_NS0_8identityIvEEEESJ_SM_SN_mSO_SQ_bEUlT_E_NS1_11comp_targetILNS1_3genE9ELNS1_11target_archE1100ELNS1_3gpuE3ELNS1_3repE0EEENS1_30default_config_static_selectorELNS0_4arch9wavefront6targetE1EEEvT1_,@function
_ZN7rocprim17ROCPRIM_400000_NS6detail17trampoline_kernelINS0_14default_configENS1_25transform_config_selectorIjLb0EEEZNS1_14transform_implILb0ES3_S5_NS0_18transform_iteratorINS0_17counting_iteratorImlEEZNS1_24adjacent_difference_implIS3_Lb1ELb0EPjN6thrust23THRUST_200600_302600_NS16discard_iteratorINSD_11use_defaultEEENSD_5minusIjEEEE10hipError_tPvRmT2_T3_mT4_P12ihipStream_tbEUlmE_jEESB_NS0_8identityIvEEEESJ_SM_SN_mSO_SQ_bEUlT_E_NS1_11comp_targetILNS1_3genE9ELNS1_11target_archE1100ELNS1_3gpuE3ELNS1_3repE0EEENS1_30default_config_static_selectorELNS0_4arch9wavefront6targetE1EEEvT1_: ; @_ZN7rocprim17ROCPRIM_400000_NS6detail17trampoline_kernelINS0_14default_configENS1_25transform_config_selectorIjLb0EEEZNS1_14transform_implILb0ES3_S5_NS0_18transform_iteratorINS0_17counting_iteratorImlEEZNS1_24adjacent_difference_implIS3_Lb1ELb0EPjN6thrust23THRUST_200600_302600_NS16discard_iteratorINSD_11use_defaultEEENSD_5minusIjEEEE10hipError_tPvRmT2_T3_mT4_P12ihipStream_tbEUlmE_jEESB_NS0_8identityIvEEEESJ_SM_SN_mSO_SQ_bEUlT_E_NS1_11comp_targetILNS1_3genE9ELNS1_11target_archE1100ELNS1_3gpuE3ELNS1_3repE0EEENS1_30default_config_static_selectorELNS0_4arch9wavefront6targetE1EEEvT1_
; %bb.0:
	.section	.rodata,"a",@progbits
	.p2align	6, 0x0
	.amdhsa_kernel _ZN7rocprim17ROCPRIM_400000_NS6detail17trampoline_kernelINS0_14default_configENS1_25transform_config_selectorIjLb0EEEZNS1_14transform_implILb0ES3_S5_NS0_18transform_iteratorINS0_17counting_iteratorImlEEZNS1_24adjacent_difference_implIS3_Lb1ELb0EPjN6thrust23THRUST_200600_302600_NS16discard_iteratorINSD_11use_defaultEEENSD_5minusIjEEEE10hipError_tPvRmT2_T3_mT4_P12ihipStream_tbEUlmE_jEESB_NS0_8identityIvEEEESJ_SM_SN_mSO_SQ_bEUlT_E_NS1_11comp_targetILNS1_3genE9ELNS1_11target_archE1100ELNS1_3gpuE3ELNS1_3repE0EEENS1_30default_config_static_selectorELNS0_4arch9wavefront6targetE1EEEvT1_
		.amdhsa_group_segment_fixed_size 0
		.amdhsa_private_segment_fixed_size 0
		.amdhsa_kernarg_size 56
		.amdhsa_user_sgpr_count 2
		.amdhsa_user_sgpr_dispatch_ptr 0
		.amdhsa_user_sgpr_queue_ptr 0
		.amdhsa_user_sgpr_kernarg_segment_ptr 1
		.amdhsa_user_sgpr_dispatch_id 0
		.amdhsa_user_sgpr_kernarg_preload_length 0
		.amdhsa_user_sgpr_kernarg_preload_offset 0
		.amdhsa_user_sgpr_private_segment_size 0
		.amdhsa_uses_dynamic_stack 0
		.amdhsa_enable_private_segment 0
		.amdhsa_system_sgpr_workgroup_id_x 1
		.amdhsa_system_sgpr_workgroup_id_y 0
		.amdhsa_system_sgpr_workgroup_id_z 0
		.amdhsa_system_sgpr_workgroup_info 0
		.amdhsa_system_vgpr_workitem_id 0
		.amdhsa_next_free_vgpr 1
		.amdhsa_next_free_sgpr 0
		.amdhsa_accum_offset 4
		.amdhsa_reserve_vcc 0
		.amdhsa_float_round_mode_32 0
		.amdhsa_float_round_mode_16_64 0
		.amdhsa_float_denorm_mode_32 3
		.amdhsa_float_denorm_mode_16_64 3
		.amdhsa_dx10_clamp 1
		.amdhsa_ieee_mode 1
		.amdhsa_fp16_overflow 0
		.amdhsa_tg_split 0
		.amdhsa_exception_fp_ieee_invalid_op 0
		.amdhsa_exception_fp_denorm_src 0
		.amdhsa_exception_fp_ieee_div_zero 0
		.amdhsa_exception_fp_ieee_overflow 0
		.amdhsa_exception_fp_ieee_underflow 0
		.amdhsa_exception_fp_ieee_inexact 0
		.amdhsa_exception_int_div_zero 0
	.end_amdhsa_kernel
	.section	.text._ZN7rocprim17ROCPRIM_400000_NS6detail17trampoline_kernelINS0_14default_configENS1_25transform_config_selectorIjLb0EEEZNS1_14transform_implILb0ES3_S5_NS0_18transform_iteratorINS0_17counting_iteratorImlEEZNS1_24adjacent_difference_implIS3_Lb1ELb0EPjN6thrust23THRUST_200600_302600_NS16discard_iteratorINSD_11use_defaultEEENSD_5minusIjEEEE10hipError_tPvRmT2_T3_mT4_P12ihipStream_tbEUlmE_jEESB_NS0_8identityIvEEEESJ_SM_SN_mSO_SQ_bEUlT_E_NS1_11comp_targetILNS1_3genE9ELNS1_11target_archE1100ELNS1_3gpuE3ELNS1_3repE0EEENS1_30default_config_static_selectorELNS0_4arch9wavefront6targetE1EEEvT1_,"axG",@progbits,_ZN7rocprim17ROCPRIM_400000_NS6detail17trampoline_kernelINS0_14default_configENS1_25transform_config_selectorIjLb0EEEZNS1_14transform_implILb0ES3_S5_NS0_18transform_iteratorINS0_17counting_iteratorImlEEZNS1_24adjacent_difference_implIS3_Lb1ELb0EPjN6thrust23THRUST_200600_302600_NS16discard_iteratorINSD_11use_defaultEEENSD_5minusIjEEEE10hipError_tPvRmT2_T3_mT4_P12ihipStream_tbEUlmE_jEESB_NS0_8identityIvEEEESJ_SM_SN_mSO_SQ_bEUlT_E_NS1_11comp_targetILNS1_3genE9ELNS1_11target_archE1100ELNS1_3gpuE3ELNS1_3repE0EEENS1_30default_config_static_selectorELNS0_4arch9wavefront6targetE1EEEvT1_,comdat
.Lfunc_end758:
	.size	_ZN7rocprim17ROCPRIM_400000_NS6detail17trampoline_kernelINS0_14default_configENS1_25transform_config_selectorIjLb0EEEZNS1_14transform_implILb0ES3_S5_NS0_18transform_iteratorINS0_17counting_iteratorImlEEZNS1_24adjacent_difference_implIS3_Lb1ELb0EPjN6thrust23THRUST_200600_302600_NS16discard_iteratorINSD_11use_defaultEEENSD_5minusIjEEEE10hipError_tPvRmT2_T3_mT4_P12ihipStream_tbEUlmE_jEESB_NS0_8identityIvEEEESJ_SM_SN_mSO_SQ_bEUlT_E_NS1_11comp_targetILNS1_3genE9ELNS1_11target_archE1100ELNS1_3gpuE3ELNS1_3repE0EEENS1_30default_config_static_selectorELNS0_4arch9wavefront6targetE1EEEvT1_, .Lfunc_end758-_ZN7rocprim17ROCPRIM_400000_NS6detail17trampoline_kernelINS0_14default_configENS1_25transform_config_selectorIjLb0EEEZNS1_14transform_implILb0ES3_S5_NS0_18transform_iteratorINS0_17counting_iteratorImlEEZNS1_24adjacent_difference_implIS3_Lb1ELb0EPjN6thrust23THRUST_200600_302600_NS16discard_iteratorINSD_11use_defaultEEENSD_5minusIjEEEE10hipError_tPvRmT2_T3_mT4_P12ihipStream_tbEUlmE_jEESB_NS0_8identityIvEEEESJ_SM_SN_mSO_SQ_bEUlT_E_NS1_11comp_targetILNS1_3genE9ELNS1_11target_archE1100ELNS1_3gpuE3ELNS1_3repE0EEENS1_30default_config_static_selectorELNS0_4arch9wavefront6targetE1EEEvT1_
                                        ; -- End function
	.section	.AMDGPU.csdata,"",@progbits
; Kernel info:
; codeLenInByte = 0
; NumSgprs: 6
; NumVgprs: 0
; NumAgprs: 0
; TotalNumVgprs: 0
; ScratchSize: 0
; MemoryBound: 0
; FloatMode: 240
; IeeeMode: 1
; LDSByteSize: 0 bytes/workgroup (compile time only)
; SGPRBlocks: 0
; VGPRBlocks: 0
; NumSGPRsForWavesPerEU: 6
; NumVGPRsForWavesPerEU: 1
; AccumOffset: 4
; Occupancy: 8
; WaveLimiterHint : 0
; COMPUTE_PGM_RSRC2:SCRATCH_EN: 0
; COMPUTE_PGM_RSRC2:USER_SGPR: 2
; COMPUTE_PGM_RSRC2:TRAP_HANDLER: 0
; COMPUTE_PGM_RSRC2:TGID_X_EN: 1
; COMPUTE_PGM_RSRC2:TGID_Y_EN: 0
; COMPUTE_PGM_RSRC2:TGID_Z_EN: 0
; COMPUTE_PGM_RSRC2:TIDIG_COMP_CNT: 0
; COMPUTE_PGM_RSRC3_GFX90A:ACCUM_OFFSET: 0
; COMPUTE_PGM_RSRC3_GFX90A:TG_SPLIT: 0
	.section	.text._ZN7rocprim17ROCPRIM_400000_NS6detail17trampoline_kernelINS0_14default_configENS1_25transform_config_selectorIjLb0EEEZNS1_14transform_implILb0ES3_S5_NS0_18transform_iteratorINS0_17counting_iteratorImlEEZNS1_24adjacent_difference_implIS3_Lb1ELb0EPjN6thrust23THRUST_200600_302600_NS16discard_iteratorINSD_11use_defaultEEENSD_5minusIjEEEE10hipError_tPvRmT2_T3_mT4_P12ihipStream_tbEUlmE_jEESB_NS0_8identityIvEEEESJ_SM_SN_mSO_SQ_bEUlT_E_NS1_11comp_targetILNS1_3genE8ELNS1_11target_archE1030ELNS1_3gpuE2ELNS1_3repE0EEENS1_30default_config_static_selectorELNS0_4arch9wavefront6targetE1EEEvT1_,"axG",@progbits,_ZN7rocprim17ROCPRIM_400000_NS6detail17trampoline_kernelINS0_14default_configENS1_25transform_config_selectorIjLb0EEEZNS1_14transform_implILb0ES3_S5_NS0_18transform_iteratorINS0_17counting_iteratorImlEEZNS1_24adjacent_difference_implIS3_Lb1ELb0EPjN6thrust23THRUST_200600_302600_NS16discard_iteratorINSD_11use_defaultEEENSD_5minusIjEEEE10hipError_tPvRmT2_T3_mT4_P12ihipStream_tbEUlmE_jEESB_NS0_8identityIvEEEESJ_SM_SN_mSO_SQ_bEUlT_E_NS1_11comp_targetILNS1_3genE8ELNS1_11target_archE1030ELNS1_3gpuE2ELNS1_3repE0EEENS1_30default_config_static_selectorELNS0_4arch9wavefront6targetE1EEEvT1_,comdat
	.protected	_ZN7rocprim17ROCPRIM_400000_NS6detail17trampoline_kernelINS0_14default_configENS1_25transform_config_selectorIjLb0EEEZNS1_14transform_implILb0ES3_S5_NS0_18transform_iteratorINS0_17counting_iteratorImlEEZNS1_24adjacent_difference_implIS3_Lb1ELb0EPjN6thrust23THRUST_200600_302600_NS16discard_iteratorINSD_11use_defaultEEENSD_5minusIjEEEE10hipError_tPvRmT2_T3_mT4_P12ihipStream_tbEUlmE_jEESB_NS0_8identityIvEEEESJ_SM_SN_mSO_SQ_bEUlT_E_NS1_11comp_targetILNS1_3genE8ELNS1_11target_archE1030ELNS1_3gpuE2ELNS1_3repE0EEENS1_30default_config_static_selectorELNS0_4arch9wavefront6targetE1EEEvT1_ ; -- Begin function _ZN7rocprim17ROCPRIM_400000_NS6detail17trampoline_kernelINS0_14default_configENS1_25transform_config_selectorIjLb0EEEZNS1_14transform_implILb0ES3_S5_NS0_18transform_iteratorINS0_17counting_iteratorImlEEZNS1_24adjacent_difference_implIS3_Lb1ELb0EPjN6thrust23THRUST_200600_302600_NS16discard_iteratorINSD_11use_defaultEEENSD_5minusIjEEEE10hipError_tPvRmT2_T3_mT4_P12ihipStream_tbEUlmE_jEESB_NS0_8identityIvEEEESJ_SM_SN_mSO_SQ_bEUlT_E_NS1_11comp_targetILNS1_3genE8ELNS1_11target_archE1030ELNS1_3gpuE2ELNS1_3repE0EEENS1_30default_config_static_selectorELNS0_4arch9wavefront6targetE1EEEvT1_
	.globl	_ZN7rocprim17ROCPRIM_400000_NS6detail17trampoline_kernelINS0_14default_configENS1_25transform_config_selectorIjLb0EEEZNS1_14transform_implILb0ES3_S5_NS0_18transform_iteratorINS0_17counting_iteratorImlEEZNS1_24adjacent_difference_implIS3_Lb1ELb0EPjN6thrust23THRUST_200600_302600_NS16discard_iteratorINSD_11use_defaultEEENSD_5minusIjEEEE10hipError_tPvRmT2_T3_mT4_P12ihipStream_tbEUlmE_jEESB_NS0_8identityIvEEEESJ_SM_SN_mSO_SQ_bEUlT_E_NS1_11comp_targetILNS1_3genE8ELNS1_11target_archE1030ELNS1_3gpuE2ELNS1_3repE0EEENS1_30default_config_static_selectorELNS0_4arch9wavefront6targetE1EEEvT1_
	.p2align	8
	.type	_ZN7rocprim17ROCPRIM_400000_NS6detail17trampoline_kernelINS0_14default_configENS1_25transform_config_selectorIjLb0EEEZNS1_14transform_implILb0ES3_S5_NS0_18transform_iteratorINS0_17counting_iteratorImlEEZNS1_24adjacent_difference_implIS3_Lb1ELb0EPjN6thrust23THRUST_200600_302600_NS16discard_iteratorINSD_11use_defaultEEENSD_5minusIjEEEE10hipError_tPvRmT2_T3_mT4_P12ihipStream_tbEUlmE_jEESB_NS0_8identityIvEEEESJ_SM_SN_mSO_SQ_bEUlT_E_NS1_11comp_targetILNS1_3genE8ELNS1_11target_archE1030ELNS1_3gpuE2ELNS1_3repE0EEENS1_30default_config_static_selectorELNS0_4arch9wavefront6targetE1EEEvT1_,@function
_ZN7rocprim17ROCPRIM_400000_NS6detail17trampoline_kernelINS0_14default_configENS1_25transform_config_selectorIjLb0EEEZNS1_14transform_implILb0ES3_S5_NS0_18transform_iteratorINS0_17counting_iteratorImlEEZNS1_24adjacent_difference_implIS3_Lb1ELb0EPjN6thrust23THRUST_200600_302600_NS16discard_iteratorINSD_11use_defaultEEENSD_5minusIjEEEE10hipError_tPvRmT2_T3_mT4_P12ihipStream_tbEUlmE_jEESB_NS0_8identityIvEEEESJ_SM_SN_mSO_SQ_bEUlT_E_NS1_11comp_targetILNS1_3genE8ELNS1_11target_archE1030ELNS1_3gpuE2ELNS1_3repE0EEENS1_30default_config_static_selectorELNS0_4arch9wavefront6targetE1EEEvT1_: ; @_ZN7rocprim17ROCPRIM_400000_NS6detail17trampoline_kernelINS0_14default_configENS1_25transform_config_selectorIjLb0EEEZNS1_14transform_implILb0ES3_S5_NS0_18transform_iteratorINS0_17counting_iteratorImlEEZNS1_24adjacent_difference_implIS3_Lb1ELb0EPjN6thrust23THRUST_200600_302600_NS16discard_iteratorINSD_11use_defaultEEENSD_5minusIjEEEE10hipError_tPvRmT2_T3_mT4_P12ihipStream_tbEUlmE_jEESB_NS0_8identityIvEEEESJ_SM_SN_mSO_SQ_bEUlT_E_NS1_11comp_targetILNS1_3genE8ELNS1_11target_archE1030ELNS1_3gpuE2ELNS1_3repE0EEENS1_30default_config_static_selectorELNS0_4arch9wavefront6targetE1EEEvT1_
; %bb.0:
	.section	.rodata,"a",@progbits
	.p2align	6, 0x0
	.amdhsa_kernel _ZN7rocprim17ROCPRIM_400000_NS6detail17trampoline_kernelINS0_14default_configENS1_25transform_config_selectorIjLb0EEEZNS1_14transform_implILb0ES3_S5_NS0_18transform_iteratorINS0_17counting_iteratorImlEEZNS1_24adjacent_difference_implIS3_Lb1ELb0EPjN6thrust23THRUST_200600_302600_NS16discard_iteratorINSD_11use_defaultEEENSD_5minusIjEEEE10hipError_tPvRmT2_T3_mT4_P12ihipStream_tbEUlmE_jEESB_NS0_8identityIvEEEESJ_SM_SN_mSO_SQ_bEUlT_E_NS1_11comp_targetILNS1_3genE8ELNS1_11target_archE1030ELNS1_3gpuE2ELNS1_3repE0EEENS1_30default_config_static_selectorELNS0_4arch9wavefront6targetE1EEEvT1_
		.amdhsa_group_segment_fixed_size 0
		.amdhsa_private_segment_fixed_size 0
		.amdhsa_kernarg_size 56
		.amdhsa_user_sgpr_count 2
		.amdhsa_user_sgpr_dispatch_ptr 0
		.amdhsa_user_sgpr_queue_ptr 0
		.amdhsa_user_sgpr_kernarg_segment_ptr 1
		.amdhsa_user_sgpr_dispatch_id 0
		.amdhsa_user_sgpr_kernarg_preload_length 0
		.amdhsa_user_sgpr_kernarg_preload_offset 0
		.amdhsa_user_sgpr_private_segment_size 0
		.amdhsa_uses_dynamic_stack 0
		.amdhsa_enable_private_segment 0
		.amdhsa_system_sgpr_workgroup_id_x 1
		.amdhsa_system_sgpr_workgroup_id_y 0
		.amdhsa_system_sgpr_workgroup_id_z 0
		.amdhsa_system_sgpr_workgroup_info 0
		.amdhsa_system_vgpr_workitem_id 0
		.amdhsa_next_free_vgpr 1
		.amdhsa_next_free_sgpr 0
		.amdhsa_accum_offset 4
		.amdhsa_reserve_vcc 0
		.amdhsa_float_round_mode_32 0
		.amdhsa_float_round_mode_16_64 0
		.amdhsa_float_denorm_mode_32 3
		.amdhsa_float_denorm_mode_16_64 3
		.amdhsa_dx10_clamp 1
		.amdhsa_ieee_mode 1
		.amdhsa_fp16_overflow 0
		.amdhsa_tg_split 0
		.amdhsa_exception_fp_ieee_invalid_op 0
		.amdhsa_exception_fp_denorm_src 0
		.amdhsa_exception_fp_ieee_div_zero 0
		.amdhsa_exception_fp_ieee_overflow 0
		.amdhsa_exception_fp_ieee_underflow 0
		.amdhsa_exception_fp_ieee_inexact 0
		.amdhsa_exception_int_div_zero 0
	.end_amdhsa_kernel
	.section	.text._ZN7rocprim17ROCPRIM_400000_NS6detail17trampoline_kernelINS0_14default_configENS1_25transform_config_selectorIjLb0EEEZNS1_14transform_implILb0ES3_S5_NS0_18transform_iteratorINS0_17counting_iteratorImlEEZNS1_24adjacent_difference_implIS3_Lb1ELb0EPjN6thrust23THRUST_200600_302600_NS16discard_iteratorINSD_11use_defaultEEENSD_5minusIjEEEE10hipError_tPvRmT2_T3_mT4_P12ihipStream_tbEUlmE_jEESB_NS0_8identityIvEEEESJ_SM_SN_mSO_SQ_bEUlT_E_NS1_11comp_targetILNS1_3genE8ELNS1_11target_archE1030ELNS1_3gpuE2ELNS1_3repE0EEENS1_30default_config_static_selectorELNS0_4arch9wavefront6targetE1EEEvT1_,"axG",@progbits,_ZN7rocprim17ROCPRIM_400000_NS6detail17trampoline_kernelINS0_14default_configENS1_25transform_config_selectorIjLb0EEEZNS1_14transform_implILb0ES3_S5_NS0_18transform_iteratorINS0_17counting_iteratorImlEEZNS1_24adjacent_difference_implIS3_Lb1ELb0EPjN6thrust23THRUST_200600_302600_NS16discard_iteratorINSD_11use_defaultEEENSD_5minusIjEEEE10hipError_tPvRmT2_T3_mT4_P12ihipStream_tbEUlmE_jEESB_NS0_8identityIvEEEESJ_SM_SN_mSO_SQ_bEUlT_E_NS1_11comp_targetILNS1_3genE8ELNS1_11target_archE1030ELNS1_3gpuE2ELNS1_3repE0EEENS1_30default_config_static_selectorELNS0_4arch9wavefront6targetE1EEEvT1_,comdat
.Lfunc_end759:
	.size	_ZN7rocprim17ROCPRIM_400000_NS6detail17trampoline_kernelINS0_14default_configENS1_25transform_config_selectorIjLb0EEEZNS1_14transform_implILb0ES3_S5_NS0_18transform_iteratorINS0_17counting_iteratorImlEEZNS1_24adjacent_difference_implIS3_Lb1ELb0EPjN6thrust23THRUST_200600_302600_NS16discard_iteratorINSD_11use_defaultEEENSD_5minusIjEEEE10hipError_tPvRmT2_T3_mT4_P12ihipStream_tbEUlmE_jEESB_NS0_8identityIvEEEESJ_SM_SN_mSO_SQ_bEUlT_E_NS1_11comp_targetILNS1_3genE8ELNS1_11target_archE1030ELNS1_3gpuE2ELNS1_3repE0EEENS1_30default_config_static_selectorELNS0_4arch9wavefront6targetE1EEEvT1_, .Lfunc_end759-_ZN7rocprim17ROCPRIM_400000_NS6detail17trampoline_kernelINS0_14default_configENS1_25transform_config_selectorIjLb0EEEZNS1_14transform_implILb0ES3_S5_NS0_18transform_iteratorINS0_17counting_iteratorImlEEZNS1_24adjacent_difference_implIS3_Lb1ELb0EPjN6thrust23THRUST_200600_302600_NS16discard_iteratorINSD_11use_defaultEEENSD_5minusIjEEEE10hipError_tPvRmT2_T3_mT4_P12ihipStream_tbEUlmE_jEESB_NS0_8identityIvEEEESJ_SM_SN_mSO_SQ_bEUlT_E_NS1_11comp_targetILNS1_3genE8ELNS1_11target_archE1030ELNS1_3gpuE2ELNS1_3repE0EEENS1_30default_config_static_selectorELNS0_4arch9wavefront6targetE1EEEvT1_
                                        ; -- End function
	.section	.AMDGPU.csdata,"",@progbits
; Kernel info:
; codeLenInByte = 0
; NumSgprs: 6
; NumVgprs: 0
; NumAgprs: 0
; TotalNumVgprs: 0
; ScratchSize: 0
; MemoryBound: 0
; FloatMode: 240
; IeeeMode: 1
; LDSByteSize: 0 bytes/workgroup (compile time only)
; SGPRBlocks: 0
; VGPRBlocks: 0
; NumSGPRsForWavesPerEU: 6
; NumVGPRsForWavesPerEU: 1
; AccumOffset: 4
; Occupancy: 8
; WaveLimiterHint : 0
; COMPUTE_PGM_RSRC2:SCRATCH_EN: 0
; COMPUTE_PGM_RSRC2:USER_SGPR: 2
; COMPUTE_PGM_RSRC2:TRAP_HANDLER: 0
; COMPUTE_PGM_RSRC2:TGID_X_EN: 1
; COMPUTE_PGM_RSRC2:TGID_Y_EN: 0
; COMPUTE_PGM_RSRC2:TGID_Z_EN: 0
; COMPUTE_PGM_RSRC2:TIDIG_COMP_CNT: 0
; COMPUTE_PGM_RSRC3_GFX90A:ACCUM_OFFSET: 0
; COMPUTE_PGM_RSRC3_GFX90A:TG_SPLIT: 0
	.section	.text._ZN7rocprim17ROCPRIM_400000_NS6detail17trampoline_kernelINS0_14default_configENS1_35adjacent_difference_config_selectorILb1EjEEZNS1_24adjacent_difference_implIS3_Lb1ELb0EPjN6thrust23THRUST_200600_302600_NS16discard_iteratorINS9_11use_defaultEEENS9_5minusIjEEEE10hipError_tPvRmT2_T3_mT4_P12ihipStream_tbEUlT_E_NS1_11comp_targetILNS1_3genE0ELNS1_11target_archE4294967295ELNS1_3gpuE0ELNS1_3repE0EEENS1_30default_config_static_selectorELNS0_4arch9wavefront6targetE1EEEvT1_,"axG",@progbits,_ZN7rocprim17ROCPRIM_400000_NS6detail17trampoline_kernelINS0_14default_configENS1_35adjacent_difference_config_selectorILb1EjEEZNS1_24adjacent_difference_implIS3_Lb1ELb0EPjN6thrust23THRUST_200600_302600_NS16discard_iteratorINS9_11use_defaultEEENS9_5minusIjEEEE10hipError_tPvRmT2_T3_mT4_P12ihipStream_tbEUlT_E_NS1_11comp_targetILNS1_3genE0ELNS1_11target_archE4294967295ELNS1_3gpuE0ELNS1_3repE0EEENS1_30default_config_static_selectorELNS0_4arch9wavefront6targetE1EEEvT1_,comdat
	.protected	_ZN7rocprim17ROCPRIM_400000_NS6detail17trampoline_kernelINS0_14default_configENS1_35adjacent_difference_config_selectorILb1EjEEZNS1_24adjacent_difference_implIS3_Lb1ELb0EPjN6thrust23THRUST_200600_302600_NS16discard_iteratorINS9_11use_defaultEEENS9_5minusIjEEEE10hipError_tPvRmT2_T3_mT4_P12ihipStream_tbEUlT_E_NS1_11comp_targetILNS1_3genE0ELNS1_11target_archE4294967295ELNS1_3gpuE0ELNS1_3repE0EEENS1_30default_config_static_selectorELNS0_4arch9wavefront6targetE1EEEvT1_ ; -- Begin function _ZN7rocprim17ROCPRIM_400000_NS6detail17trampoline_kernelINS0_14default_configENS1_35adjacent_difference_config_selectorILb1EjEEZNS1_24adjacent_difference_implIS3_Lb1ELb0EPjN6thrust23THRUST_200600_302600_NS16discard_iteratorINS9_11use_defaultEEENS9_5minusIjEEEE10hipError_tPvRmT2_T3_mT4_P12ihipStream_tbEUlT_E_NS1_11comp_targetILNS1_3genE0ELNS1_11target_archE4294967295ELNS1_3gpuE0ELNS1_3repE0EEENS1_30default_config_static_selectorELNS0_4arch9wavefront6targetE1EEEvT1_
	.globl	_ZN7rocprim17ROCPRIM_400000_NS6detail17trampoline_kernelINS0_14default_configENS1_35adjacent_difference_config_selectorILb1EjEEZNS1_24adjacent_difference_implIS3_Lb1ELb0EPjN6thrust23THRUST_200600_302600_NS16discard_iteratorINS9_11use_defaultEEENS9_5minusIjEEEE10hipError_tPvRmT2_T3_mT4_P12ihipStream_tbEUlT_E_NS1_11comp_targetILNS1_3genE0ELNS1_11target_archE4294967295ELNS1_3gpuE0ELNS1_3repE0EEENS1_30default_config_static_selectorELNS0_4arch9wavefront6targetE1EEEvT1_
	.p2align	8
	.type	_ZN7rocprim17ROCPRIM_400000_NS6detail17trampoline_kernelINS0_14default_configENS1_35adjacent_difference_config_selectorILb1EjEEZNS1_24adjacent_difference_implIS3_Lb1ELb0EPjN6thrust23THRUST_200600_302600_NS16discard_iteratorINS9_11use_defaultEEENS9_5minusIjEEEE10hipError_tPvRmT2_T3_mT4_P12ihipStream_tbEUlT_E_NS1_11comp_targetILNS1_3genE0ELNS1_11target_archE4294967295ELNS1_3gpuE0ELNS1_3repE0EEENS1_30default_config_static_selectorELNS0_4arch9wavefront6targetE1EEEvT1_,@function
_ZN7rocprim17ROCPRIM_400000_NS6detail17trampoline_kernelINS0_14default_configENS1_35adjacent_difference_config_selectorILb1EjEEZNS1_24adjacent_difference_implIS3_Lb1ELb0EPjN6thrust23THRUST_200600_302600_NS16discard_iteratorINS9_11use_defaultEEENS9_5minusIjEEEE10hipError_tPvRmT2_T3_mT4_P12ihipStream_tbEUlT_E_NS1_11comp_targetILNS1_3genE0ELNS1_11target_archE4294967295ELNS1_3gpuE0ELNS1_3repE0EEENS1_30default_config_static_selectorELNS0_4arch9wavefront6targetE1EEEvT1_: ; @_ZN7rocprim17ROCPRIM_400000_NS6detail17trampoline_kernelINS0_14default_configENS1_35adjacent_difference_config_selectorILb1EjEEZNS1_24adjacent_difference_implIS3_Lb1ELb0EPjN6thrust23THRUST_200600_302600_NS16discard_iteratorINS9_11use_defaultEEENS9_5minusIjEEEE10hipError_tPvRmT2_T3_mT4_P12ihipStream_tbEUlT_E_NS1_11comp_targetILNS1_3genE0ELNS1_11target_archE4294967295ELNS1_3gpuE0ELNS1_3repE0EEENS1_30default_config_static_selectorELNS0_4arch9wavefront6targetE1EEEvT1_
; %bb.0:
	.section	.rodata,"a",@progbits
	.p2align	6, 0x0
	.amdhsa_kernel _ZN7rocprim17ROCPRIM_400000_NS6detail17trampoline_kernelINS0_14default_configENS1_35adjacent_difference_config_selectorILb1EjEEZNS1_24adjacent_difference_implIS3_Lb1ELb0EPjN6thrust23THRUST_200600_302600_NS16discard_iteratorINS9_11use_defaultEEENS9_5minusIjEEEE10hipError_tPvRmT2_T3_mT4_P12ihipStream_tbEUlT_E_NS1_11comp_targetILNS1_3genE0ELNS1_11target_archE4294967295ELNS1_3gpuE0ELNS1_3repE0EEENS1_30default_config_static_selectorELNS0_4arch9wavefront6targetE1EEEvT1_
		.amdhsa_group_segment_fixed_size 0
		.amdhsa_private_segment_fixed_size 0
		.amdhsa_kernarg_size 64
		.amdhsa_user_sgpr_count 2
		.amdhsa_user_sgpr_dispatch_ptr 0
		.amdhsa_user_sgpr_queue_ptr 0
		.amdhsa_user_sgpr_kernarg_segment_ptr 1
		.amdhsa_user_sgpr_dispatch_id 0
		.amdhsa_user_sgpr_kernarg_preload_length 0
		.amdhsa_user_sgpr_kernarg_preload_offset 0
		.amdhsa_user_sgpr_private_segment_size 0
		.amdhsa_uses_dynamic_stack 0
		.amdhsa_enable_private_segment 0
		.amdhsa_system_sgpr_workgroup_id_x 1
		.amdhsa_system_sgpr_workgroup_id_y 0
		.amdhsa_system_sgpr_workgroup_id_z 0
		.amdhsa_system_sgpr_workgroup_info 0
		.amdhsa_system_vgpr_workitem_id 0
		.amdhsa_next_free_vgpr 1
		.amdhsa_next_free_sgpr 0
		.amdhsa_accum_offset 4
		.amdhsa_reserve_vcc 0
		.amdhsa_float_round_mode_32 0
		.amdhsa_float_round_mode_16_64 0
		.amdhsa_float_denorm_mode_32 3
		.amdhsa_float_denorm_mode_16_64 3
		.amdhsa_dx10_clamp 1
		.amdhsa_ieee_mode 1
		.amdhsa_fp16_overflow 0
		.amdhsa_tg_split 0
		.amdhsa_exception_fp_ieee_invalid_op 0
		.amdhsa_exception_fp_denorm_src 0
		.amdhsa_exception_fp_ieee_div_zero 0
		.amdhsa_exception_fp_ieee_overflow 0
		.amdhsa_exception_fp_ieee_underflow 0
		.amdhsa_exception_fp_ieee_inexact 0
		.amdhsa_exception_int_div_zero 0
	.end_amdhsa_kernel
	.section	.text._ZN7rocprim17ROCPRIM_400000_NS6detail17trampoline_kernelINS0_14default_configENS1_35adjacent_difference_config_selectorILb1EjEEZNS1_24adjacent_difference_implIS3_Lb1ELb0EPjN6thrust23THRUST_200600_302600_NS16discard_iteratorINS9_11use_defaultEEENS9_5minusIjEEEE10hipError_tPvRmT2_T3_mT4_P12ihipStream_tbEUlT_E_NS1_11comp_targetILNS1_3genE0ELNS1_11target_archE4294967295ELNS1_3gpuE0ELNS1_3repE0EEENS1_30default_config_static_selectorELNS0_4arch9wavefront6targetE1EEEvT1_,"axG",@progbits,_ZN7rocprim17ROCPRIM_400000_NS6detail17trampoline_kernelINS0_14default_configENS1_35adjacent_difference_config_selectorILb1EjEEZNS1_24adjacent_difference_implIS3_Lb1ELb0EPjN6thrust23THRUST_200600_302600_NS16discard_iteratorINS9_11use_defaultEEENS9_5minusIjEEEE10hipError_tPvRmT2_T3_mT4_P12ihipStream_tbEUlT_E_NS1_11comp_targetILNS1_3genE0ELNS1_11target_archE4294967295ELNS1_3gpuE0ELNS1_3repE0EEENS1_30default_config_static_selectorELNS0_4arch9wavefront6targetE1EEEvT1_,comdat
.Lfunc_end760:
	.size	_ZN7rocprim17ROCPRIM_400000_NS6detail17trampoline_kernelINS0_14default_configENS1_35adjacent_difference_config_selectorILb1EjEEZNS1_24adjacent_difference_implIS3_Lb1ELb0EPjN6thrust23THRUST_200600_302600_NS16discard_iteratorINS9_11use_defaultEEENS9_5minusIjEEEE10hipError_tPvRmT2_T3_mT4_P12ihipStream_tbEUlT_E_NS1_11comp_targetILNS1_3genE0ELNS1_11target_archE4294967295ELNS1_3gpuE0ELNS1_3repE0EEENS1_30default_config_static_selectorELNS0_4arch9wavefront6targetE1EEEvT1_, .Lfunc_end760-_ZN7rocprim17ROCPRIM_400000_NS6detail17trampoline_kernelINS0_14default_configENS1_35adjacent_difference_config_selectorILb1EjEEZNS1_24adjacent_difference_implIS3_Lb1ELb0EPjN6thrust23THRUST_200600_302600_NS16discard_iteratorINS9_11use_defaultEEENS9_5minusIjEEEE10hipError_tPvRmT2_T3_mT4_P12ihipStream_tbEUlT_E_NS1_11comp_targetILNS1_3genE0ELNS1_11target_archE4294967295ELNS1_3gpuE0ELNS1_3repE0EEENS1_30default_config_static_selectorELNS0_4arch9wavefront6targetE1EEEvT1_
                                        ; -- End function
	.section	.AMDGPU.csdata,"",@progbits
; Kernel info:
; codeLenInByte = 0
; NumSgprs: 6
; NumVgprs: 0
; NumAgprs: 0
; TotalNumVgprs: 0
; ScratchSize: 0
; MemoryBound: 0
; FloatMode: 240
; IeeeMode: 1
; LDSByteSize: 0 bytes/workgroup (compile time only)
; SGPRBlocks: 0
; VGPRBlocks: 0
; NumSGPRsForWavesPerEU: 6
; NumVGPRsForWavesPerEU: 1
; AccumOffset: 4
; Occupancy: 8
; WaveLimiterHint : 0
; COMPUTE_PGM_RSRC2:SCRATCH_EN: 0
; COMPUTE_PGM_RSRC2:USER_SGPR: 2
; COMPUTE_PGM_RSRC2:TRAP_HANDLER: 0
; COMPUTE_PGM_RSRC2:TGID_X_EN: 1
; COMPUTE_PGM_RSRC2:TGID_Y_EN: 0
; COMPUTE_PGM_RSRC2:TGID_Z_EN: 0
; COMPUTE_PGM_RSRC2:TIDIG_COMP_CNT: 0
; COMPUTE_PGM_RSRC3_GFX90A:ACCUM_OFFSET: 0
; COMPUTE_PGM_RSRC3_GFX90A:TG_SPLIT: 0
	.section	.text._ZN7rocprim17ROCPRIM_400000_NS6detail17trampoline_kernelINS0_14default_configENS1_35adjacent_difference_config_selectorILb1EjEEZNS1_24adjacent_difference_implIS3_Lb1ELb0EPjN6thrust23THRUST_200600_302600_NS16discard_iteratorINS9_11use_defaultEEENS9_5minusIjEEEE10hipError_tPvRmT2_T3_mT4_P12ihipStream_tbEUlT_E_NS1_11comp_targetILNS1_3genE10ELNS1_11target_archE1201ELNS1_3gpuE5ELNS1_3repE0EEENS1_30default_config_static_selectorELNS0_4arch9wavefront6targetE1EEEvT1_,"axG",@progbits,_ZN7rocprim17ROCPRIM_400000_NS6detail17trampoline_kernelINS0_14default_configENS1_35adjacent_difference_config_selectorILb1EjEEZNS1_24adjacent_difference_implIS3_Lb1ELb0EPjN6thrust23THRUST_200600_302600_NS16discard_iteratorINS9_11use_defaultEEENS9_5minusIjEEEE10hipError_tPvRmT2_T3_mT4_P12ihipStream_tbEUlT_E_NS1_11comp_targetILNS1_3genE10ELNS1_11target_archE1201ELNS1_3gpuE5ELNS1_3repE0EEENS1_30default_config_static_selectorELNS0_4arch9wavefront6targetE1EEEvT1_,comdat
	.protected	_ZN7rocprim17ROCPRIM_400000_NS6detail17trampoline_kernelINS0_14default_configENS1_35adjacent_difference_config_selectorILb1EjEEZNS1_24adjacent_difference_implIS3_Lb1ELb0EPjN6thrust23THRUST_200600_302600_NS16discard_iteratorINS9_11use_defaultEEENS9_5minusIjEEEE10hipError_tPvRmT2_T3_mT4_P12ihipStream_tbEUlT_E_NS1_11comp_targetILNS1_3genE10ELNS1_11target_archE1201ELNS1_3gpuE5ELNS1_3repE0EEENS1_30default_config_static_selectorELNS0_4arch9wavefront6targetE1EEEvT1_ ; -- Begin function _ZN7rocprim17ROCPRIM_400000_NS6detail17trampoline_kernelINS0_14default_configENS1_35adjacent_difference_config_selectorILb1EjEEZNS1_24adjacent_difference_implIS3_Lb1ELb0EPjN6thrust23THRUST_200600_302600_NS16discard_iteratorINS9_11use_defaultEEENS9_5minusIjEEEE10hipError_tPvRmT2_T3_mT4_P12ihipStream_tbEUlT_E_NS1_11comp_targetILNS1_3genE10ELNS1_11target_archE1201ELNS1_3gpuE5ELNS1_3repE0EEENS1_30default_config_static_selectorELNS0_4arch9wavefront6targetE1EEEvT1_
	.globl	_ZN7rocprim17ROCPRIM_400000_NS6detail17trampoline_kernelINS0_14default_configENS1_35adjacent_difference_config_selectorILb1EjEEZNS1_24adjacent_difference_implIS3_Lb1ELb0EPjN6thrust23THRUST_200600_302600_NS16discard_iteratorINS9_11use_defaultEEENS9_5minusIjEEEE10hipError_tPvRmT2_T3_mT4_P12ihipStream_tbEUlT_E_NS1_11comp_targetILNS1_3genE10ELNS1_11target_archE1201ELNS1_3gpuE5ELNS1_3repE0EEENS1_30default_config_static_selectorELNS0_4arch9wavefront6targetE1EEEvT1_
	.p2align	8
	.type	_ZN7rocprim17ROCPRIM_400000_NS6detail17trampoline_kernelINS0_14default_configENS1_35adjacent_difference_config_selectorILb1EjEEZNS1_24adjacent_difference_implIS3_Lb1ELb0EPjN6thrust23THRUST_200600_302600_NS16discard_iteratorINS9_11use_defaultEEENS9_5minusIjEEEE10hipError_tPvRmT2_T3_mT4_P12ihipStream_tbEUlT_E_NS1_11comp_targetILNS1_3genE10ELNS1_11target_archE1201ELNS1_3gpuE5ELNS1_3repE0EEENS1_30default_config_static_selectorELNS0_4arch9wavefront6targetE1EEEvT1_,@function
_ZN7rocprim17ROCPRIM_400000_NS6detail17trampoline_kernelINS0_14default_configENS1_35adjacent_difference_config_selectorILb1EjEEZNS1_24adjacent_difference_implIS3_Lb1ELb0EPjN6thrust23THRUST_200600_302600_NS16discard_iteratorINS9_11use_defaultEEENS9_5minusIjEEEE10hipError_tPvRmT2_T3_mT4_P12ihipStream_tbEUlT_E_NS1_11comp_targetILNS1_3genE10ELNS1_11target_archE1201ELNS1_3gpuE5ELNS1_3repE0EEENS1_30default_config_static_selectorELNS0_4arch9wavefront6targetE1EEEvT1_: ; @_ZN7rocprim17ROCPRIM_400000_NS6detail17trampoline_kernelINS0_14default_configENS1_35adjacent_difference_config_selectorILb1EjEEZNS1_24adjacent_difference_implIS3_Lb1ELb0EPjN6thrust23THRUST_200600_302600_NS16discard_iteratorINS9_11use_defaultEEENS9_5minusIjEEEE10hipError_tPvRmT2_T3_mT4_P12ihipStream_tbEUlT_E_NS1_11comp_targetILNS1_3genE10ELNS1_11target_archE1201ELNS1_3gpuE5ELNS1_3repE0EEENS1_30default_config_static_selectorELNS0_4arch9wavefront6targetE1EEEvT1_
; %bb.0:
	.section	.rodata,"a",@progbits
	.p2align	6, 0x0
	.amdhsa_kernel _ZN7rocprim17ROCPRIM_400000_NS6detail17trampoline_kernelINS0_14default_configENS1_35adjacent_difference_config_selectorILb1EjEEZNS1_24adjacent_difference_implIS3_Lb1ELb0EPjN6thrust23THRUST_200600_302600_NS16discard_iteratorINS9_11use_defaultEEENS9_5minusIjEEEE10hipError_tPvRmT2_T3_mT4_P12ihipStream_tbEUlT_E_NS1_11comp_targetILNS1_3genE10ELNS1_11target_archE1201ELNS1_3gpuE5ELNS1_3repE0EEENS1_30default_config_static_selectorELNS0_4arch9wavefront6targetE1EEEvT1_
		.amdhsa_group_segment_fixed_size 0
		.amdhsa_private_segment_fixed_size 0
		.amdhsa_kernarg_size 64
		.amdhsa_user_sgpr_count 2
		.amdhsa_user_sgpr_dispatch_ptr 0
		.amdhsa_user_sgpr_queue_ptr 0
		.amdhsa_user_sgpr_kernarg_segment_ptr 1
		.amdhsa_user_sgpr_dispatch_id 0
		.amdhsa_user_sgpr_kernarg_preload_length 0
		.amdhsa_user_sgpr_kernarg_preload_offset 0
		.amdhsa_user_sgpr_private_segment_size 0
		.amdhsa_uses_dynamic_stack 0
		.amdhsa_enable_private_segment 0
		.amdhsa_system_sgpr_workgroup_id_x 1
		.amdhsa_system_sgpr_workgroup_id_y 0
		.amdhsa_system_sgpr_workgroup_id_z 0
		.amdhsa_system_sgpr_workgroup_info 0
		.amdhsa_system_vgpr_workitem_id 0
		.amdhsa_next_free_vgpr 1
		.amdhsa_next_free_sgpr 0
		.amdhsa_accum_offset 4
		.amdhsa_reserve_vcc 0
		.amdhsa_float_round_mode_32 0
		.amdhsa_float_round_mode_16_64 0
		.amdhsa_float_denorm_mode_32 3
		.amdhsa_float_denorm_mode_16_64 3
		.amdhsa_dx10_clamp 1
		.amdhsa_ieee_mode 1
		.amdhsa_fp16_overflow 0
		.amdhsa_tg_split 0
		.amdhsa_exception_fp_ieee_invalid_op 0
		.amdhsa_exception_fp_denorm_src 0
		.amdhsa_exception_fp_ieee_div_zero 0
		.amdhsa_exception_fp_ieee_overflow 0
		.amdhsa_exception_fp_ieee_underflow 0
		.amdhsa_exception_fp_ieee_inexact 0
		.amdhsa_exception_int_div_zero 0
	.end_amdhsa_kernel
	.section	.text._ZN7rocprim17ROCPRIM_400000_NS6detail17trampoline_kernelINS0_14default_configENS1_35adjacent_difference_config_selectorILb1EjEEZNS1_24adjacent_difference_implIS3_Lb1ELb0EPjN6thrust23THRUST_200600_302600_NS16discard_iteratorINS9_11use_defaultEEENS9_5minusIjEEEE10hipError_tPvRmT2_T3_mT4_P12ihipStream_tbEUlT_E_NS1_11comp_targetILNS1_3genE10ELNS1_11target_archE1201ELNS1_3gpuE5ELNS1_3repE0EEENS1_30default_config_static_selectorELNS0_4arch9wavefront6targetE1EEEvT1_,"axG",@progbits,_ZN7rocprim17ROCPRIM_400000_NS6detail17trampoline_kernelINS0_14default_configENS1_35adjacent_difference_config_selectorILb1EjEEZNS1_24adjacent_difference_implIS3_Lb1ELb0EPjN6thrust23THRUST_200600_302600_NS16discard_iteratorINS9_11use_defaultEEENS9_5minusIjEEEE10hipError_tPvRmT2_T3_mT4_P12ihipStream_tbEUlT_E_NS1_11comp_targetILNS1_3genE10ELNS1_11target_archE1201ELNS1_3gpuE5ELNS1_3repE0EEENS1_30default_config_static_selectorELNS0_4arch9wavefront6targetE1EEEvT1_,comdat
.Lfunc_end761:
	.size	_ZN7rocprim17ROCPRIM_400000_NS6detail17trampoline_kernelINS0_14default_configENS1_35adjacent_difference_config_selectorILb1EjEEZNS1_24adjacent_difference_implIS3_Lb1ELb0EPjN6thrust23THRUST_200600_302600_NS16discard_iteratorINS9_11use_defaultEEENS9_5minusIjEEEE10hipError_tPvRmT2_T3_mT4_P12ihipStream_tbEUlT_E_NS1_11comp_targetILNS1_3genE10ELNS1_11target_archE1201ELNS1_3gpuE5ELNS1_3repE0EEENS1_30default_config_static_selectorELNS0_4arch9wavefront6targetE1EEEvT1_, .Lfunc_end761-_ZN7rocprim17ROCPRIM_400000_NS6detail17trampoline_kernelINS0_14default_configENS1_35adjacent_difference_config_selectorILb1EjEEZNS1_24adjacent_difference_implIS3_Lb1ELb0EPjN6thrust23THRUST_200600_302600_NS16discard_iteratorINS9_11use_defaultEEENS9_5minusIjEEEE10hipError_tPvRmT2_T3_mT4_P12ihipStream_tbEUlT_E_NS1_11comp_targetILNS1_3genE10ELNS1_11target_archE1201ELNS1_3gpuE5ELNS1_3repE0EEENS1_30default_config_static_selectorELNS0_4arch9wavefront6targetE1EEEvT1_
                                        ; -- End function
	.section	.AMDGPU.csdata,"",@progbits
; Kernel info:
; codeLenInByte = 0
; NumSgprs: 6
; NumVgprs: 0
; NumAgprs: 0
; TotalNumVgprs: 0
; ScratchSize: 0
; MemoryBound: 0
; FloatMode: 240
; IeeeMode: 1
; LDSByteSize: 0 bytes/workgroup (compile time only)
; SGPRBlocks: 0
; VGPRBlocks: 0
; NumSGPRsForWavesPerEU: 6
; NumVGPRsForWavesPerEU: 1
; AccumOffset: 4
; Occupancy: 8
; WaveLimiterHint : 0
; COMPUTE_PGM_RSRC2:SCRATCH_EN: 0
; COMPUTE_PGM_RSRC2:USER_SGPR: 2
; COMPUTE_PGM_RSRC2:TRAP_HANDLER: 0
; COMPUTE_PGM_RSRC2:TGID_X_EN: 1
; COMPUTE_PGM_RSRC2:TGID_Y_EN: 0
; COMPUTE_PGM_RSRC2:TGID_Z_EN: 0
; COMPUTE_PGM_RSRC2:TIDIG_COMP_CNT: 0
; COMPUTE_PGM_RSRC3_GFX90A:ACCUM_OFFSET: 0
; COMPUTE_PGM_RSRC3_GFX90A:TG_SPLIT: 0
	.section	.text._ZN7rocprim17ROCPRIM_400000_NS6detail17trampoline_kernelINS0_14default_configENS1_35adjacent_difference_config_selectorILb1EjEEZNS1_24adjacent_difference_implIS3_Lb1ELb0EPjN6thrust23THRUST_200600_302600_NS16discard_iteratorINS9_11use_defaultEEENS9_5minusIjEEEE10hipError_tPvRmT2_T3_mT4_P12ihipStream_tbEUlT_E_NS1_11comp_targetILNS1_3genE5ELNS1_11target_archE942ELNS1_3gpuE9ELNS1_3repE0EEENS1_30default_config_static_selectorELNS0_4arch9wavefront6targetE1EEEvT1_,"axG",@progbits,_ZN7rocprim17ROCPRIM_400000_NS6detail17trampoline_kernelINS0_14default_configENS1_35adjacent_difference_config_selectorILb1EjEEZNS1_24adjacent_difference_implIS3_Lb1ELb0EPjN6thrust23THRUST_200600_302600_NS16discard_iteratorINS9_11use_defaultEEENS9_5minusIjEEEE10hipError_tPvRmT2_T3_mT4_P12ihipStream_tbEUlT_E_NS1_11comp_targetILNS1_3genE5ELNS1_11target_archE942ELNS1_3gpuE9ELNS1_3repE0EEENS1_30default_config_static_selectorELNS0_4arch9wavefront6targetE1EEEvT1_,comdat
	.protected	_ZN7rocprim17ROCPRIM_400000_NS6detail17trampoline_kernelINS0_14default_configENS1_35adjacent_difference_config_selectorILb1EjEEZNS1_24adjacent_difference_implIS3_Lb1ELb0EPjN6thrust23THRUST_200600_302600_NS16discard_iteratorINS9_11use_defaultEEENS9_5minusIjEEEE10hipError_tPvRmT2_T3_mT4_P12ihipStream_tbEUlT_E_NS1_11comp_targetILNS1_3genE5ELNS1_11target_archE942ELNS1_3gpuE9ELNS1_3repE0EEENS1_30default_config_static_selectorELNS0_4arch9wavefront6targetE1EEEvT1_ ; -- Begin function _ZN7rocprim17ROCPRIM_400000_NS6detail17trampoline_kernelINS0_14default_configENS1_35adjacent_difference_config_selectorILb1EjEEZNS1_24adjacent_difference_implIS3_Lb1ELb0EPjN6thrust23THRUST_200600_302600_NS16discard_iteratorINS9_11use_defaultEEENS9_5minusIjEEEE10hipError_tPvRmT2_T3_mT4_P12ihipStream_tbEUlT_E_NS1_11comp_targetILNS1_3genE5ELNS1_11target_archE942ELNS1_3gpuE9ELNS1_3repE0EEENS1_30default_config_static_selectorELNS0_4arch9wavefront6targetE1EEEvT1_
	.globl	_ZN7rocprim17ROCPRIM_400000_NS6detail17trampoline_kernelINS0_14default_configENS1_35adjacent_difference_config_selectorILb1EjEEZNS1_24adjacent_difference_implIS3_Lb1ELb0EPjN6thrust23THRUST_200600_302600_NS16discard_iteratorINS9_11use_defaultEEENS9_5minusIjEEEE10hipError_tPvRmT2_T3_mT4_P12ihipStream_tbEUlT_E_NS1_11comp_targetILNS1_3genE5ELNS1_11target_archE942ELNS1_3gpuE9ELNS1_3repE0EEENS1_30default_config_static_selectorELNS0_4arch9wavefront6targetE1EEEvT1_
	.p2align	8
	.type	_ZN7rocprim17ROCPRIM_400000_NS6detail17trampoline_kernelINS0_14default_configENS1_35adjacent_difference_config_selectorILb1EjEEZNS1_24adjacent_difference_implIS3_Lb1ELb0EPjN6thrust23THRUST_200600_302600_NS16discard_iteratorINS9_11use_defaultEEENS9_5minusIjEEEE10hipError_tPvRmT2_T3_mT4_P12ihipStream_tbEUlT_E_NS1_11comp_targetILNS1_3genE5ELNS1_11target_archE942ELNS1_3gpuE9ELNS1_3repE0EEENS1_30default_config_static_selectorELNS0_4arch9wavefront6targetE1EEEvT1_,@function
_ZN7rocprim17ROCPRIM_400000_NS6detail17trampoline_kernelINS0_14default_configENS1_35adjacent_difference_config_selectorILb1EjEEZNS1_24adjacent_difference_implIS3_Lb1ELb0EPjN6thrust23THRUST_200600_302600_NS16discard_iteratorINS9_11use_defaultEEENS9_5minusIjEEEE10hipError_tPvRmT2_T3_mT4_P12ihipStream_tbEUlT_E_NS1_11comp_targetILNS1_3genE5ELNS1_11target_archE942ELNS1_3gpuE9ELNS1_3repE0EEENS1_30default_config_static_selectorELNS0_4arch9wavefront6targetE1EEEvT1_: ; @_ZN7rocprim17ROCPRIM_400000_NS6detail17trampoline_kernelINS0_14default_configENS1_35adjacent_difference_config_selectorILb1EjEEZNS1_24adjacent_difference_implIS3_Lb1ELb0EPjN6thrust23THRUST_200600_302600_NS16discard_iteratorINS9_11use_defaultEEENS9_5minusIjEEEE10hipError_tPvRmT2_T3_mT4_P12ihipStream_tbEUlT_E_NS1_11comp_targetILNS1_3genE5ELNS1_11target_archE942ELNS1_3gpuE9ELNS1_3repE0EEENS1_30default_config_static_selectorELNS0_4arch9wavefront6targetE1EEEvT1_
; %bb.0:
	s_load_dwordx4 s[12:15], s[0:1], 0x0
	s_load_dwordx2 s[8:9], s[0:1], 0x20
	s_load_dwordx4 s[4:7], s[0:1], 0x30
	s_movk_i32 s10, 0xa00
	s_mov_b32 s3, 0
	s_waitcnt lgkmcnt(0)
	s_lshl_b64 s[0:1], s[14:15], 2
	s_add_u32 s18, s12, s0
	s_addc_u32 s19, s13, s1
	s_mov_b32 s0, 0x59999780
	s_add_u32 s0, 0xe0, s0
	s_addc_u32 s11, 0, 0
	v_add_co_u32_e64 v1, s[0:1], s0, 2.0
	s_cmp_lg_u64 s[0:1], 0
	s_addc_u32 s0, s11, 0x199999
	v_readfirstlane_b32 s11, v1
	s_mul_hi_u32 s14, s11, 0xfffff600
	s_mul_i32 s1, s0, 0xfffff600
	s_sub_i32 s14, s14, s11
	s_add_i32 s14, s14, s1
	s_mul_i32 s16, s11, 0xfffff600
	s_mul_hi_u32 s1, s11, s14
	s_mul_i32 s15, s11, s14
	s_mul_hi_u32 s11, s11, s16
	s_add_u32 s11, s11, s15
	s_addc_u32 s1, 0, s1
	s_mul_hi_u32 s17, s0, s16
	s_mul_i32 s16, s0, s16
	s_add_u32 s11, s11, s16
	s_mul_hi_u32 s15, s0, s14
	s_addc_u32 s1, s1, s17
	s_addc_u32 s11, s15, 0
	s_mul_i32 s14, s0, s14
	s_add_u32 s1, s1, s14
	s_addc_u32 s11, 0, s11
	v_add_co_u32_e32 v1, vcc, s1, v1
	s_cmp_lg_u64 vcc, 0
	s_addc_u32 s0, s0, s11
	v_readfirstlane_b32 s14, v1
	s_mul_i32 s11, s8, s0
	s_mul_hi_u32 s15, s8, s14
	s_mul_hi_u32 s1, s8, s0
	s_add_u32 s11, s15, s11
	s_addc_u32 s1, 0, s1
	s_mul_hi_u32 s16, s9, s14
	s_mul_i32 s14, s9, s14
	s_add_u32 s11, s11, s14
	s_mul_hi_u32 s15, s9, s0
	s_addc_u32 s1, s1, s16
	s_addc_u32 s11, s15, 0
	s_mul_i32 s0, s9, s0
	s_add_u32 s0, s1, s0
	s_addc_u32 s1, 0, s11
	s_add_u32 s11, s0, 1
	s_addc_u32 s14, s1, 0
	s_add_u32 s15, s0, 2
	s_mul_i32 s17, s1, 0xa00
	s_mul_hi_u32 s20, s0, 0xa00
	s_addc_u32 s16, s1, 0
	s_add_i32 s20, s20, s17
	s_mul_i32 s17, s0, 0xa00
	v_mov_b32_e32 v1, s17
	v_sub_co_u32_e32 v1, vcc, s8, v1
	s_cmp_lg_u64 vcc, 0
	s_subb_u32 s17, s9, s20
	v_subrev_co_u32_e32 v2, vcc, s10, v1
	s_cmp_lg_u64 vcc, 0
	s_subb_u32 s10, s17, 0
	v_readfirstlane_b32 s20, v2
	s_cmpk_gt_u32 s20, 0x9ff
	s_cselect_b32 s20, -1, 0
	s_cmp_eq_u32 s10, 0
	s_cselect_b32 s10, s20, -1
	s_cmp_lg_u32 s10, 0
	s_cselect_b32 s10, s15, s11
	s_cselect_b32 s11, s16, s14
	v_readfirstlane_b32 s14, v1
	s_cmpk_gt_u32 s14, 0x9ff
	s_cselect_b32 s14, -1, 0
	s_cmp_eq_u32 s17, 0
	s_cselect_b32 s14, s14, -1
	s_cmp_lg_u32 s14, 0
	s_cselect_b32 s1, s11, s1
	s_cselect_b32 s0, s10, s0
	s_mul_i32 s10, s1, 0xa00
	s_mul_hi_u32 s11, s0, 0xa00
	s_add_i32 s11, s11, s10
	s_mul_i32 s10, s0, 0xa00
	s_sub_u32 s10, s8, s10
	s_subb_u32 s11, s9, s11
	s_cmp_lg_u64 s[10:11], 0
	s_cselect_b64 s[10:11], -1, 0
	v_cndmask_b32_e64 v2, 0, 1, s[10:11]
	v_mov_b32_e32 v3, s3
	v_lshl_add_u64 v[8:9], s[0:1], 0, v[2:3]
	s_add_u32 s10, s6, s2
	s_addc_u32 s11, s7, 0
	v_lshl_add_u64 v[12:13], v[8:9], 0, -1
	v_cmp_ge_u64_e64 s[0:1], s[10:11], v[12:13]
	s_mul_i32 s12, s2, 0xa00
	s_movk_i32 s13, 0xf600
	s_mov_b64 s[14:15], -1
	s_and_b64 vcc, exec, s[0:1]
	s_cbranch_vccz .LBB762_12
; %bb.1:
	v_mul_lo_u32 v1, v12, s13
	s_mov_b32 s13, s3
	s_lshl_b64 s[14:15], s[12:13], 2
	v_add_u32_e32 v1, s8, v1
	s_add_u32 s14, s18, s14
	s_addc_u32 s15, s19, s15
	v_cmp_lt_u32_e32 vcc, v0, v1
                                        ; implicit-def: $vgpr2_vgpr3_vgpr4_vgpr5_vgpr6
	s_and_saveexec_b64 s[16:17], vcc
	s_cbranch_execz .LBB762_3
; %bb.2:
	v_lshlrev_b32_e32 v2, 2, v0
	global_load_dword v2, v2, s[14:15]
.LBB762_3:
	s_or_b64 exec, exec, s[16:17]
	v_or_b32_e32 v7, 0x200, v0
	v_cmp_lt_u32_e32 vcc, v7, v1
	s_and_saveexec_b64 s[16:17], vcc
	s_cbranch_execz .LBB762_5
; %bb.4:
	v_lshlrev_b32_e32 v3, 2, v0
	global_load_dword v3, v3, s[14:15] offset:2048
.LBB762_5:
	s_or_b64 exec, exec, s[16:17]
	v_or_b32_e32 v7, 0x400, v0
	v_cmp_lt_u32_e32 vcc, v7, v1
	s_and_saveexec_b64 s[16:17], vcc
	s_cbranch_execz .LBB762_7
; %bb.6:
	v_lshlrev_b32_e32 v4, 2, v7
	global_load_dword v4, v4, s[14:15]
.LBB762_7:
	s_or_b64 exec, exec, s[16:17]
	v_or_b32_e32 v7, 0x600, v0
	v_cmp_lt_u32_e32 vcc, v7, v1
	s_and_saveexec_b64 s[16:17], vcc
	s_cbranch_execz .LBB762_9
; %bb.8:
	v_lshlrev_b32_e32 v5, 2, v7
	global_load_dword v5, v5, s[14:15]
.LBB762_9:
	;; [unrolled: 9-line block ×3, first 2 shown]
	s_or_b64 exec, exec, s[16:17]
	v_lshlrev_b32_e32 v1, 2, v0
	s_mov_b64 s[14:15], 0
	s_waitcnt vmcnt(0)
	ds_write2st64_b32 v1, v2, v3 offset1:8
	ds_write2st64_b32 v1, v4, v5 offset0:16 offset1:24
	ds_write_b32 v1, v6 offset:8192
	s_waitcnt lgkmcnt(0)
	s_barrier
.LBB762_12:
	s_and_b64 vcc, exec, s[14:15]
	v_lshlrev_b32_e32 v4, 2, v0
	s_cbranch_vccz .LBB762_14
; %bb.13:
	s_mov_b32 s13, 0
	s_lshl_b64 s[12:13], s[12:13], 2
	s_add_u32 s12, s18, s12
	s_addc_u32 s13, s19, s13
	v_mov_b32_e32 v5, 0
	v_lshl_add_u64 v[2:3], s[12:13], 0, v[4:5]
	v_add_co_u32_e32 v6, vcc, 0x1000, v2
	global_load_dword v1, v4, s[12:13]
	global_load_dword v5, v4, s[12:13] offset:2048
	v_addc_co_u32_e32 v7, vcc, 0, v3, vcc
	global_load_dword v10, v[6:7], off
	global_load_dword v11, v[6:7], off offset:2048
	v_add_co_u32_e32 v2, vcc, 0x2000, v2
	s_nop 1
	v_addc_co_u32_e32 v3, vcc, 0, v3, vcc
	global_load_dword v2, v[2:3], off
	s_waitcnt vmcnt(3)
	ds_write2st64_b32 v4, v1, v5 offset1:8
	s_waitcnt vmcnt(1)
	ds_write2st64_b32 v4, v10, v11 offset0:16 offset1:24
	s_waitcnt vmcnt(0)
	ds_write_b32 v4, v2 offset:8192
	s_waitcnt lgkmcnt(0)
	s_barrier
.LBB762_14:
	v_mul_u32_u24_e32 v1, 5, v0
	v_lshlrev_b32_e32 v1, 2, v1
	ds_read_b32 v2, v1
	ds_read2_b32 v[6:7], v1 offset0:1 offset1:2
	ds_read2_b32 v[10:11], v1 offset0:3 offset1:4
	s_cmp_eq_u64 s[10:11], 0
	s_waitcnt lgkmcnt(0)
	s_barrier
	s_cbranch_scc1 .LBB762_19
; %bb.15:
	s_lshl_b64 s[6:7], s[6:7], 2
	s_add_u32 s4, s4, s6
	s_addc_u32 s5, s5, s7
	s_lshl_b64 s[2:3], s[2:3], 2
	s_add_u32 s2, s4, s2
	s_addc_u32 s3, s5, s3
	s_add_u32 s2, s2, -4
	s_addc_u32 s3, s3, -1
	s_load_dword s4, s[2:3], 0x0
	v_cmp_eq_u64_e32 vcc, s[10:11], v[12:13]
	s_cbranch_vccnz .LBB762_21
; %bb.16:
	v_cmp_ne_u32_e32 vcc, 0, v0
	s_waitcnt lgkmcnt(0)
	v_mov_b32_e32 v13, s4
	v_mov_b32_e32 v14, 0
	ds_write_b32 v4, v11
	s_waitcnt lgkmcnt(0)
	s_barrier
	s_and_saveexec_b64 s[2:3], vcc
	s_cbranch_execz .LBB762_18
; %bb.17:
	v_add_u32_e32 v1, -4, v4
	ds_read_b32 v13, v1
	v_mov_b32_e32 v14, v0
.LBB762_18:
	s_or_b64 exec, exec, s[2:3]
	v_sub_u32_e32 v1, v11, v10
	v_sub_u32_e32 v3, v10, v7
	;; [unrolled: 1-line block ×4, first 2 shown]
	s_cbranch_execz .LBB762_22
	s_branch .LBB762_25
.LBB762_19:
	s_mov_b64 s[4:5], 0
                                        ; implicit-def: $vgpr1
                                        ; implicit-def: $vgpr3
                                        ; implicit-def: $vgpr5
                                        ; implicit-def: $vgpr12
                                        ; implicit-def: $vgpr13
                                        ; implicit-def: $vgpr14
	s_branch .LBB762_26
.LBB762_20:
                                        ; implicit-def: $vgpr8
	s_and_saveexec_b64 s[2:3], s[4:5]
	s_cbranch_execnz .LBB762_35
	s_branch .LBB762_36
.LBB762_21:
                                        ; implicit-def: $vgpr1
                                        ; implicit-def: $vgpr3
                                        ; implicit-def: $vgpr5
                                        ; implicit-def: $vgpr12
                                        ; implicit-def: $vgpr13
                                        ; implicit-def: $vgpr14
.LBB762_22:
	s_waitcnt lgkmcnt(0)
	v_mul_u32_u24_e32 v13, 5, v0
	v_cmp_ne_u32_e32 vcc, 0, v0
	v_mov_b32_e32 v14, s4
	ds_write_b32 v4, v11
	s_waitcnt lgkmcnt(0)
	s_barrier
	s_and_saveexec_b64 s[2:3], vcc
	s_cbranch_execz .LBB762_24
; %bb.23:
	v_add_u32_e32 v1, -4, v4
	ds_read_b32 v14, v1
.LBB762_24:
	s_or_b64 exec, exec, s[2:3]
	s_mul_i32 s2, s10, 0xfffff600
	s_add_i32 s2, s2, s8
	v_add_u32_e32 v1, 4, v13
	v_sub_u32_e32 v3, v11, v10
	v_cmp_gt_u32_e32 vcc, s2, v1
	v_sub_u32_e32 v5, v10, v7
	v_sub_u32_e32 v12, v7, v6
	v_cndmask_b32_e32 v1, v11, v3, vcc
	v_add_u32_e32 v3, 3, v13
	v_cmp_gt_u32_e32 vcc, s2, v3
	v_sub_u32_e32 v15, v6, v2
	s_nop 0
	v_cndmask_b32_e32 v3, v10, v5, vcc
	v_add_u32_e32 v5, 2, v13
	v_cmp_gt_u32_e32 vcc, s2, v5
	s_nop 1
	v_cndmask_b32_e32 v5, v7, v12, vcc
	v_add_u32_e32 v12, 1, v13
	v_cmp_gt_u32_e32 vcc, s2, v12
	s_nop 1
	v_cndmask_b32_e32 v12, v6, v15, vcc
	v_cmp_gt_u32_e32 vcc, s2, v13
	s_waitcnt lgkmcnt(0)
	s_nop 0
	v_cndmask_b32_e32 v13, 0, v14, vcc
	v_mov_b32_e32 v14, v0
.LBB762_25:
	s_waitcnt lgkmcnt(0)
	s_mov_b64 s[4:5], -1
	s_cbranch_execnz .LBB762_20
.LBB762_26:
	v_cmp_ne_u64_e32 vcc, 1, v[8:9]
	s_and_b64 vcc, exec, vcc
	v_sub_u32_e32 v3, v10, v7
	v_sub_u32_e32 v1, v11, v10
	;; [unrolled: 1-line block ×4, first 2 shown]
	v_cmp_ne_u32_e64 s[2:3], 0, v0
	s_cbranch_vccz .LBB762_31
; %bb.27:
	s_mov_b32 s9, 0
	ds_write_b32 v4, v11
	s_waitcnt lgkmcnt(0)
	s_barrier
	s_waitcnt lgkmcnt(0)
                                        ; implicit-def: $vgpr13
                                        ; implicit-def: $vgpr14
	s_and_saveexec_b64 s[6:7], s[2:3]
	s_cbranch_execz .LBB762_29
; %bb.28:
	v_add_u32_e32 v8, -4, v4
	ds_read_b32 v13, v8
	s_or_b64 s[4:5], s[4:5], exec
	v_mov_b32_e32 v14, v0
.LBB762_29:
	s_or_b64 exec, exec, s[6:7]
.LBB762_30:
	v_mov_b32_e32 v8, s9
	s_and_saveexec_b64 s[2:3], s[4:5]
	s_cbranch_execnz .LBB762_35
	s_branch .LBB762_36
.LBB762_31:
                                        ; implicit-def: $vgpr13
                                        ; implicit-def: $vgpr14
                                        ; implicit-def: $sgpr9
	s_cbranch_execz .LBB762_30
; %bb.32:
	v_mad_u32_u24 v9, v0, 5, 4
	v_cmp_gt_u32_e32 vcc, s8, v9
	v_mad_u32_u24 v9, v0, 5, 3
	v_mul_u32_u24_e32 v8, 5, v0
	v_cndmask_b32_e32 v1, v11, v1, vcc
	v_cmp_gt_u32_e32 vcc, s8, v9
	v_mad_u32_u24 v9, v0, 5, 2
	v_cmp_gt_u32_e64 s[2:3], s8, v8
	v_cndmask_b32_e32 v3, v10, v3, vcc
	v_cmp_gt_u32_e32 vcc, s8, v9
	ds_write_b32 v4, v11
	s_waitcnt lgkmcnt(0)
	v_cndmask_b32_e32 v5, v7, v5, vcc
	v_mad_u32_u24 v7, v0, 5, 1
	v_cmp_gt_u32_e32 vcc, s8, v7
	s_barrier
	s_nop 0
	v_cndmask_b32_e32 v12, v6, v12, vcc
	v_cmp_ne_u32_e32 vcc, 0, v0
	s_and_b64 s[6:7], vcc, s[2:3]
                                        ; implicit-def: $vgpr13
	s_and_saveexec_b64 s[2:3], s[6:7]
	s_cbranch_execz .LBB762_34
; %bb.33:
	v_add_u32_e32 v4, -4, v4
	ds_read_b32 v13, v4
	s_or_b64 s[4:5], s[4:5], exec
.LBB762_34:
	s_or_b64 exec, exec, s[2:3]
	v_mov_b32_e32 v14, v0
	v_mov_b32_e32 v8, v0
	s_and_saveexec_b64 s[2:3], s[4:5]
	s_cbranch_execz .LBB762_36
.LBB762_35:
	s_waitcnt lgkmcnt(0)
	v_sub_u32_e32 v2, v2, v13
	v_mov_b32_e32 v8, v14
.LBB762_36:
	s_or_b64 exec, exec, s[2:3]
	v_mul_i32_i24_e32 v0, 20, v8
	s_mov_b64 s[2:3], -1
	s_and_b64 vcc, exec, s[0:1]
	s_waitcnt lgkmcnt(0)
	s_barrier
	ds_write2_b32 v0, v2, v12 offset1:1
	ds_write2_b32 v0, v5, v3 offset0:2 offset1:3
	ds_write_b32 v0, v1 offset:16
	s_waitcnt lgkmcnt(0)
	s_cbranch_vccnz .LBB762_39
; %bb.37:
	s_andn2_b64 vcc, exec, s[2:3]
	s_cbranch_vccz .LBB762_40
.LBB762_38:
	s_endpgm
.LBB762_39:
	s_barrier
	s_cbranch_execnz .LBB762_38
.LBB762_40:
	s_barrier
	s_endpgm
	.section	.rodata,"a",@progbits
	.p2align	6, 0x0
	.amdhsa_kernel _ZN7rocprim17ROCPRIM_400000_NS6detail17trampoline_kernelINS0_14default_configENS1_35adjacent_difference_config_selectorILb1EjEEZNS1_24adjacent_difference_implIS3_Lb1ELb0EPjN6thrust23THRUST_200600_302600_NS16discard_iteratorINS9_11use_defaultEEENS9_5minusIjEEEE10hipError_tPvRmT2_T3_mT4_P12ihipStream_tbEUlT_E_NS1_11comp_targetILNS1_3genE5ELNS1_11target_archE942ELNS1_3gpuE9ELNS1_3repE0EEENS1_30default_config_static_selectorELNS0_4arch9wavefront6targetE1EEEvT1_
		.amdhsa_group_segment_fixed_size 10240
		.amdhsa_private_segment_fixed_size 0
		.amdhsa_kernarg_size 64
		.amdhsa_user_sgpr_count 2
		.amdhsa_user_sgpr_dispatch_ptr 0
		.amdhsa_user_sgpr_queue_ptr 0
		.amdhsa_user_sgpr_kernarg_segment_ptr 1
		.amdhsa_user_sgpr_dispatch_id 0
		.amdhsa_user_sgpr_kernarg_preload_length 0
		.amdhsa_user_sgpr_kernarg_preload_offset 0
		.amdhsa_user_sgpr_private_segment_size 0
		.amdhsa_uses_dynamic_stack 0
		.amdhsa_enable_private_segment 0
		.amdhsa_system_sgpr_workgroup_id_x 1
		.amdhsa_system_sgpr_workgroup_id_y 0
		.amdhsa_system_sgpr_workgroup_id_z 0
		.amdhsa_system_sgpr_workgroup_info 0
		.amdhsa_system_vgpr_workitem_id 0
		.amdhsa_next_free_vgpr 16
		.amdhsa_next_free_sgpr 21
		.amdhsa_accum_offset 16
		.amdhsa_reserve_vcc 1
		.amdhsa_float_round_mode_32 0
		.amdhsa_float_round_mode_16_64 0
		.amdhsa_float_denorm_mode_32 3
		.amdhsa_float_denorm_mode_16_64 3
		.amdhsa_dx10_clamp 1
		.amdhsa_ieee_mode 1
		.amdhsa_fp16_overflow 0
		.amdhsa_tg_split 0
		.amdhsa_exception_fp_ieee_invalid_op 0
		.amdhsa_exception_fp_denorm_src 0
		.amdhsa_exception_fp_ieee_div_zero 0
		.amdhsa_exception_fp_ieee_overflow 0
		.amdhsa_exception_fp_ieee_underflow 0
		.amdhsa_exception_fp_ieee_inexact 0
		.amdhsa_exception_int_div_zero 0
	.end_amdhsa_kernel
	.section	.text._ZN7rocprim17ROCPRIM_400000_NS6detail17trampoline_kernelINS0_14default_configENS1_35adjacent_difference_config_selectorILb1EjEEZNS1_24adjacent_difference_implIS3_Lb1ELb0EPjN6thrust23THRUST_200600_302600_NS16discard_iteratorINS9_11use_defaultEEENS9_5minusIjEEEE10hipError_tPvRmT2_T3_mT4_P12ihipStream_tbEUlT_E_NS1_11comp_targetILNS1_3genE5ELNS1_11target_archE942ELNS1_3gpuE9ELNS1_3repE0EEENS1_30default_config_static_selectorELNS0_4arch9wavefront6targetE1EEEvT1_,"axG",@progbits,_ZN7rocprim17ROCPRIM_400000_NS6detail17trampoline_kernelINS0_14default_configENS1_35adjacent_difference_config_selectorILb1EjEEZNS1_24adjacent_difference_implIS3_Lb1ELb0EPjN6thrust23THRUST_200600_302600_NS16discard_iteratorINS9_11use_defaultEEENS9_5minusIjEEEE10hipError_tPvRmT2_T3_mT4_P12ihipStream_tbEUlT_E_NS1_11comp_targetILNS1_3genE5ELNS1_11target_archE942ELNS1_3gpuE9ELNS1_3repE0EEENS1_30default_config_static_selectorELNS0_4arch9wavefront6targetE1EEEvT1_,comdat
.Lfunc_end762:
	.size	_ZN7rocprim17ROCPRIM_400000_NS6detail17trampoline_kernelINS0_14default_configENS1_35adjacent_difference_config_selectorILb1EjEEZNS1_24adjacent_difference_implIS3_Lb1ELb0EPjN6thrust23THRUST_200600_302600_NS16discard_iteratorINS9_11use_defaultEEENS9_5minusIjEEEE10hipError_tPvRmT2_T3_mT4_P12ihipStream_tbEUlT_E_NS1_11comp_targetILNS1_3genE5ELNS1_11target_archE942ELNS1_3gpuE9ELNS1_3repE0EEENS1_30default_config_static_selectorELNS0_4arch9wavefront6targetE1EEEvT1_, .Lfunc_end762-_ZN7rocprim17ROCPRIM_400000_NS6detail17trampoline_kernelINS0_14default_configENS1_35adjacent_difference_config_selectorILb1EjEEZNS1_24adjacent_difference_implIS3_Lb1ELb0EPjN6thrust23THRUST_200600_302600_NS16discard_iteratorINS9_11use_defaultEEENS9_5minusIjEEEE10hipError_tPvRmT2_T3_mT4_P12ihipStream_tbEUlT_E_NS1_11comp_targetILNS1_3genE5ELNS1_11target_archE942ELNS1_3gpuE9ELNS1_3repE0EEENS1_30default_config_static_selectorELNS0_4arch9wavefront6targetE1EEEvT1_
                                        ; -- End function
	.section	.AMDGPU.csdata,"",@progbits
; Kernel info:
; codeLenInByte = 1628
; NumSgprs: 27
; NumVgprs: 16
; NumAgprs: 0
; TotalNumVgprs: 16
; ScratchSize: 0
; MemoryBound: 0
; FloatMode: 240
; IeeeMode: 1
; LDSByteSize: 10240 bytes/workgroup (compile time only)
; SGPRBlocks: 3
; VGPRBlocks: 1
; NumSGPRsForWavesPerEU: 27
; NumVGPRsForWavesPerEU: 16
; AccumOffset: 16
; Occupancy: 8
; WaveLimiterHint : 1
; COMPUTE_PGM_RSRC2:SCRATCH_EN: 0
; COMPUTE_PGM_RSRC2:USER_SGPR: 2
; COMPUTE_PGM_RSRC2:TRAP_HANDLER: 0
; COMPUTE_PGM_RSRC2:TGID_X_EN: 1
; COMPUTE_PGM_RSRC2:TGID_Y_EN: 0
; COMPUTE_PGM_RSRC2:TGID_Z_EN: 0
; COMPUTE_PGM_RSRC2:TIDIG_COMP_CNT: 0
; COMPUTE_PGM_RSRC3_GFX90A:ACCUM_OFFSET: 3
; COMPUTE_PGM_RSRC3_GFX90A:TG_SPLIT: 0
	.section	.text._ZN7rocprim17ROCPRIM_400000_NS6detail17trampoline_kernelINS0_14default_configENS1_35adjacent_difference_config_selectorILb1EjEEZNS1_24adjacent_difference_implIS3_Lb1ELb0EPjN6thrust23THRUST_200600_302600_NS16discard_iteratorINS9_11use_defaultEEENS9_5minusIjEEEE10hipError_tPvRmT2_T3_mT4_P12ihipStream_tbEUlT_E_NS1_11comp_targetILNS1_3genE4ELNS1_11target_archE910ELNS1_3gpuE8ELNS1_3repE0EEENS1_30default_config_static_selectorELNS0_4arch9wavefront6targetE1EEEvT1_,"axG",@progbits,_ZN7rocprim17ROCPRIM_400000_NS6detail17trampoline_kernelINS0_14default_configENS1_35adjacent_difference_config_selectorILb1EjEEZNS1_24adjacent_difference_implIS3_Lb1ELb0EPjN6thrust23THRUST_200600_302600_NS16discard_iteratorINS9_11use_defaultEEENS9_5minusIjEEEE10hipError_tPvRmT2_T3_mT4_P12ihipStream_tbEUlT_E_NS1_11comp_targetILNS1_3genE4ELNS1_11target_archE910ELNS1_3gpuE8ELNS1_3repE0EEENS1_30default_config_static_selectorELNS0_4arch9wavefront6targetE1EEEvT1_,comdat
	.protected	_ZN7rocprim17ROCPRIM_400000_NS6detail17trampoline_kernelINS0_14default_configENS1_35adjacent_difference_config_selectorILb1EjEEZNS1_24adjacent_difference_implIS3_Lb1ELb0EPjN6thrust23THRUST_200600_302600_NS16discard_iteratorINS9_11use_defaultEEENS9_5minusIjEEEE10hipError_tPvRmT2_T3_mT4_P12ihipStream_tbEUlT_E_NS1_11comp_targetILNS1_3genE4ELNS1_11target_archE910ELNS1_3gpuE8ELNS1_3repE0EEENS1_30default_config_static_selectorELNS0_4arch9wavefront6targetE1EEEvT1_ ; -- Begin function _ZN7rocprim17ROCPRIM_400000_NS6detail17trampoline_kernelINS0_14default_configENS1_35adjacent_difference_config_selectorILb1EjEEZNS1_24adjacent_difference_implIS3_Lb1ELb0EPjN6thrust23THRUST_200600_302600_NS16discard_iteratorINS9_11use_defaultEEENS9_5minusIjEEEE10hipError_tPvRmT2_T3_mT4_P12ihipStream_tbEUlT_E_NS1_11comp_targetILNS1_3genE4ELNS1_11target_archE910ELNS1_3gpuE8ELNS1_3repE0EEENS1_30default_config_static_selectorELNS0_4arch9wavefront6targetE1EEEvT1_
	.globl	_ZN7rocprim17ROCPRIM_400000_NS6detail17trampoline_kernelINS0_14default_configENS1_35adjacent_difference_config_selectorILb1EjEEZNS1_24adjacent_difference_implIS3_Lb1ELb0EPjN6thrust23THRUST_200600_302600_NS16discard_iteratorINS9_11use_defaultEEENS9_5minusIjEEEE10hipError_tPvRmT2_T3_mT4_P12ihipStream_tbEUlT_E_NS1_11comp_targetILNS1_3genE4ELNS1_11target_archE910ELNS1_3gpuE8ELNS1_3repE0EEENS1_30default_config_static_selectorELNS0_4arch9wavefront6targetE1EEEvT1_
	.p2align	8
	.type	_ZN7rocprim17ROCPRIM_400000_NS6detail17trampoline_kernelINS0_14default_configENS1_35adjacent_difference_config_selectorILb1EjEEZNS1_24adjacent_difference_implIS3_Lb1ELb0EPjN6thrust23THRUST_200600_302600_NS16discard_iteratorINS9_11use_defaultEEENS9_5minusIjEEEE10hipError_tPvRmT2_T3_mT4_P12ihipStream_tbEUlT_E_NS1_11comp_targetILNS1_3genE4ELNS1_11target_archE910ELNS1_3gpuE8ELNS1_3repE0EEENS1_30default_config_static_selectorELNS0_4arch9wavefront6targetE1EEEvT1_,@function
_ZN7rocprim17ROCPRIM_400000_NS6detail17trampoline_kernelINS0_14default_configENS1_35adjacent_difference_config_selectorILb1EjEEZNS1_24adjacent_difference_implIS3_Lb1ELb0EPjN6thrust23THRUST_200600_302600_NS16discard_iteratorINS9_11use_defaultEEENS9_5minusIjEEEE10hipError_tPvRmT2_T3_mT4_P12ihipStream_tbEUlT_E_NS1_11comp_targetILNS1_3genE4ELNS1_11target_archE910ELNS1_3gpuE8ELNS1_3repE0EEENS1_30default_config_static_selectorELNS0_4arch9wavefront6targetE1EEEvT1_: ; @_ZN7rocprim17ROCPRIM_400000_NS6detail17trampoline_kernelINS0_14default_configENS1_35adjacent_difference_config_selectorILb1EjEEZNS1_24adjacent_difference_implIS3_Lb1ELb0EPjN6thrust23THRUST_200600_302600_NS16discard_iteratorINS9_11use_defaultEEENS9_5minusIjEEEE10hipError_tPvRmT2_T3_mT4_P12ihipStream_tbEUlT_E_NS1_11comp_targetILNS1_3genE4ELNS1_11target_archE910ELNS1_3gpuE8ELNS1_3repE0EEENS1_30default_config_static_selectorELNS0_4arch9wavefront6targetE1EEEvT1_
; %bb.0:
	.section	.rodata,"a",@progbits
	.p2align	6, 0x0
	.amdhsa_kernel _ZN7rocprim17ROCPRIM_400000_NS6detail17trampoline_kernelINS0_14default_configENS1_35adjacent_difference_config_selectorILb1EjEEZNS1_24adjacent_difference_implIS3_Lb1ELb0EPjN6thrust23THRUST_200600_302600_NS16discard_iteratorINS9_11use_defaultEEENS9_5minusIjEEEE10hipError_tPvRmT2_T3_mT4_P12ihipStream_tbEUlT_E_NS1_11comp_targetILNS1_3genE4ELNS1_11target_archE910ELNS1_3gpuE8ELNS1_3repE0EEENS1_30default_config_static_selectorELNS0_4arch9wavefront6targetE1EEEvT1_
		.amdhsa_group_segment_fixed_size 0
		.amdhsa_private_segment_fixed_size 0
		.amdhsa_kernarg_size 64
		.amdhsa_user_sgpr_count 2
		.amdhsa_user_sgpr_dispatch_ptr 0
		.amdhsa_user_sgpr_queue_ptr 0
		.amdhsa_user_sgpr_kernarg_segment_ptr 1
		.amdhsa_user_sgpr_dispatch_id 0
		.amdhsa_user_sgpr_kernarg_preload_length 0
		.amdhsa_user_sgpr_kernarg_preload_offset 0
		.amdhsa_user_sgpr_private_segment_size 0
		.amdhsa_uses_dynamic_stack 0
		.amdhsa_enable_private_segment 0
		.amdhsa_system_sgpr_workgroup_id_x 1
		.amdhsa_system_sgpr_workgroup_id_y 0
		.amdhsa_system_sgpr_workgroup_id_z 0
		.amdhsa_system_sgpr_workgroup_info 0
		.amdhsa_system_vgpr_workitem_id 0
		.amdhsa_next_free_vgpr 1
		.amdhsa_next_free_sgpr 0
		.amdhsa_accum_offset 4
		.amdhsa_reserve_vcc 0
		.amdhsa_float_round_mode_32 0
		.amdhsa_float_round_mode_16_64 0
		.amdhsa_float_denorm_mode_32 3
		.amdhsa_float_denorm_mode_16_64 3
		.amdhsa_dx10_clamp 1
		.amdhsa_ieee_mode 1
		.amdhsa_fp16_overflow 0
		.amdhsa_tg_split 0
		.amdhsa_exception_fp_ieee_invalid_op 0
		.amdhsa_exception_fp_denorm_src 0
		.amdhsa_exception_fp_ieee_div_zero 0
		.amdhsa_exception_fp_ieee_overflow 0
		.amdhsa_exception_fp_ieee_underflow 0
		.amdhsa_exception_fp_ieee_inexact 0
		.amdhsa_exception_int_div_zero 0
	.end_amdhsa_kernel
	.section	.text._ZN7rocprim17ROCPRIM_400000_NS6detail17trampoline_kernelINS0_14default_configENS1_35adjacent_difference_config_selectorILb1EjEEZNS1_24adjacent_difference_implIS3_Lb1ELb0EPjN6thrust23THRUST_200600_302600_NS16discard_iteratorINS9_11use_defaultEEENS9_5minusIjEEEE10hipError_tPvRmT2_T3_mT4_P12ihipStream_tbEUlT_E_NS1_11comp_targetILNS1_3genE4ELNS1_11target_archE910ELNS1_3gpuE8ELNS1_3repE0EEENS1_30default_config_static_selectorELNS0_4arch9wavefront6targetE1EEEvT1_,"axG",@progbits,_ZN7rocprim17ROCPRIM_400000_NS6detail17trampoline_kernelINS0_14default_configENS1_35adjacent_difference_config_selectorILb1EjEEZNS1_24adjacent_difference_implIS3_Lb1ELb0EPjN6thrust23THRUST_200600_302600_NS16discard_iteratorINS9_11use_defaultEEENS9_5minusIjEEEE10hipError_tPvRmT2_T3_mT4_P12ihipStream_tbEUlT_E_NS1_11comp_targetILNS1_3genE4ELNS1_11target_archE910ELNS1_3gpuE8ELNS1_3repE0EEENS1_30default_config_static_selectorELNS0_4arch9wavefront6targetE1EEEvT1_,comdat
.Lfunc_end763:
	.size	_ZN7rocprim17ROCPRIM_400000_NS6detail17trampoline_kernelINS0_14default_configENS1_35adjacent_difference_config_selectorILb1EjEEZNS1_24adjacent_difference_implIS3_Lb1ELb0EPjN6thrust23THRUST_200600_302600_NS16discard_iteratorINS9_11use_defaultEEENS9_5minusIjEEEE10hipError_tPvRmT2_T3_mT4_P12ihipStream_tbEUlT_E_NS1_11comp_targetILNS1_3genE4ELNS1_11target_archE910ELNS1_3gpuE8ELNS1_3repE0EEENS1_30default_config_static_selectorELNS0_4arch9wavefront6targetE1EEEvT1_, .Lfunc_end763-_ZN7rocprim17ROCPRIM_400000_NS6detail17trampoline_kernelINS0_14default_configENS1_35adjacent_difference_config_selectorILb1EjEEZNS1_24adjacent_difference_implIS3_Lb1ELb0EPjN6thrust23THRUST_200600_302600_NS16discard_iteratorINS9_11use_defaultEEENS9_5minusIjEEEE10hipError_tPvRmT2_T3_mT4_P12ihipStream_tbEUlT_E_NS1_11comp_targetILNS1_3genE4ELNS1_11target_archE910ELNS1_3gpuE8ELNS1_3repE0EEENS1_30default_config_static_selectorELNS0_4arch9wavefront6targetE1EEEvT1_
                                        ; -- End function
	.section	.AMDGPU.csdata,"",@progbits
; Kernel info:
; codeLenInByte = 0
; NumSgprs: 6
; NumVgprs: 0
; NumAgprs: 0
; TotalNumVgprs: 0
; ScratchSize: 0
; MemoryBound: 0
; FloatMode: 240
; IeeeMode: 1
; LDSByteSize: 0 bytes/workgroup (compile time only)
; SGPRBlocks: 0
; VGPRBlocks: 0
; NumSGPRsForWavesPerEU: 6
; NumVGPRsForWavesPerEU: 1
; AccumOffset: 4
; Occupancy: 8
; WaveLimiterHint : 0
; COMPUTE_PGM_RSRC2:SCRATCH_EN: 0
; COMPUTE_PGM_RSRC2:USER_SGPR: 2
; COMPUTE_PGM_RSRC2:TRAP_HANDLER: 0
; COMPUTE_PGM_RSRC2:TGID_X_EN: 1
; COMPUTE_PGM_RSRC2:TGID_Y_EN: 0
; COMPUTE_PGM_RSRC2:TGID_Z_EN: 0
; COMPUTE_PGM_RSRC2:TIDIG_COMP_CNT: 0
; COMPUTE_PGM_RSRC3_GFX90A:ACCUM_OFFSET: 0
; COMPUTE_PGM_RSRC3_GFX90A:TG_SPLIT: 0
	.section	.text._ZN7rocprim17ROCPRIM_400000_NS6detail17trampoline_kernelINS0_14default_configENS1_35adjacent_difference_config_selectorILb1EjEEZNS1_24adjacent_difference_implIS3_Lb1ELb0EPjN6thrust23THRUST_200600_302600_NS16discard_iteratorINS9_11use_defaultEEENS9_5minusIjEEEE10hipError_tPvRmT2_T3_mT4_P12ihipStream_tbEUlT_E_NS1_11comp_targetILNS1_3genE3ELNS1_11target_archE908ELNS1_3gpuE7ELNS1_3repE0EEENS1_30default_config_static_selectorELNS0_4arch9wavefront6targetE1EEEvT1_,"axG",@progbits,_ZN7rocprim17ROCPRIM_400000_NS6detail17trampoline_kernelINS0_14default_configENS1_35adjacent_difference_config_selectorILb1EjEEZNS1_24adjacent_difference_implIS3_Lb1ELb0EPjN6thrust23THRUST_200600_302600_NS16discard_iteratorINS9_11use_defaultEEENS9_5minusIjEEEE10hipError_tPvRmT2_T3_mT4_P12ihipStream_tbEUlT_E_NS1_11comp_targetILNS1_3genE3ELNS1_11target_archE908ELNS1_3gpuE7ELNS1_3repE0EEENS1_30default_config_static_selectorELNS0_4arch9wavefront6targetE1EEEvT1_,comdat
	.protected	_ZN7rocprim17ROCPRIM_400000_NS6detail17trampoline_kernelINS0_14default_configENS1_35adjacent_difference_config_selectorILb1EjEEZNS1_24adjacent_difference_implIS3_Lb1ELb0EPjN6thrust23THRUST_200600_302600_NS16discard_iteratorINS9_11use_defaultEEENS9_5minusIjEEEE10hipError_tPvRmT2_T3_mT4_P12ihipStream_tbEUlT_E_NS1_11comp_targetILNS1_3genE3ELNS1_11target_archE908ELNS1_3gpuE7ELNS1_3repE0EEENS1_30default_config_static_selectorELNS0_4arch9wavefront6targetE1EEEvT1_ ; -- Begin function _ZN7rocprim17ROCPRIM_400000_NS6detail17trampoline_kernelINS0_14default_configENS1_35adjacent_difference_config_selectorILb1EjEEZNS1_24adjacent_difference_implIS3_Lb1ELb0EPjN6thrust23THRUST_200600_302600_NS16discard_iteratorINS9_11use_defaultEEENS9_5minusIjEEEE10hipError_tPvRmT2_T3_mT4_P12ihipStream_tbEUlT_E_NS1_11comp_targetILNS1_3genE3ELNS1_11target_archE908ELNS1_3gpuE7ELNS1_3repE0EEENS1_30default_config_static_selectorELNS0_4arch9wavefront6targetE1EEEvT1_
	.globl	_ZN7rocprim17ROCPRIM_400000_NS6detail17trampoline_kernelINS0_14default_configENS1_35adjacent_difference_config_selectorILb1EjEEZNS1_24adjacent_difference_implIS3_Lb1ELb0EPjN6thrust23THRUST_200600_302600_NS16discard_iteratorINS9_11use_defaultEEENS9_5minusIjEEEE10hipError_tPvRmT2_T3_mT4_P12ihipStream_tbEUlT_E_NS1_11comp_targetILNS1_3genE3ELNS1_11target_archE908ELNS1_3gpuE7ELNS1_3repE0EEENS1_30default_config_static_selectorELNS0_4arch9wavefront6targetE1EEEvT1_
	.p2align	8
	.type	_ZN7rocprim17ROCPRIM_400000_NS6detail17trampoline_kernelINS0_14default_configENS1_35adjacent_difference_config_selectorILb1EjEEZNS1_24adjacent_difference_implIS3_Lb1ELb0EPjN6thrust23THRUST_200600_302600_NS16discard_iteratorINS9_11use_defaultEEENS9_5minusIjEEEE10hipError_tPvRmT2_T3_mT4_P12ihipStream_tbEUlT_E_NS1_11comp_targetILNS1_3genE3ELNS1_11target_archE908ELNS1_3gpuE7ELNS1_3repE0EEENS1_30default_config_static_selectorELNS0_4arch9wavefront6targetE1EEEvT1_,@function
_ZN7rocprim17ROCPRIM_400000_NS6detail17trampoline_kernelINS0_14default_configENS1_35adjacent_difference_config_selectorILb1EjEEZNS1_24adjacent_difference_implIS3_Lb1ELb0EPjN6thrust23THRUST_200600_302600_NS16discard_iteratorINS9_11use_defaultEEENS9_5minusIjEEEE10hipError_tPvRmT2_T3_mT4_P12ihipStream_tbEUlT_E_NS1_11comp_targetILNS1_3genE3ELNS1_11target_archE908ELNS1_3gpuE7ELNS1_3repE0EEENS1_30default_config_static_selectorELNS0_4arch9wavefront6targetE1EEEvT1_: ; @_ZN7rocprim17ROCPRIM_400000_NS6detail17trampoline_kernelINS0_14default_configENS1_35adjacent_difference_config_selectorILb1EjEEZNS1_24adjacent_difference_implIS3_Lb1ELb0EPjN6thrust23THRUST_200600_302600_NS16discard_iteratorINS9_11use_defaultEEENS9_5minusIjEEEE10hipError_tPvRmT2_T3_mT4_P12ihipStream_tbEUlT_E_NS1_11comp_targetILNS1_3genE3ELNS1_11target_archE908ELNS1_3gpuE7ELNS1_3repE0EEENS1_30default_config_static_selectorELNS0_4arch9wavefront6targetE1EEEvT1_
; %bb.0:
	.section	.rodata,"a",@progbits
	.p2align	6, 0x0
	.amdhsa_kernel _ZN7rocprim17ROCPRIM_400000_NS6detail17trampoline_kernelINS0_14default_configENS1_35adjacent_difference_config_selectorILb1EjEEZNS1_24adjacent_difference_implIS3_Lb1ELb0EPjN6thrust23THRUST_200600_302600_NS16discard_iteratorINS9_11use_defaultEEENS9_5minusIjEEEE10hipError_tPvRmT2_T3_mT4_P12ihipStream_tbEUlT_E_NS1_11comp_targetILNS1_3genE3ELNS1_11target_archE908ELNS1_3gpuE7ELNS1_3repE0EEENS1_30default_config_static_selectorELNS0_4arch9wavefront6targetE1EEEvT1_
		.amdhsa_group_segment_fixed_size 0
		.amdhsa_private_segment_fixed_size 0
		.amdhsa_kernarg_size 64
		.amdhsa_user_sgpr_count 2
		.amdhsa_user_sgpr_dispatch_ptr 0
		.amdhsa_user_sgpr_queue_ptr 0
		.amdhsa_user_sgpr_kernarg_segment_ptr 1
		.amdhsa_user_sgpr_dispatch_id 0
		.amdhsa_user_sgpr_kernarg_preload_length 0
		.amdhsa_user_sgpr_kernarg_preload_offset 0
		.amdhsa_user_sgpr_private_segment_size 0
		.amdhsa_uses_dynamic_stack 0
		.amdhsa_enable_private_segment 0
		.amdhsa_system_sgpr_workgroup_id_x 1
		.amdhsa_system_sgpr_workgroup_id_y 0
		.amdhsa_system_sgpr_workgroup_id_z 0
		.amdhsa_system_sgpr_workgroup_info 0
		.amdhsa_system_vgpr_workitem_id 0
		.amdhsa_next_free_vgpr 1
		.amdhsa_next_free_sgpr 0
		.amdhsa_accum_offset 4
		.amdhsa_reserve_vcc 0
		.amdhsa_float_round_mode_32 0
		.amdhsa_float_round_mode_16_64 0
		.amdhsa_float_denorm_mode_32 3
		.amdhsa_float_denorm_mode_16_64 3
		.amdhsa_dx10_clamp 1
		.amdhsa_ieee_mode 1
		.amdhsa_fp16_overflow 0
		.amdhsa_tg_split 0
		.amdhsa_exception_fp_ieee_invalid_op 0
		.amdhsa_exception_fp_denorm_src 0
		.amdhsa_exception_fp_ieee_div_zero 0
		.amdhsa_exception_fp_ieee_overflow 0
		.amdhsa_exception_fp_ieee_underflow 0
		.amdhsa_exception_fp_ieee_inexact 0
		.amdhsa_exception_int_div_zero 0
	.end_amdhsa_kernel
	.section	.text._ZN7rocprim17ROCPRIM_400000_NS6detail17trampoline_kernelINS0_14default_configENS1_35adjacent_difference_config_selectorILb1EjEEZNS1_24adjacent_difference_implIS3_Lb1ELb0EPjN6thrust23THRUST_200600_302600_NS16discard_iteratorINS9_11use_defaultEEENS9_5minusIjEEEE10hipError_tPvRmT2_T3_mT4_P12ihipStream_tbEUlT_E_NS1_11comp_targetILNS1_3genE3ELNS1_11target_archE908ELNS1_3gpuE7ELNS1_3repE0EEENS1_30default_config_static_selectorELNS0_4arch9wavefront6targetE1EEEvT1_,"axG",@progbits,_ZN7rocprim17ROCPRIM_400000_NS6detail17trampoline_kernelINS0_14default_configENS1_35adjacent_difference_config_selectorILb1EjEEZNS1_24adjacent_difference_implIS3_Lb1ELb0EPjN6thrust23THRUST_200600_302600_NS16discard_iteratorINS9_11use_defaultEEENS9_5minusIjEEEE10hipError_tPvRmT2_T3_mT4_P12ihipStream_tbEUlT_E_NS1_11comp_targetILNS1_3genE3ELNS1_11target_archE908ELNS1_3gpuE7ELNS1_3repE0EEENS1_30default_config_static_selectorELNS0_4arch9wavefront6targetE1EEEvT1_,comdat
.Lfunc_end764:
	.size	_ZN7rocprim17ROCPRIM_400000_NS6detail17trampoline_kernelINS0_14default_configENS1_35adjacent_difference_config_selectorILb1EjEEZNS1_24adjacent_difference_implIS3_Lb1ELb0EPjN6thrust23THRUST_200600_302600_NS16discard_iteratorINS9_11use_defaultEEENS9_5minusIjEEEE10hipError_tPvRmT2_T3_mT4_P12ihipStream_tbEUlT_E_NS1_11comp_targetILNS1_3genE3ELNS1_11target_archE908ELNS1_3gpuE7ELNS1_3repE0EEENS1_30default_config_static_selectorELNS0_4arch9wavefront6targetE1EEEvT1_, .Lfunc_end764-_ZN7rocprim17ROCPRIM_400000_NS6detail17trampoline_kernelINS0_14default_configENS1_35adjacent_difference_config_selectorILb1EjEEZNS1_24adjacent_difference_implIS3_Lb1ELb0EPjN6thrust23THRUST_200600_302600_NS16discard_iteratorINS9_11use_defaultEEENS9_5minusIjEEEE10hipError_tPvRmT2_T3_mT4_P12ihipStream_tbEUlT_E_NS1_11comp_targetILNS1_3genE3ELNS1_11target_archE908ELNS1_3gpuE7ELNS1_3repE0EEENS1_30default_config_static_selectorELNS0_4arch9wavefront6targetE1EEEvT1_
                                        ; -- End function
	.section	.AMDGPU.csdata,"",@progbits
; Kernel info:
; codeLenInByte = 0
; NumSgprs: 6
; NumVgprs: 0
; NumAgprs: 0
; TotalNumVgprs: 0
; ScratchSize: 0
; MemoryBound: 0
; FloatMode: 240
; IeeeMode: 1
; LDSByteSize: 0 bytes/workgroup (compile time only)
; SGPRBlocks: 0
; VGPRBlocks: 0
; NumSGPRsForWavesPerEU: 6
; NumVGPRsForWavesPerEU: 1
; AccumOffset: 4
; Occupancy: 8
; WaveLimiterHint : 0
; COMPUTE_PGM_RSRC2:SCRATCH_EN: 0
; COMPUTE_PGM_RSRC2:USER_SGPR: 2
; COMPUTE_PGM_RSRC2:TRAP_HANDLER: 0
; COMPUTE_PGM_RSRC2:TGID_X_EN: 1
; COMPUTE_PGM_RSRC2:TGID_Y_EN: 0
; COMPUTE_PGM_RSRC2:TGID_Z_EN: 0
; COMPUTE_PGM_RSRC2:TIDIG_COMP_CNT: 0
; COMPUTE_PGM_RSRC3_GFX90A:ACCUM_OFFSET: 0
; COMPUTE_PGM_RSRC3_GFX90A:TG_SPLIT: 0
	.section	.text._ZN7rocprim17ROCPRIM_400000_NS6detail17trampoline_kernelINS0_14default_configENS1_35adjacent_difference_config_selectorILb1EjEEZNS1_24adjacent_difference_implIS3_Lb1ELb0EPjN6thrust23THRUST_200600_302600_NS16discard_iteratorINS9_11use_defaultEEENS9_5minusIjEEEE10hipError_tPvRmT2_T3_mT4_P12ihipStream_tbEUlT_E_NS1_11comp_targetILNS1_3genE2ELNS1_11target_archE906ELNS1_3gpuE6ELNS1_3repE0EEENS1_30default_config_static_selectorELNS0_4arch9wavefront6targetE1EEEvT1_,"axG",@progbits,_ZN7rocprim17ROCPRIM_400000_NS6detail17trampoline_kernelINS0_14default_configENS1_35adjacent_difference_config_selectorILb1EjEEZNS1_24adjacent_difference_implIS3_Lb1ELb0EPjN6thrust23THRUST_200600_302600_NS16discard_iteratorINS9_11use_defaultEEENS9_5minusIjEEEE10hipError_tPvRmT2_T3_mT4_P12ihipStream_tbEUlT_E_NS1_11comp_targetILNS1_3genE2ELNS1_11target_archE906ELNS1_3gpuE6ELNS1_3repE0EEENS1_30default_config_static_selectorELNS0_4arch9wavefront6targetE1EEEvT1_,comdat
	.protected	_ZN7rocprim17ROCPRIM_400000_NS6detail17trampoline_kernelINS0_14default_configENS1_35adjacent_difference_config_selectorILb1EjEEZNS1_24adjacent_difference_implIS3_Lb1ELb0EPjN6thrust23THRUST_200600_302600_NS16discard_iteratorINS9_11use_defaultEEENS9_5minusIjEEEE10hipError_tPvRmT2_T3_mT4_P12ihipStream_tbEUlT_E_NS1_11comp_targetILNS1_3genE2ELNS1_11target_archE906ELNS1_3gpuE6ELNS1_3repE0EEENS1_30default_config_static_selectorELNS0_4arch9wavefront6targetE1EEEvT1_ ; -- Begin function _ZN7rocprim17ROCPRIM_400000_NS6detail17trampoline_kernelINS0_14default_configENS1_35adjacent_difference_config_selectorILb1EjEEZNS1_24adjacent_difference_implIS3_Lb1ELb0EPjN6thrust23THRUST_200600_302600_NS16discard_iteratorINS9_11use_defaultEEENS9_5minusIjEEEE10hipError_tPvRmT2_T3_mT4_P12ihipStream_tbEUlT_E_NS1_11comp_targetILNS1_3genE2ELNS1_11target_archE906ELNS1_3gpuE6ELNS1_3repE0EEENS1_30default_config_static_selectorELNS0_4arch9wavefront6targetE1EEEvT1_
	.globl	_ZN7rocprim17ROCPRIM_400000_NS6detail17trampoline_kernelINS0_14default_configENS1_35adjacent_difference_config_selectorILb1EjEEZNS1_24adjacent_difference_implIS3_Lb1ELb0EPjN6thrust23THRUST_200600_302600_NS16discard_iteratorINS9_11use_defaultEEENS9_5minusIjEEEE10hipError_tPvRmT2_T3_mT4_P12ihipStream_tbEUlT_E_NS1_11comp_targetILNS1_3genE2ELNS1_11target_archE906ELNS1_3gpuE6ELNS1_3repE0EEENS1_30default_config_static_selectorELNS0_4arch9wavefront6targetE1EEEvT1_
	.p2align	8
	.type	_ZN7rocprim17ROCPRIM_400000_NS6detail17trampoline_kernelINS0_14default_configENS1_35adjacent_difference_config_selectorILb1EjEEZNS1_24adjacent_difference_implIS3_Lb1ELb0EPjN6thrust23THRUST_200600_302600_NS16discard_iteratorINS9_11use_defaultEEENS9_5minusIjEEEE10hipError_tPvRmT2_T3_mT4_P12ihipStream_tbEUlT_E_NS1_11comp_targetILNS1_3genE2ELNS1_11target_archE906ELNS1_3gpuE6ELNS1_3repE0EEENS1_30default_config_static_selectorELNS0_4arch9wavefront6targetE1EEEvT1_,@function
_ZN7rocprim17ROCPRIM_400000_NS6detail17trampoline_kernelINS0_14default_configENS1_35adjacent_difference_config_selectorILb1EjEEZNS1_24adjacent_difference_implIS3_Lb1ELb0EPjN6thrust23THRUST_200600_302600_NS16discard_iteratorINS9_11use_defaultEEENS9_5minusIjEEEE10hipError_tPvRmT2_T3_mT4_P12ihipStream_tbEUlT_E_NS1_11comp_targetILNS1_3genE2ELNS1_11target_archE906ELNS1_3gpuE6ELNS1_3repE0EEENS1_30default_config_static_selectorELNS0_4arch9wavefront6targetE1EEEvT1_: ; @_ZN7rocprim17ROCPRIM_400000_NS6detail17trampoline_kernelINS0_14default_configENS1_35adjacent_difference_config_selectorILb1EjEEZNS1_24adjacent_difference_implIS3_Lb1ELb0EPjN6thrust23THRUST_200600_302600_NS16discard_iteratorINS9_11use_defaultEEENS9_5minusIjEEEE10hipError_tPvRmT2_T3_mT4_P12ihipStream_tbEUlT_E_NS1_11comp_targetILNS1_3genE2ELNS1_11target_archE906ELNS1_3gpuE6ELNS1_3repE0EEENS1_30default_config_static_selectorELNS0_4arch9wavefront6targetE1EEEvT1_
; %bb.0:
	.section	.rodata,"a",@progbits
	.p2align	6, 0x0
	.amdhsa_kernel _ZN7rocprim17ROCPRIM_400000_NS6detail17trampoline_kernelINS0_14default_configENS1_35adjacent_difference_config_selectorILb1EjEEZNS1_24adjacent_difference_implIS3_Lb1ELb0EPjN6thrust23THRUST_200600_302600_NS16discard_iteratorINS9_11use_defaultEEENS9_5minusIjEEEE10hipError_tPvRmT2_T3_mT4_P12ihipStream_tbEUlT_E_NS1_11comp_targetILNS1_3genE2ELNS1_11target_archE906ELNS1_3gpuE6ELNS1_3repE0EEENS1_30default_config_static_selectorELNS0_4arch9wavefront6targetE1EEEvT1_
		.amdhsa_group_segment_fixed_size 0
		.amdhsa_private_segment_fixed_size 0
		.amdhsa_kernarg_size 64
		.amdhsa_user_sgpr_count 2
		.amdhsa_user_sgpr_dispatch_ptr 0
		.amdhsa_user_sgpr_queue_ptr 0
		.amdhsa_user_sgpr_kernarg_segment_ptr 1
		.amdhsa_user_sgpr_dispatch_id 0
		.amdhsa_user_sgpr_kernarg_preload_length 0
		.amdhsa_user_sgpr_kernarg_preload_offset 0
		.amdhsa_user_sgpr_private_segment_size 0
		.amdhsa_uses_dynamic_stack 0
		.amdhsa_enable_private_segment 0
		.amdhsa_system_sgpr_workgroup_id_x 1
		.amdhsa_system_sgpr_workgroup_id_y 0
		.amdhsa_system_sgpr_workgroup_id_z 0
		.amdhsa_system_sgpr_workgroup_info 0
		.amdhsa_system_vgpr_workitem_id 0
		.amdhsa_next_free_vgpr 1
		.amdhsa_next_free_sgpr 0
		.amdhsa_accum_offset 4
		.amdhsa_reserve_vcc 0
		.amdhsa_float_round_mode_32 0
		.amdhsa_float_round_mode_16_64 0
		.amdhsa_float_denorm_mode_32 3
		.amdhsa_float_denorm_mode_16_64 3
		.amdhsa_dx10_clamp 1
		.amdhsa_ieee_mode 1
		.amdhsa_fp16_overflow 0
		.amdhsa_tg_split 0
		.amdhsa_exception_fp_ieee_invalid_op 0
		.amdhsa_exception_fp_denorm_src 0
		.amdhsa_exception_fp_ieee_div_zero 0
		.amdhsa_exception_fp_ieee_overflow 0
		.amdhsa_exception_fp_ieee_underflow 0
		.amdhsa_exception_fp_ieee_inexact 0
		.amdhsa_exception_int_div_zero 0
	.end_amdhsa_kernel
	.section	.text._ZN7rocprim17ROCPRIM_400000_NS6detail17trampoline_kernelINS0_14default_configENS1_35adjacent_difference_config_selectorILb1EjEEZNS1_24adjacent_difference_implIS3_Lb1ELb0EPjN6thrust23THRUST_200600_302600_NS16discard_iteratorINS9_11use_defaultEEENS9_5minusIjEEEE10hipError_tPvRmT2_T3_mT4_P12ihipStream_tbEUlT_E_NS1_11comp_targetILNS1_3genE2ELNS1_11target_archE906ELNS1_3gpuE6ELNS1_3repE0EEENS1_30default_config_static_selectorELNS0_4arch9wavefront6targetE1EEEvT1_,"axG",@progbits,_ZN7rocprim17ROCPRIM_400000_NS6detail17trampoline_kernelINS0_14default_configENS1_35adjacent_difference_config_selectorILb1EjEEZNS1_24adjacent_difference_implIS3_Lb1ELb0EPjN6thrust23THRUST_200600_302600_NS16discard_iteratorINS9_11use_defaultEEENS9_5minusIjEEEE10hipError_tPvRmT2_T3_mT4_P12ihipStream_tbEUlT_E_NS1_11comp_targetILNS1_3genE2ELNS1_11target_archE906ELNS1_3gpuE6ELNS1_3repE0EEENS1_30default_config_static_selectorELNS0_4arch9wavefront6targetE1EEEvT1_,comdat
.Lfunc_end765:
	.size	_ZN7rocprim17ROCPRIM_400000_NS6detail17trampoline_kernelINS0_14default_configENS1_35adjacent_difference_config_selectorILb1EjEEZNS1_24adjacent_difference_implIS3_Lb1ELb0EPjN6thrust23THRUST_200600_302600_NS16discard_iteratorINS9_11use_defaultEEENS9_5minusIjEEEE10hipError_tPvRmT2_T3_mT4_P12ihipStream_tbEUlT_E_NS1_11comp_targetILNS1_3genE2ELNS1_11target_archE906ELNS1_3gpuE6ELNS1_3repE0EEENS1_30default_config_static_selectorELNS0_4arch9wavefront6targetE1EEEvT1_, .Lfunc_end765-_ZN7rocprim17ROCPRIM_400000_NS6detail17trampoline_kernelINS0_14default_configENS1_35adjacent_difference_config_selectorILb1EjEEZNS1_24adjacent_difference_implIS3_Lb1ELb0EPjN6thrust23THRUST_200600_302600_NS16discard_iteratorINS9_11use_defaultEEENS9_5minusIjEEEE10hipError_tPvRmT2_T3_mT4_P12ihipStream_tbEUlT_E_NS1_11comp_targetILNS1_3genE2ELNS1_11target_archE906ELNS1_3gpuE6ELNS1_3repE0EEENS1_30default_config_static_selectorELNS0_4arch9wavefront6targetE1EEEvT1_
                                        ; -- End function
	.section	.AMDGPU.csdata,"",@progbits
; Kernel info:
; codeLenInByte = 0
; NumSgprs: 6
; NumVgprs: 0
; NumAgprs: 0
; TotalNumVgprs: 0
; ScratchSize: 0
; MemoryBound: 0
; FloatMode: 240
; IeeeMode: 1
; LDSByteSize: 0 bytes/workgroup (compile time only)
; SGPRBlocks: 0
; VGPRBlocks: 0
; NumSGPRsForWavesPerEU: 6
; NumVGPRsForWavesPerEU: 1
; AccumOffset: 4
; Occupancy: 8
; WaveLimiterHint : 0
; COMPUTE_PGM_RSRC2:SCRATCH_EN: 0
; COMPUTE_PGM_RSRC2:USER_SGPR: 2
; COMPUTE_PGM_RSRC2:TRAP_HANDLER: 0
; COMPUTE_PGM_RSRC2:TGID_X_EN: 1
; COMPUTE_PGM_RSRC2:TGID_Y_EN: 0
; COMPUTE_PGM_RSRC2:TGID_Z_EN: 0
; COMPUTE_PGM_RSRC2:TIDIG_COMP_CNT: 0
; COMPUTE_PGM_RSRC3_GFX90A:ACCUM_OFFSET: 0
; COMPUTE_PGM_RSRC3_GFX90A:TG_SPLIT: 0
	.section	.text._ZN7rocprim17ROCPRIM_400000_NS6detail17trampoline_kernelINS0_14default_configENS1_35adjacent_difference_config_selectorILb1EjEEZNS1_24adjacent_difference_implIS3_Lb1ELb0EPjN6thrust23THRUST_200600_302600_NS16discard_iteratorINS9_11use_defaultEEENS9_5minusIjEEEE10hipError_tPvRmT2_T3_mT4_P12ihipStream_tbEUlT_E_NS1_11comp_targetILNS1_3genE9ELNS1_11target_archE1100ELNS1_3gpuE3ELNS1_3repE0EEENS1_30default_config_static_selectorELNS0_4arch9wavefront6targetE1EEEvT1_,"axG",@progbits,_ZN7rocprim17ROCPRIM_400000_NS6detail17trampoline_kernelINS0_14default_configENS1_35adjacent_difference_config_selectorILb1EjEEZNS1_24adjacent_difference_implIS3_Lb1ELb0EPjN6thrust23THRUST_200600_302600_NS16discard_iteratorINS9_11use_defaultEEENS9_5minusIjEEEE10hipError_tPvRmT2_T3_mT4_P12ihipStream_tbEUlT_E_NS1_11comp_targetILNS1_3genE9ELNS1_11target_archE1100ELNS1_3gpuE3ELNS1_3repE0EEENS1_30default_config_static_selectorELNS0_4arch9wavefront6targetE1EEEvT1_,comdat
	.protected	_ZN7rocprim17ROCPRIM_400000_NS6detail17trampoline_kernelINS0_14default_configENS1_35adjacent_difference_config_selectorILb1EjEEZNS1_24adjacent_difference_implIS3_Lb1ELb0EPjN6thrust23THRUST_200600_302600_NS16discard_iteratorINS9_11use_defaultEEENS9_5minusIjEEEE10hipError_tPvRmT2_T3_mT4_P12ihipStream_tbEUlT_E_NS1_11comp_targetILNS1_3genE9ELNS1_11target_archE1100ELNS1_3gpuE3ELNS1_3repE0EEENS1_30default_config_static_selectorELNS0_4arch9wavefront6targetE1EEEvT1_ ; -- Begin function _ZN7rocprim17ROCPRIM_400000_NS6detail17trampoline_kernelINS0_14default_configENS1_35adjacent_difference_config_selectorILb1EjEEZNS1_24adjacent_difference_implIS3_Lb1ELb0EPjN6thrust23THRUST_200600_302600_NS16discard_iteratorINS9_11use_defaultEEENS9_5minusIjEEEE10hipError_tPvRmT2_T3_mT4_P12ihipStream_tbEUlT_E_NS1_11comp_targetILNS1_3genE9ELNS1_11target_archE1100ELNS1_3gpuE3ELNS1_3repE0EEENS1_30default_config_static_selectorELNS0_4arch9wavefront6targetE1EEEvT1_
	.globl	_ZN7rocprim17ROCPRIM_400000_NS6detail17trampoline_kernelINS0_14default_configENS1_35adjacent_difference_config_selectorILb1EjEEZNS1_24adjacent_difference_implIS3_Lb1ELb0EPjN6thrust23THRUST_200600_302600_NS16discard_iteratorINS9_11use_defaultEEENS9_5minusIjEEEE10hipError_tPvRmT2_T3_mT4_P12ihipStream_tbEUlT_E_NS1_11comp_targetILNS1_3genE9ELNS1_11target_archE1100ELNS1_3gpuE3ELNS1_3repE0EEENS1_30default_config_static_selectorELNS0_4arch9wavefront6targetE1EEEvT1_
	.p2align	8
	.type	_ZN7rocprim17ROCPRIM_400000_NS6detail17trampoline_kernelINS0_14default_configENS1_35adjacent_difference_config_selectorILb1EjEEZNS1_24adjacent_difference_implIS3_Lb1ELb0EPjN6thrust23THRUST_200600_302600_NS16discard_iteratorINS9_11use_defaultEEENS9_5minusIjEEEE10hipError_tPvRmT2_T3_mT4_P12ihipStream_tbEUlT_E_NS1_11comp_targetILNS1_3genE9ELNS1_11target_archE1100ELNS1_3gpuE3ELNS1_3repE0EEENS1_30default_config_static_selectorELNS0_4arch9wavefront6targetE1EEEvT1_,@function
_ZN7rocprim17ROCPRIM_400000_NS6detail17trampoline_kernelINS0_14default_configENS1_35adjacent_difference_config_selectorILb1EjEEZNS1_24adjacent_difference_implIS3_Lb1ELb0EPjN6thrust23THRUST_200600_302600_NS16discard_iteratorINS9_11use_defaultEEENS9_5minusIjEEEE10hipError_tPvRmT2_T3_mT4_P12ihipStream_tbEUlT_E_NS1_11comp_targetILNS1_3genE9ELNS1_11target_archE1100ELNS1_3gpuE3ELNS1_3repE0EEENS1_30default_config_static_selectorELNS0_4arch9wavefront6targetE1EEEvT1_: ; @_ZN7rocprim17ROCPRIM_400000_NS6detail17trampoline_kernelINS0_14default_configENS1_35adjacent_difference_config_selectorILb1EjEEZNS1_24adjacent_difference_implIS3_Lb1ELb0EPjN6thrust23THRUST_200600_302600_NS16discard_iteratorINS9_11use_defaultEEENS9_5minusIjEEEE10hipError_tPvRmT2_T3_mT4_P12ihipStream_tbEUlT_E_NS1_11comp_targetILNS1_3genE9ELNS1_11target_archE1100ELNS1_3gpuE3ELNS1_3repE0EEENS1_30default_config_static_selectorELNS0_4arch9wavefront6targetE1EEEvT1_
; %bb.0:
	.section	.rodata,"a",@progbits
	.p2align	6, 0x0
	.amdhsa_kernel _ZN7rocprim17ROCPRIM_400000_NS6detail17trampoline_kernelINS0_14default_configENS1_35adjacent_difference_config_selectorILb1EjEEZNS1_24adjacent_difference_implIS3_Lb1ELb0EPjN6thrust23THRUST_200600_302600_NS16discard_iteratorINS9_11use_defaultEEENS9_5minusIjEEEE10hipError_tPvRmT2_T3_mT4_P12ihipStream_tbEUlT_E_NS1_11comp_targetILNS1_3genE9ELNS1_11target_archE1100ELNS1_3gpuE3ELNS1_3repE0EEENS1_30default_config_static_selectorELNS0_4arch9wavefront6targetE1EEEvT1_
		.amdhsa_group_segment_fixed_size 0
		.amdhsa_private_segment_fixed_size 0
		.amdhsa_kernarg_size 64
		.amdhsa_user_sgpr_count 2
		.amdhsa_user_sgpr_dispatch_ptr 0
		.amdhsa_user_sgpr_queue_ptr 0
		.amdhsa_user_sgpr_kernarg_segment_ptr 1
		.amdhsa_user_sgpr_dispatch_id 0
		.amdhsa_user_sgpr_kernarg_preload_length 0
		.amdhsa_user_sgpr_kernarg_preload_offset 0
		.amdhsa_user_sgpr_private_segment_size 0
		.amdhsa_uses_dynamic_stack 0
		.amdhsa_enable_private_segment 0
		.amdhsa_system_sgpr_workgroup_id_x 1
		.amdhsa_system_sgpr_workgroup_id_y 0
		.amdhsa_system_sgpr_workgroup_id_z 0
		.amdhsa_system_sgpr_workgroup_info 0
		.amdhsa_system_vgpr_workitem_id 0
		.amdhsa_next_free_vgpr 1
		.amdhsa_next_free_sgpr 0
		.amdhsa_accum_offset 4
		.amdhsa_reserve_vcc 0
		.amdhsa_float_round_mode_32 0
		.amdhsa_float_round_mode_16_64 0
		.amdhsa_float_denorm_mode_32 3
		.amdhsa_float_denorm_mode_16_64 3
		.amdhsa_dx10_clamp 1
		.amdhsa_ieee_mode 1
		.amdhsa_fp16_overflow 0
		.amdhsa_tg_split 0
		.amdhsa_exception_fp_ieee_invalid_op 0
		.amdhsa_exception_fp_denorm_src 0
		.amdhsa_exception_fp_ieee_div_zero 0
		.amdhsa_exception_fp_ieee_overflow 0
		.amdhsa_exception_fp_ieee_underflow 0
		.amdhsa_exception_fp_ieee_inexact 0
		.amdhsa_exception_int_div_zero 0
	.end_amdhsa_kernel
	.section	.text._ZN7rocprim17ROCPRIM_400000_NS6detail17trampoline_kernelINS0_14default_configENS1_35adjacent_difference_config_selectorILb1EjEEZNS1_24adjacent_difference_implIS3_Lb1ELb0EPjN6thrust23THRUST_200600_302600_NS16discard_iteratorINS9_11use_defaultEEENS9_5minusIjEEEE10hipError_tPvRmT2_T3_mT4_P12ihipStream_tbEUlT_E_NS1_11comp_targetILNS1_3genE9ELNS1_11target_archE1100ELNS1_3gpuE3ELNS1_3repE0EEENS1_30default_config_static_selectorELNS0_4arch9wavefront6targetE1EEEvT1_,"axG",@progbits,_ZN7rocprim17ROCPRIM_400000_NS6detail17trampoline_kernelINS0_14default_configENS1_35adjacent_difference_config_selectorILb1EjEEZNS1_24adjacent_difference_implIS3_Lb1ELb0EPjN6thrust23THRUST_200600_302600_NS16discard_iteratorINS9_11use_defaultEEENS9_5minusIjEEEE10hipError_tPvRmT2_T3_mT4_P12ihipStream_tbEUlT_E_NS1_11comp_targetILNS1_3genE9ELNS1_11target_archE1100ELNS1_3gpuE3ELNS1_3repE0EEENS1_30default_config_static_selectorELNS0_4arch9wavefront6targetE1EEEvT1_,comdat
.Lfunc_end766:
	.size	_ZN7rocprim17ROCPRIM_400000_NS6detail17trampoline_kernelINS0_14default_configENS1_35adjacent_difference_config_selectorILb1EjEEZNS1_24adjacent_difference_implIS3_Lb1ELb0EPjN6thrust23THRUST_200600_302600_NS16discard_iteratorINS9_11use_defaultEEENS9_5minusIjEEEE10hipError_tPvRmT2_T3_mT4_P12ihipStream_tbEUlT_E_NS1_11comp_targetILNS1_3genE9ELNS1_11target_archE1100ELNS1_3gpuE3ELNS1_3repE0EEENS1_30default_config_static_selectorELNS0_4arch9wavefront6targetE1EEEvT1_, .Lfunc_end766-_ZN7rocprim17ROCPRIM_400000_NS6detail17trampoline_kernelINS0_14default_configENS1_35adjacent_difference_config_selectorILb1EjEEZNS1_24adjacent_difference_implIS3_Lb1ELb0EPjN6thrust23THRUST_200600_302600_NS16discard_iteratorINS9_11use_defaultEEENS9_5minusIjEEEE10hipError_tPvRmT2_T3_mT4_P12ihipStream_tbEUlT_E_NS1_11comp_targetILNS1_3genE9ELNS1_11target_archE1100ELNS1_3gpuE3ELNS1_3repE0EEENS1_30default_config_static_selectorELNS0_4arch9wavefront6targetE1EEEvT1_
                                        ; -- End function
	.section	.AMDGPU.csdata,"",@progbits
; Kernel info:
; codeLenInByte = 0
; NumSgprs: 6
; NumVgprs: 0
; NumAgprs: 0
; TotalNumVgprs: 0
; ScratchSize: 0
; MemoryBound: 0
; FloatMode: 240
; IeeeMode: 1
; LDSByteSize: 0 bytes/workgroup (compile time only)
; SGPRBlocks: 0
; VGPRBlocks: 0
; NumSGPRsForWavesPerEU: 6
; NumVGPRsForWavesPerEU: 1
; AccumOffset: 4
; Occupancy: 8
; WaveLimiterHint : 0
; COMPUTE_PGM_RSRC2:SCRATCH_EN: 0
; COMPUTE_PGM_RSRC2:USER_SGPR: 2
; COMPUTE_PGM_RSRC2:TRAP_HANDLER: 0
; COMPUTE_PGM_RSRC2:TGID_X_EN: 1
; COMPUTE_PGM_RSRC2:TGID_Y_EN: 0
; COMPUTE_PGM_RSRC2:TGID_Z_EN: 0
; COMPUTE_PGM_RSRC2:TIDIG_COMP_CNT: 0
; COMPUTE_PGM_RSRC3_GFX90A:ACCUM_OFFSET: 0
; COMPUTE_PGM_RSRC3_GFX90A:TG_SPLIT: 0
	.section	.text._ZN7rocprim17ROCPRIM_400000_NS6detail17trampoline_kernelINS0_14default_configENS1_35adjacent_difference_config_selectorILb1EjEEZNS1_24adjacent_difference_implIS3_Lb1ELb0EPjN6thrust23THRUST_200600_302600_NS16discard_iteratorINS9_11use_defaultEEENS9_5minusIjEEEE10hipError_tPvRmT2_T3_mT4_P12ihipStream_tbEUlT_E_NS1_11comp_targetILNS1_3genE8ELNS1_11target_archE1030ELNS1_3gpuE2ELNS1_3repE0EEENS1_30default_config_static_selectorELNS0_4arch9wavefront6targetE1EEEvT1_,"axG",@progbits,_ZN7rocprim17ROCPRIM_400000_NS6detail17trampoline_kernelINS0_14default_configENS1_35adjacent_difference_config_selectorILb1EjEEZNS1_24adjacent_difference_implIS3_Lb1ELb0EPjN6thrust23THRUST_200600_302600_NS16discard_iteratorINS9_11use_defaultEEENS9_5minusIjEEEE10hipError_tPvRmT2_T3_mT4_P12ihipStream_tbEUlT_E_NS1_11comp_targetILNS1_3genE8ELNS1_11target_archE1030ELNS1_3gpuE2ELNS1_3repE0EEENS1_30default_config_static_selectorELNS0_4arch9wavefront6targetE1EEEvT1_,comdat
	.protected	_ZN7rocprim17ROCPRIM_400000_NS6detail17trampoline_kernelINS0_14default_configENS1_35adjacent_difference_config_selectorILb1EjEEZNS1_24adjacent_difference_implIS3_Lb1ELb0EPjN6thrust23THRUST_200600_302600_NS16discard_iteratorINS9_11use_defaultEEENS9_5minusIjEEEE10hipError_tPvRmT2_T3_mT4_P12ihipStream_tbEUlT_E_NS1_11comp_targetILNS1_3genE8ELNS1_11target_archE1030ELNS1_3gpuE2ELNS1_3repE0EEENS1_30default_config_static_selectorELNS0_4arch9wavefront6targetE1EEEvT1_ ; -- Begin function _ZN7rocprim17ROCPRIM_400000_NS6detail17trampoline_kernelINS0_14default_configENS1_35adjacent_difference_config_selectorILb1EjEEZNS1_24adjacent_difference_implIS3_Lb1ELb0EPjN6thrust23THRUST_200600_302600_NS16discard_iteratorINS9_11use_defaultEEENS9_5minusIjEEEE10hipError_tPvRmT2_T3_mT4_P12ihipStream_tbEUlT_E_NS1_11comp_targetILNS1_3genE8ELNS1_11target_archE1030ELNS1_3gpuE2ELNS1_3repE0EEENS1_30default_config_static_selectorELNS0_4arch9wavefront6targetE1EEEvT1_
	.globl	_ZN7rocprim17ROCPRIM_400000_NS6detail17trampoline_kernelINS0_14default_configENS1_35adjacent_difference_config_selectorILb1EjEEZNS1_24adjacent_difference_implIS3_Lb1ELb0EPjN6thrust23THRUST_200600_302600_NS16discard_iteratorINS9_11use_defaultEEENS9_5minusIjEEEE10hipError_tPvRmT2_T3_mT4_P12ihipStream_tbEUlT_E_NS1_11comp_targetILNS1_3genE8ELNS1_11target_archE1030ELNS1_3gpuE2ELNS1_3repE0EEENS1_30default_config_static_selectorELNS0_4arch9wavefront6targetE1EEEvT1_
	.p2align	8
	.type	_ZN7rocprim17ROCPRIM_400000_NS6detail17trampoline_kernelINS0_14default_configENS1_35adjacent_difference_config_selectorILb1EjEEZNS1_24adjacent_difference_implIS3_Lb1ELb0EPjN6thrust23THRUST_200600_302600_NS16discard_iteratorINS9_11use_defaultEEENS9_5minusIjEEEE10hipError_tPvRmT2_T3_mT4_P12ihipStream_tbEUlT_E_NS1_11comp_targetILNS1_3genE8ELNS1_11target_archE1030ELNS1_3gpuE2ELNS1_3repE0EEENS1_30default_config_static_selectorELNS0_4arch9wavefront6targetE1EEEvT1_,@function
_ZN7rocprim17ROCPRIM_400000_NS6detail17trampoline_kernelINS0_14default_configENS1_35adjacent_difference_config_selectorILb1EjEEZNS1_24adjacent_difference_implIS3_Lb1ELb0EPjN6thrust23THRUST_200600_302600_NS16discard_iteratorINS9_11use_defaultEEENS9_5minusIjEEEE10hipError_tPvRmT2_T3_mT4_P12ihipStream_tbEUlT_E_NS1_11comp_targetILNS1_3genE8ELNS1_11target_archE1030ELNS1_3gpuE2ELNS1_3repE0EEENS1_30default_config_static_selectorELNS0_4arch9wavefront6targetE1EEEvT1_: ; @_ZN7rocprim17ROCPRIM_400000_NS6detail17trampoline_kernelINS0_14default_configENS1_35adjacent_difference_config_selectorILb1EjEEZNS1_24adjacent_difference_implIS3_Lb1ELb0EPjN6thrust23THRUST_200600_302600_NS16discard_iteratorINS9_11use_defaultEEENS9_5minusIjEEEE10hipError_tPvRmT2_T3_mT4_P12ihipStream_tbEUlT_E_NS1_11comp_targetILNS1_3genE8ELNS1_11target_archE1030ELNS1_3gpuE2ELNS1_3repE0EEENS1_30default_config_static_selectorELNS0_4arch9wavefront6targetE1EEEvT1_
; %bb.0:
	.section	.rodata,"a",@progbits
	.p2align	6, 0x0
	.amdhsa_kernel _ZN7rocprim17ROCPRIM_400000_NS6detail17trampoline_kernelINS0_14default_configENS1_35adjacent_difference_config_selectorILb1EjEEZNS1_24adjacent_difference_implIS3_Lb1ELb0EPjN6thrust23THRUST_200600_302600_NS16discard_iteratorINS9_11use_defaultEEENS9_5minusIjEEEE10hipError_tPvRmT2_T3_mT4_P12ihipStream_tbEUlT_E_NS1_11comp_targetILNS1_3genE8ELNS1_11target_archE1030ELNS1_3gpuE2ELNS1_3repE0EEENS1_30default_config_static_selectorELNS0_4arch9wavefront6targetE1EEEvT1_
		.amdhsa_group_segment_fixed_size 0
		.amdhsa_private_segment_fixed_size 0
		.amdhsa_kernarg_size 64
		.amdhsa_user_sgpr_count 2
		.amdhsa_user_sgpr_dispatch_ptr 0
		.amdhsa_user_sgpr_queue_ptr 0
		.amdhsa_user_sgpr_kernarg_segment_ptr 1
		.amdhsa_user_sgpr_dispatch_id 0
		.amdhsa_user_sgpr_kernarg_preload_length 0
		.amdhsa_user_sgpr_kernarg_preload_offset 0
		.amdhsa_user_sgpr_private_segment_size 0
		.amdhsa_uses_dynamic_stack 0
		.amdhsa_enable_private_segment 0
		.amdhsa_system_sgpr_workgroup_id_x 1
		.amdhsa_system_sgpr_workgroup_id_y 0
		.amdhsa_system_sgpr_workgroup_id_z 0
		.amdhsa_system_sgpr_workgroup_info 0
		.amdhsa_system_vgpr_workitem_id 0
		.amdhsa_next_free_vgpr 1
		.amdhsa_next_free_sgpr 0
		.amdhsa_accum_offset 4
		.amdhsa_reserve_vcc 0
		.amdhsa_float_round_mode_32 0
		.amdhsa_float_round_mode_16_64 0
		.amdhsa_float_denorm_mode_32 3
		.amdhsa_float_denorm_mode_16_64 3
		.amdhsa_dx10_clamp 1
		.amdhsa_ieee_mode 1
		.amdhsa_fp16_overflow 0
		.amdhsa_tg_split 0
		.amdhsa_exception_fp_ieee_invalid_op 0
		.amdhsa_exception_fp_denorm_src 0
		.amdhsa_exception_fp_ieee_div_zero 0
		.amdhsa_exception_fp_ieee_overflow 0
		.amdhsa_exception_fp_ieee_underflow 0
		.amdhsa_exception_fp_ieee_inexact 0
		.amdhsa_exception_int_div_zero 0
	.end_amdhsa_kernel
	.section	.text._ZN7rocprim17ROCPRIM_400000_NS6detail17trampoline_kernelINS0_14default_configENS1_35adjacent_difference_config_selectorILb1EjEEZNS1_24adjacent_difference_implIS3_Lb1ELb0EPjN6thrust23THRUST_200600_302600_NS16discard_iteratorINS9_11use_defaultEEENS9_5minusIjEEEE10hipError_tPvRmT2_T3_mT4_P12ihipStream_tbEUlT_E_NS1_11comp_targetILNS1_3genE8ELNS1_11target_archE1030ELNS1_3gpuE2ELNS1_3repE0EEENS1_30default_config_static_selectorELNS0_4arch9wavefront6targetE1EEEvT1_,"axG",@progbits,_ZN7rocprim17ROCPRIM_400000_NS6detail17trampoline_kernelINS0_14default_configENS1_35adjacent_difference_config_selectorILb1EjEEZNS1_24adjacent_difference_implIS3_Lb1ELb0EPjN6thrust23THRUST_200600_302600_NS16discard_iteratorINS9_11use_defaultEEENS9_5minusIjEEEE10hipError_tPvRmT2_T3_mT4_P12ihipStream_tbEUlT_E_NS1_11comp_targetILNS1_3genE8ELNS1_11target_archE1030ELNS1_3gpuE2ELNS1_3repE0EEENS1_30default_config_static_selectorELNS0_4arch9wavefront6targetE1EEEvT1_,comdat
.Lfunc_end767:
	.size	_ZN7rocprim17ROCPRIM_400000_NS6detail17trampoline_kernelINS0_14default_configENS1_35adjacent_difference_config_selectorILb1EjEEZNS1_24adjacent_difference_implIS3_Lb1ELb0EPjN6thrust23THRUST_200600_302600_NS16discard_iteratorINS9_11use_defaultEEENS9_5minusIjEEEE10hipError_tPvRmT2_T3_mT4_P12ihipStream_tbEUlT_E_NS1_11comp_targetILNS1_3genE8ELNS1_11target_archE1030ELNS1_3gpuE2ELNS1_3repE0EEENS1_30default_config_static_selectorELNS0_4arch9wavefront6targetE1EEEvT1_, .Lfunc_end767-_ZN7rocprim17ROCPRIM_400000_NS6detail17trampoline_kernelINS0_14default_configENS1_35adjacent_difference_config_selectorILb1EjEEZNS1_24adjacent_difference_implIS3_Lb1ELb0EPjN6thrust23THRUST_200600_302600_NS16discard_iteratorINS9_11use_defaultEEENS9_5minusIjEEEE10hipError_tPvRmT2_T3_mT4_P12ihipStream_tbEUlT_E_NS1_11comp_targetILNS1_3genE8ELNS1_11target_archE1030ELNS1_3gpuE2ELNS1_3repE0EEENS1_30default_config_static_selectorELNS0_4arch9wavefront6targetE1EEEvT1_
                                        ; -- End function
	.section	.AMDGPU.csdata,"",@progbits
; Kernel info:
; codeLenInByte = 0
; NumSgprs: 6
; NumVgprs: 0
; NumAgprs: 0
; TotalNumVgprs: 0
; ScratchSize: 0
; MemoryBound: 0
; FloatMode: 240
; IeeeMode: 1
; LDSByteSize: 0 bytes/workgroup (compile time only)
; SGPRBlocks: 0
; VGPRBlocks: 0
; NumSGPRsForWavesPerEU: 6
; NumVGPRsForWavesPerEU: 1
; AccumOffset: 4
; Occupancy: 8
; WaveLimiterHint : 0
; COMPUTE_PGM_RSRC2:SCRATCH_EN: 0
; COMPUTE_PGM_RSRC2:USER_SGPR: 2
; COMPUTE_PGM_RSRC2:TRAP_HANDLER: 0
; COMPUTE_PGM_RSRC2:TGID_X_EN: 1
; COMPUTE_PGM_RSRC2:TGID_Y_EN: 0
; COMPUTE_PGM_RSRC2:TGID_Z_EN: 0
; COMPUTE_PGM_RSRC2:TIDIG_COMP_CNT: 0
; COMPUTE_PGM_RSRC3_GFX90A:ACCUM_OFFSET: 0
; COMPUTE_PGM_RSRC3_GFX90A:TG_SPLIT: 0
	.section	.text._ZN7rocprim17ROCPRIM_400000_NS6detail17trampoline_kernelINS0_14default_configENS1_25transform_config_selectorIfLb0EEEZNS1_14transform_implILb0ES3_S5_NS0_18transform_iteratorINS0_17counting_iteratorImlEEZNS1_24adjacent_difference_implIS3_Lb1ELb0EPfN6thrust23THRUST_200600_302600_NS16discard_iteratorINSD_11use_defaultEEENSD_5minusIfEEEE10hipError_tPvRmT2_T3_mT4_P12ihipStream_tbEUlmE_fEESB_NS0_8identityIvEEEESJ_SM_SN_mSO_SQ_bEUlT_E_NS1_11comp_targetILNS1_3genE0ELNS1_11target_archE4294967295ELNS1_3gpuE0ELNS1_3repE0EEENS1_30default_config_static_selectorELNS0_4arch9wavefront6targetE1EEEvT1_,"axG",@progbits,_ZN7rocprim17ROCPRIM_400000_NS6detail17trampoline_kernelINS0_14default_configENS1_25transform_config_selectorIfLb0EEEZNS1_14transform_implILb0ES3_S5_NS0_18transform_iteratorINS0_17counting_iteratorImlEEZNS1_24adjacent_difference_implIS3_Lb1ELb0EPfN6thrust23THRUST_200600_302600_NS16discard_iteratorINSD_11use_defaultEEENSD_5minusIfEEEE10hipError_tPvRmT2_T3_mT4_P12ihipStream_tbEUlmE_fEESB_NS0_8identityIvEEEESJ_SM_SN_mSO_SQ_bEUlT_E_NS1_11comp_targetILNS1_3genE0ELNS1_11target_archE4294967295ELNS1_3gpuE0ELNS1_3repE0EEENS1_30default_config_static_selectorELNS0_4arch9wavefront6targetE1EEEvT1_,comdat
	.protected	_ZN7rocprim17ROCPRIM_400000_NS6detail17trampoline_kernelINS0_14default_configENS1_25transform_config_selectorIfLb0EEEZNS1_14transform_implILb0ES3_S5_NS0_18transform_iteratorINS0_17counting_iteratorImlEEZNS1_24adjacent_difference_implIS3_Lb1ELb0EPfN6thrust23THRUST_200600_302600_NS16discard_iteratorINSD_11use_defaultEEENSD_5minusIfEEEE10hipError_tPvRmT2_T3_mT4_P12ihipStream_tbEUlmE_fEESB_NS0_8identityIvEEEESJ_SM_SN_mSO_SQ_bEUlT_E_NS1_11comp_targetILNS1_3genE0ELNS1_11target_archE4294967295ELNS1_3gpuE0ELNS1_3repE0EEENS1_30default_config_static_selectorELNS0_4arch9wavefront6targetE1EEEvT1_ ; -- Begin function _ZN7rocprim17ROCPRIM_400000_NS6detail17trampoline_kernelINS0_14default_configENS1_25transform_config_selectorIfLb0EEEZNS1_14transform_implILb0ES3_S5_NS0_18transform_iteratorINS0_17counting_iteratorImlEEZNS1_24adjacent_difference_implIS3_Lb1ELb0EPfN6thrust23THRUST_200600_302600_NS16discard_iteratorINSD_11use_defaultEEENSD_5minusIfEEEE10hipError_tPvRmT2_T3_mT4_P12ihipStream_tbEUlmE_fEESB_NS0_8identityIvEEEESJ_SM_SN_mSO_SQ_bEUlT_E_NS1_11comp_targetILNS1_3genE0ELNS1_11target_archE4294967295ELNS1_3gpuE0ELNS1_3repE0EEENS1_30default_config_static_selectorELNS0_4arch9wavefront6targetE1EEEvT1_
	.globl	_ZN7rocprim17ROCPRIM_400000_NS6detail17trampoline_kernelINS0_14default_configENS1_25transform_config_selectorIfLb0EEEZNS1_14transform_implILb0ES3_S5_NS0_18transform_iteratorINS0_17counting_iteratorImlEEZNS1_24adjacent_difference_implIS3_Lb1ELb0EPfN6thrust23THRUST_200600_302600_NS16discard_iteratorINSD_11use_defaultEEENSD_5minusIfEEEE10hipError_tPvRmT2_T3_mT4_P12ihipStream_tbEUlmE_fEESB_NS0_8identityIvEEEESJ_SM_SN_mSO_SQ_bEUlT_E_NS1_11comp_targetILNS1_3genE0ELNS1_11target_archE4294967295ELNS1_3gpuE0ELNS1_3repE0EEENS1_30default_config_static_selectorELNS0_4arch9wavefront6targetE1EEEvT1_
	.p2align	8
	.type	_ZN7rocprim17ROCPRIM_400000_NS6detail17trampoline_kernelINS0_14default_configENS1_25transform_config_selectorIfLb0EEEZNS1_14transform_implILb0ES3_S5_NS0_18transform_iteratorINS0_17counting_iteratorImlEEZNS1_24adjacent_difference_implIS3_Lb1ELb0EPfN6thrust23THRUST_200600_302600_NS16discard_iteratorINSD_11use_defaultEEENSD_5minusIfEEEE10hipError_tPvRmT2_T3_mT4_P12ihipStream_tbEUlmE_fEESB_NS0_8identityIvEEEESJ_SM_SN_mSO_SQ_bEUlT_E_NS1_11comp_targetILNS1_3genE0ELNS1_11target_archE4294967295ELNS1_3gpuE0ELNS1_3repE0EEENS1_30default_config_static_selectorELNS0_4arch9wavefront6targetE1EEEvT1_,@function
_ZN7rocprim17ROCPRIM_400000_NS6detail17trampoline_kernelINS0_14default_configENS1_25transform_config_selectorIfLb0EEEZNS1_14transform_implILb0ES3_S5_NS0_18transform_iteratorINS0_17counting_iteratorImlEEZNS1_24adjacent_difference_implIS3_Lb1ELb0EPfN6thrust23THRUST_200600_302600_NS16discard_iteratorINSD_11use_defaultEEENSD_5minusIfEEEE10hipError_tPvRmT2_T3_mT4_P12ihipStream_tbEUlmE_fEESB_NS0_8identityIvEEEESJ_SM_SN_mSO_SQ_bEUlT_E_NS1_11comp_targetILNS1_3genE0ELNS1_11target_archE4294967295ELNS1_3gpuE0ELNS1_3repE0EEENS1_30default_config_static_selectorELNS0_4arch9wavefront6targetE1EEEvT1_: ; @_ZN7rocprim17ROCPRIM_400000_NS6detail17trampoline_kernelINS0_14default_configENS1_25transform_config_selectorIfLb0EEEZNS1_14transform_implILb0ES3_S5_NS0_18transform_iteratorINS0_17counting_iteratorImlEEZNS1_24adjacent_difference_implIS3_Lb1ELb0EPfN6thrust23THRUST_200600_302600_NS16discard_iteratorINSD_11use_defaultEEENSD_5minusIfEEEE10hipError_tPvRmT2_T3_mT4_P12ihipStream_tbEUlmE_fEESB_NS0_8identityIvEEEESJ_SM_SN_mSO_SQ_bEUlT_E_NS1_11comp_targetILNS1_3genE0ELNS1_11target_archE4294967295ELNS1_3gpuE0ELNS1_3repE0EEENS1_30default_config_static_selectorELNS0_4arch9wavefront6targetE1EEEvT1_
; %bb.0:
	.section	.rodata,"a",@progbits
	.p2align	6, 0x0
	.amdhsa_kernel _ZN7rocprim17ROCPRIM_400000_NS6detail17trampoline_kernelINS0_14default_configENS1_25transform_config_selectorIfLb0EEEZNS1_14transform_implILb0ES3_S5_NS0_18transform_iteratorINS0_17counting_iteratorImlEEZNS1_24adjacent_difference_implIS3_Lb1ELb0EPfN6thrust23THRUST_200600_302600_NS16discard_iteratorINSD_11use_defaultEEENSD_5minusIfEEEE10hipError_tPvRmT2_T3_mT4_P12ihipStream_tbEUlmE_fEESB_NS0_8identityIvEEEESJ_SM_SN_mSO_SQ_bEUlT_E_NS1_11comp_targetILNS1_3genE0ELNS1_11target_archE4294967295ELNS1_3gpuE0ELNS1_3repE0EEENS1_30default_config_static_selectorELNS0_4arch9wavefront6targetE1EEEvT1_
		.amdhsa_group_segment_fixed_size 0
		.amdhsa_private_segment_fixed_size 0
		.amdhsa_kernarg_size 56
		.amdhsa_user_sgpr_count 2
		.amdhsa_user_sgpr_dispatch_ptr 0
		.amdhsa_user_sgpr_queue_ptr 0
		.amdhsa_user_sgpr_kernarg_segment_ptr 1
		.amdhsa_user_sgpr_dispatch_id 0
		.amdhsa_user_sgpr_kernarg_preload_length 0
		.amdhsa_user_sgpr_kernarg_preload_offset 0
		.amdhsa_user_sgpr_private_segment_size 0
		.amdhsa_uses_dynamic_stack 0
		.amdhsa_enable_private_segment 0
		.amdhsa_system_sgpr_workgroup_id_x 1
		.amdhsa_system_sgpr_workgroup_id_y 0
		.amdhsa_system_sgpr_workgroup_id_z 0
		.amdhsa_system_sgpr_workgroup_info 0
		.amdhsa_system_vgpr_workitem_id 0
		.amdhsa_next_free_vgpr 1
		.amdhsa_next_free_sgpr 0
		.amdhsa_accum_offset 4
		.amdhsa_reserve_vcc 0
		.amdhsa_float_round_mode_32 0
		.amdhsa_float_round_mode_16_64 0
		.amdhsa_float_denorm_mode_32 3
		.amdhsa_float_denorm_mode_16_64 3
		.amdhsa_dx10_clamp 1
		.amdhsa_ieee_mode 1
		.amdhsa_fp16_overflow 0
		.amdhsa_tg_split 0
		.amdhsa_exception_fp_ieee_invalid_op 0
		.amdhsa_exception_fp_denorm_src 0
		.amdhsa_exception_fp_ieee_div_zero 0
		.amdhsa_exception_fp_ieee_overflow 0
		.amdhsa_exception_fp_ieee_underflow 0
		.amdhsa_exception_fp_ieee_inexact 0
		.amdhsa_exception_int_div_zero 0
	.end_amdhsa_kernel
	.section	.text._ZN7rocprim17ROCPRIM_400000_NS6detail17trampoline_kernelINS0_14default_configENS1_25transform_config_selectorIfLb0EEEZNS1_14transform_implILb0ES3_S5_NS0_18transform_iteratorINS0_17counting_iteratorImlEEZNS1_24adjacent_difference_implIS3_Lb1ELb0EPfN6thrust23THRUST_200600_302600_NS16discard_iteratorINSD_11use_defaultEEENSD_5minusIfEEEE10hipError_tPvRmT2_T3_mT4_P12ihipStream_tbEUlmE_fEESB_NS0_8identityIvEEEESJ_SM_SN_mSO_SQ_bEUlT_E_NS1_11comp_targetILNS1_3genE0ELNS1_11target_archE4294967295ELNS1_3gpuE0ELNS1_3repE0EEENS1_30default_config_static_selectorELNS0_4arch9wavefront6targetE1EEEvT1_,"axG",@progbits,_ZN7rocprim17ROCPRIM_400000_NS6detail17trampoline_kernelINS0_14default_configENS1_25transform_config_selectorIfLb0EEEZNS1_14transform_implILb0ES3_S5_NS0_18transform_iteratorINS0_17counting_iteratorImlEEZNS1_24adjacent_difference_implIS3_Lb1ELb0EPfN6thrust23THRUST_200600_302600_NS16discard_iteratorINSD_11use_defaultEEENSD_5minusIfEEEE10hipError_tPvRmT2_T3_mT4_P12ihipStream_tbEUlmE_fEESB_NS0_8identityIvEEEESJ_SM_SN_mSO_SQ_bEUlT_E_NS1_11comp_targetILNS1_3genE0ELNS1_11target_archE4294967295ELNS1_3gpuE0ELNS1_3repE0EEENS1_30default_config_static_selectorELNS0_4arch9wavefront6targetE1EEEvT1_,comdat
.Lfunc_end768:
	.size	_ZN7rocprim17ROCPRIM_400000_NS6detail17trampoline_kernelINS0_14default_configENS1_25transform_config_selectorIfLb0EEEZNS1_14transform_implILb0ES3_S5_NS0_18transform_iteratorINS0_17counting_iteratorImlEEZNS1_24adjacent_difference_implIS3_Lb1ELb0EPfN6thrust23THRUST_200600_302600_NS16discard_iteratorINSD_11use_defaultEEENSD_5minusIfEEEE10hipError_tPvRmT2_T3_mT4_P12ihipStream_tbEUlmE_fEESB_NS0_8identityIvEEEESJ_SM_SN_mSO_SQ_bEUlT_E_NS1_11comp_targetILNS1_3genE0ELNS1_11target_archE4294967295ELNS1_3gpuE0ELNS1_3repE0EEENS1_30default_config_static_selectorELNS0_4arch9wavefront6targetE1EEEvT1_, .Lfunc_end768-_ZN7rocprim17ROCPRIM_400000_NS6detail17trampoline_kernelINS0_14default_configENS1_25transform_config_selectorIfLb0EEEZNS1_14transform_implILb0ES3_S5_NS0_18transform_iteratorINS0_17counting_iteratorImlEEZNS1_24adjacent_difference_implIS3_Lb1ELb0EPfN6thrust23THRUST_200600_302600_NS16discard_iteratorINSD_11use_defaultEEENSD_5minusIfEEEE10hipError_tPvRmT2_T3_mT4_P12ihipStream_tbEUlmE_fEESB_NS0_8identityIvEEEESJ_SM_SN_mSO_SQ_bEUlT_E_NS1_11comp_targetILNS1_3genE0ELNS1_11target_archE4294967295ELNS1_3gpuE0ELNS1_3repE0EEENS1_30default_config_static_selectorELNS0_4arch9wavefront6targetE1EEEvT1_
                                        ; -- End function
	.section	.AMDGPU.csdata,"",@progbits
; Kernel info:
; codeLenInByte = 0
; NumSgprs: 6
; NumVgprs: 0
; NumAgprs: 0
; TotalNumVgprs: 0
; ScratchSize: 0
; MemoryBound: 0
; FloatMode: 240
; IeeeMode: 1
; LDSByteSize: 0 bytes/workgroup (compile time only)
; SGPRBlocks: 0
; VGPRBlocks: 0
; NumSGPRsForWavesPerEU: 6
; NumVGPRsForWavesPerEU: 1
; AccumOffset: 4
; Occupancy: 8
; WaveLimiterHint : 0
; COMPUTE_PGM_RSRC2:SCRATCH_EN: 0
; COMPUTE_PGM_RSRC2:USER_SGPR: 2
; COMPUTE_PGM_RSRC2:TRAP_HANDLER: 0
; COMPUTE_PGM_RSRC2:TGID_X_EN: 1
; COMPUTE_PGM_RSRC2:TGID_Y_EN: 0
; COMPUTE_PGM_RSRC2:TGID_Z_EN: 0
; COMPUTE_PGM_RSRC2:TIDIG_COMP_CNT: 0
; COMPUTE_PGM_RSRC3_GFX90A:ACCUM_OFFSET: 0
; COMPUTE_PGM_RSRC3_GFX90A:TG_SPLIT: 0
	.section	.text._ZN7rocprim17ROCPRIM_400000_NS6detail17trampoline_kernelINS0_14default_configENS1_25transform_config_selectorIfLb0EEEZNS1_14transform_implILb0ES3_S5_NS0_18transform_iteratorINS0_17counting_iteratorImlEEZNS1_24adjacent_difference_implIS3_Lb1ELb0EPfN6thrust23THRUST_200600_302600_NS16discard_iteratorINSD_11use_defaultEEENSD_5minusIfEEEE10hipError_tPvRmT2_T3_mT4_P12ihipStream_tbEUlmE_fEESB_NS0_8identityIvEEEESJ_SM_SN_mSO_SQ_bEUlT_E_NS1_11comp_targetILNS1_3genE5ELNS1_11target_archE942ELNS1_3gpuE9ELNS1_3repE0EEENS1_30default_config_static_selectorELNS0_4arch9wavefront6targetE1EEEvT1_,"axG",@progbits,_ZN7rocprim17ROCPRIM_400000_NS6detail17trampoline_kernelINS0_14default_configENS1_25transform_config_selectorIfLb0EEEZNS1_14transform_implILb0ES3_S5_NS0_18transform_iteratorINS0_17counting_iteratorImlEEZNS1_24adjacent_difference_implIS3_Lb1ELb0EPfN6thrust23THRUST_200600_302600_NS16discard_iteratorINSD_11use_defaultEEENSD_5minusIfEEEE10hipError_tPvRmT2_T3_mT4_P12ihipStream_tbEUlmE_fEESB_NS0_8identityIvEEEESJ_SM_SN_mSO_SQ_bEUlT_E_NS1_11comp_targetILNS1_3genE5ELNS1_11target_archE942ELNS1_3gpuE9ELNS1_3repE0EEENS1_30default_config_static_selectorELNS0_4arch9wavefront6targetE1EEEvT1_,comdat
	.protected	_ZN7rocprim17ROCPRIM_400000_NS6detail17trampoline_kernelINS0_14default_configENS1_25transform_config_selectorIfLb0EEEZNS1_14transform_implILb0ES3_S5_NS0_18transform_iteratorINS0_17counting_iteratorImlEEZNS1_24adjacent_difference_implIS3_Lb1ELb0EPfN6thrust23THRUST_200600_302600_NS16discard_iteratorINSD_11use_defaultEEENSD_5minusIfEEEE10hipError_tPvRmT2_T3_mT4_P12ihipStream_tbEUlmE_fEESB_NS0_8identityIvEEEESJ_SM_SN_mSO_SQ_bEUlT_E_NS1_11comp_targetILNS1_3genE5ELNS1_11target_archE942ELNS1_3gpuE9ELNS1_3repE0EEENS1_30default_config_static_selectorELNS0_4arch9wavefront6targetE1EEEvT1_ ; -- Begin function _ZN7rocprim17ROCPRIM_400000_NS6detail17trampoline_kernelINS0_14default_configENS1_25transform_config_selectorIfLb0EEEZNS1_14transform_implILb0ES3_S5_NS0_18transform_iteratorINS0_17counting_iteratorImlEEZNS1_24adjacent_difference_implIS3_Lb1ELb0EPfN6thrust23THRUST_200600_302600_NS16discard_iteratorINSD_11use_defaultEEENSD_5minusIfEEEE10hipError_tPvRmT2_T3_mT4_P12ihipStream_tbEUlmE_fEESB_NS0_8identityIvEEEESJ_SM_SN_mSO_SQ_bEUlT_E_NS1_11comp_targetILNS1_3genE5ELNS1_11target_archE942ELNS1_3gpuE9ELNS1_3repE0EEENS1_30default_config_static_selectorELNS0_4arch9wavefront6targetE1EEEvT1_
	.globl	_ZN7rocprim17ROCPRIM_400000_NS6detail17trampoline_kernelINS0_14default_configENS1_25transform_config_selectorIfLb0EEEZNS1_14transform_implILb0ES3_S5_NS0_18transform_iteratorINS0_17counting_iteratorImlEEZNS1_24adjacent_difference_implIS3_Lb1ELb0EPfN6thrust23THRUST_200600_302600_NS16discard_iteratorINSD_11use_defaultEEENSD_5minusIfEEEE10hipError_tPvRmT2_T3_mT4_P12ihipStream_tbEUlmE_fEESB_NS0_8identityIvEEEESJ_SM_SN_mSO_SQ_bEUlT_E_NS1_11comp_targetILNS1_3genE5ELNS1_11target_archE942ELNS1_3gpuE9ELNS1_3repE0EEENS1_30default_config_static_selectorELNS0_4arch9wavefront6targetE1EEEvT1_
	.p2align	8
	.type	_ZN7rocprim17ROCPRIM_400000_NS6detail17trampoline_kernelINS0_14default_configENS1_25transform_config_selectorIfLb0EEEZNS1_14transform_implILb0ES3_S5_NS0_18transform_iteratorINS0_17counting_iteratorImlEEZNS1_24adjacent_difference_implIS3_Lb1ELb0EPfN6thrust23THRUST_200600_302600_NS16discard_iteratorINSD_11use_defaultEEENSD_5minusIfEEEE10hipError_tPvRmT2_T3_mT4_P12ihipStream_tbEUlmE_fEESB_NS0_8identityIvEEEESJ_SM_SN_mSO_SQ_bEUlT_E_NS1_11comp_targetILNS1_3genE5ELNS1_11target_archE942ELNS1_3gpuE9ELNS1_3repE0EEENS1_30default_config_static_selectorELNS0_4arch9wavefront6targetE1EEEvT1_,@function
_ZN7rocprim17ROCPRIM_400000_NS6detail17trampoline_kernelINS0_14default_configENS1_25transform_config_selectorIfLb0EEEZNS1_14transform_implILb0ES3_S5_NS0_18transform_iteratorINS0_17counting_iteratorImlEEZNS1_24adjacent_difference_implIS3_Lb1ELb0EPfN6thrust23THRUST_200600_302600_NS16discard_iteratorINSD_11use_defaultEEENSD_5minusIfEEEE10hipError_tPvRmT2_T3_mT4_P12ihipStream_tbEUlmE_fEESB_NS0_8identityIvEEEESJ_SM_SN_mSO_SQ_bEUlT_E_NS1_11comp_targetILNS1_3genE5ELNS1_11target_archE942ELNS1_3gpuE9ELNS1_3repE0EEENS1_30default_config_static_selectorELNS0_4arch9wavefront6targetE1EEEvT1_: ; @_ZN7rocprim17ROCPRIM_400000_NS6detail17trampoline_kernelINS0_14default_configENS1_25transform_config_selectorIfLb0EEEZNS1_14transform_implILb0ES3_S5_NS0_18transform_iteratorINS0_17counting_iteratorImlEEZNS1_24adjacent_difference_implIS3_Lb1ELb0EPfN6thrust23THRUST_200600_302600_NS16discard_iteratorINSD_11use_defaultEEENSD_5minusIfEEEE10hipError_tPvRmT2_T3_mT4_P12ihipStream_tbEUlmE_fEESB_NS0_8identityIvEEEESJ_SM_SN_mSO_SQ_bEUlT_E_NS1_11comp_targetILNS1_3genE5ELNS1_11target_archE942ELNS1_3gpuE9ELNS1_3repE0EEENS1_30default_config_static_selectorELNS0_4arch9wavefront6targetE1EEEvT1_
; %bb.0:
	s_load_dwordx4 s[8:11], s[0:1], 0x18
	s_load_dwordx2 s[14:15], s[0:1], 0x28
	s_load_dwordx4 s[4:7], s[0:1], 0x0
	s_load_dword s12, s[0:1], 0x10
	s_load_dword s3, s[0:1], 0x38
	s_waitcnt lgkmcnt(0)
	s_lshl_b64 s[0:1], s[8:9], 2
	s_add_u32 s18, s14, s0
	s_addc_u32 s19, s15, s1
	s_lshl_b32 s14, s2, 10
	s_add_i32 s3, s3, -1
	s_add_u32 s0, s4, s14
	s_addc_u32 s1, s5, 0
	s_add_u32 s16, s0, s8
	s_addc_u32 s17, s1, s9
	s_mov_b32 s15, 0
	s_cmp_lg_u32 s2, s3
	v_lshlrev_b32_e32 v6, 2, v0
	s_cbranch_scc0 .LBB769_2
; %bb.1:
	v_mov_b32_e32 v1, 0
	v_lshl_add_u64 v[2:3], s[16:17], 0, v[0:1]
	v_mad_u64_u32 v[4:5], s[0:1], v2, s12, 0
	v_mov_b32_e32 v2, v5
	v_mad_u64_u32 v[2:3], s[0:1], v3, s12, v[2:3]
	s_mov_b32 s13, s15
	v_mov_b32_e32 v5, v2
	v_lshl_add_u64 v[2:3], v[4:5], 2, s[6:7]
	s_lshl_b64 s[0:1], s[12:13], 10
	v_lshl_add_u64 v[4:5], v[2:3], 0, s[0:1]
	v_lshl_add_u64 v[8:9], v[4:5], 0, s[0:1]
	global_load_dword v10, v[2:3], off
	global_load_dword v11, v[4:5], off
	;; [unrolled: 1-line block ×3, first 2 shown]
	v_lshl_add_u64 v[2:3], v[8:9], 0, s[0:1]
	global_load_dword v2, v[2:3], off
	s_lshl_b64 s[2:3], s[14:15], 2
	s_add_u32 s2, s18, s2
	v_mov_b32_e32 v7, v1
	s_addc_u32 s3, s19, s3
	v_lshl_add_u64 v[8:9], s[2:3], 0, v[6:7]
	s_mov_b64 s[8:9], -1
	s_waitcnt vmcnt(3)
	global_store_dword v6, v10, s[2:3]
	s_waitcnt vmcnt(3)
	global_store_dword v6, v11, s[2:3] offset:1024
	s_waitcnt vmcnt(3)
	global_store_dword v6, v12, s[2:3] offset:2048
	s_cbranch_execz .LBB769_3
	s_branch .LBB769_17
.LBB769_2:
	s_mov_b64 s[8:9], 0
                                        ; implicit-def: $vgpr2
                                        ; implicit-def: $vgpr8_vgpr9
.LBB769_3:
	s_sub_i32 s10, s10, s14
	v_cmp_gt_u32_e32 vcc, s10, v0
                                        ; implicit-def: $vgpr2_vgpr3_vgpr4_vgpr5
	s_and_saveexec_b64 s[0:1], vcc
	s_cbranch_execz .LBB769_5
; %bb.4:
	v_mov_b32_e32 v1, 0
	s_waitcnt vmcnt(3)
	v_lshl_add_u64 v[2:3], s[16:17], 0, v[0:1]
	v_mad_u64_u32 v[4:5], s[2:3], v2, s12, 0
	v_mov_b32_e32 v2, v5
	v_mad_u64_u32 v[2:3], s[2:3], v3, s12, v[2:3]
	v_mov_b32_e32 v5, v2
	v_lshl_add_u64 v[2:3], v[4:5], 2, s[6:7]
	global_load_dword v2, v[2:3], off
.LBB769_5:
	s_or_b64 exec, exec, s[0:1]
	v_or_b32_e32 v8, 0x100, v0
	v_cmp_gt_u32_e64 s[0:1], s10, v8
	s_and_saveexec_b64 s[2:3], s[0:1]
	s_cbranch_execz .LBB769_7
; %bb.6:
	v_mov_b32_e32 v9, 0
	v_lshl_add_u64 v[8:9], s[16:17], 0, v[8:9]
	v_mad_u64_u32 v[10:11], s[4:5], v8, s12, 0
	v_mov_b32_e32 v8, v11
	v_mad_u64_u32 v[8:9], s[4:5], v9, s12, v[8:9]
	v_mov_b32_e32 v11, v8
	v_lshl_add_u64 v[8:9], v[10:11], 2, s[6:7]
	global_load_dword v3, v[8:9], off
.LBB769_7:
	s_or_b64 exec, exec, s[2:3]
	v_or_b32_e32 v8, 0x200, v0
	v_cmp_gt_u32_e64 s[2:3], s10, v8
	s_and_saveexec_b64 s[4:5], s[2:3]
	s_cbranch_execz .LBB769_9
; %bb.8:
	v_mov_b32_e32 v9, 0
	v_lshl_add_u64 v[8:9], s[16:17], 0, v[8:9]
	v_mad_u64_u32 v[10:11], s[20:21], v8, s12, 0
	v_mov_b32_e32 v4, v11
	v_mad_u64_u32 v[8:9], s[20:21], v9, s12, v[4:5]
	v_mov_b32_e32 v11, v8
	v_lshl_add_u64 v[8:9], v[10:11], 2, s[6:7]
	global_load_dword v4, v[8:9], off
.LBB769_9:
	;; [unrolled: 15-line block ×3, first 2 shown]
	s_or_b64 exec, exec, s[10:11]
	s_lshl_b64 s[6:7], s[14:15], 2
	s_add_u32 s6, s18, s6
	s_addc_u32 s7, s19, s7
	v_mov_b32_e32 v7, 0
	v_lshl_add_u64 v[8:9], s[6:7], 0, v[6:7]
	s_and_saveexec_b64 s[6:7], vcc
	s_cbranch_execnz .LBB769_20
; %bb.12:
	s_or_b64 exec, exec, s[6:7]
	s_and_saveexec_b64 s[6:7], s[0:1]
	s_cbranch_execnz .LBB769_21
.LBB769_13:
	s_or_b64 exec, exec, s[6:7]
	s_and_saveexec_b64 s[0:1], s[2:3]
	s_cbranch_execnz .LBB769_22
.LBB769_14:
	s_or_b64 exec, exec, s[0:1]
                                        ; implicit-def: $vgpr2
	s_and_saveexec_b64 s[0:1], s[4:5]
	s_cbranch_execz .LBB769_16
.LBB769_15:
	s_waitcnt vmcnt(0)
	v_cndmask_b32_e64 v2, v5, v5, s[4:5]
	s_or_b64 s[8:9], s[8:9], exec
.LBB769_16:
	s_or_b64 exec, exec, s[0:1]
.LBB769_17:
	s_and_saveexec_b64 s[0:1], s[8:9]
	s_cbranch_execnz .LBB769_19
; %bb.18:
	s_endpgm
.LBB769_19:
	s_waitcnt vmcnt(0)
	global_store_dword v[8:9], v2, off offset:3072
	s_endpgm
.LBB769_20:
	s_waitcnt vmcnt(0)
	global_store_dword v[8:9], v2, off
	s_or_b64 exec, exec, s[6:7]
	s_and_saveexec_b64 s[6:7], s[0:1]
	s_cbranch_execz .LBB769_13
.LBB769_21:
	s_waitcnt vmcnt(0)
	global_store_dword v[8:9], v3, off offset:1024
	s_or_b64 exec, exec, s[6:7]
	s_and_saveexec_b64 s[0:1], s[2:3]
	s_cbranch_execz .LBB769_14
.LBB769_22:
	s_waitcnt vmcnt(0)
	v_cndmask_b32_e64 v0, v4, v4, s[2:3]
	global_store_dword v[8:9], v0, off offset:2048
	s_or_b64 exec, exec, s[0:1]
                                        ; implicit-def: $vgpr2
	s_and_saveexec_b64 s[0:1], s[4:5]
	s_cbranch_execnz .LBB769_15
	s_branch .LBB769_16
	.section	.rodata,"a",@progbits
	.p2align	6, 0x0
	.amdhsa_kernel _ZN7rocprim17ROCPRIM_400000_NS6detail17trampoline_kernelINS0_14default_configENS1_25transform_config_selectorIfLb0EEEZNS1_14transform_implILb0ES3_S5_NS0_18transform_iteratorINS0_17counting_iteratorImlEEZNS1_24adjacent_difference_implIS3_Lb1ELb0EPfN6thrust23THRUST_200600_302600_NS16discard_iteratorINSD_11use_defaultEEENSD_5minusIfEEEE10hipError_tPvRmT2_T3_mT4_P12ihipStream_tbEUlmE_fEESB_NS0_8identityIvEEEESJ_SM_SN_mSO_SQ_bEUlT_E_NS1_11comp_targetILNS1_3genE5ELNS1_11target_archE942ELNS1_3gpuE9ELNS1_3repE0EEENS1_30default_config_static_selectorELNS0_4arch9wavefront6targetE1EEEvT1_
		.amdhsa_group_segment_fixed_size 0
		.amdhsa_private_segment_fixed_size 0
		.amdhsa_kernarg_size 312
		.amdhsa_user_sgpr_count 2
		.amdhsa_user_sgpr_dispatch_ptr 0
		.amdhsa_user_sgpr_queue_ptr 0
		.amdhsa_user_sgpr_kernarg_segment_ptr 1
		.amdhsa_user_sgpr_dispatch_id 0
		.amdhsa_user_sgpr_kernarg_preload_length 0
		.amdhsa_user_sgpr_kernarg_preload_offset 0
		.amdhsa_user_sgpr_private_segment_size 0
		.amdhsa_uses_dynamic_stack 0
		.amdhsa_enable_private_segment 0
		.amdhsa_system_sgpr_workgroup_id_x 1
		.amdhsa_system_sgpr_workgroup_id_y 0
		.amdhsa_system_sgpr_workgroup_id_z 0
		.amdhsa_system_sgpr_workgroup_info 0
		.amdhsa_system_vgpr_workitem_id 0
		.amdhsa_next_free_vgpr 13
		.amdhsa_next_free_sgpr 22
		.amdhsa_accum_offset 16
		.amdhsa_reserve_vcc 1
		.amdhsa_float_round_mode_32 0
		.amdhsa_float_round_mode_16_64 0
		.amdhsa_float_denorm_mode_32 3
		.amdhsa_float_denorm_mode_16_64 3
		.amdhsa_dx10_clamp 1
		.amdhsa_ieee_mode 1
		.amdhsa_fp16_overflow 0
		.amdhsa_tg_split 0
		.amdhsa_exception_fp_ieee_invalid_op 0
		.amdhsa_exception_fp_denorm_src 0
		.amdhsa_exception_fp_ieee_div_zero 0
		.amdhsa_exception_fp_ieee_overflow 0
		.amdhsa_exception_fp_ieee_underflow 0
		.amdhsa_exception_fp_ieee_inexact 0
		.amdhsa_exception_int_div_zero 0
	.end_amdhsa_kernel
	.section	.text._ZN7rocprim17ROCPRIM_400000_NS6detail17trampoline_kernelINS0_14default_configENS1_25transform_config_selectorIfLb0EEEZNS1_14transform_implILb0ES3_S5_NS0_18transform_iteratorINS0_17counting_iteratorImlEEZNS1_24adjacent_difference_implIS3_Lb1ELb0EPfN6thrust23THRUST_200600_302600_NS16discard_iteratorINSD_11use_defaultEEENSD_5minusIfEEEE10hipError_tPvRmT2_T3_mT4_P12ihipStream_tbEUlmE_fEESB_NS0_8identityIvEEEESJ_SM_SN_mSO_SQ_bEUlT_E_NS1_11comp_targetILNS1_3genE5ELNS1_11target_archE942ELNS1_3gpuE9ELNS1_3repE0EEENS1_30default_config_static_selectorELNS0_4arch9wavefront6targetE1EEEvT1_,"axG",@progbits,_ZN7rocprim17ROCPRIM_400000_NS6detail17trampoline_kernelINS0_14default_configENS1_25transform_config_selectorIfLb0EEEZNS1_14transform_implILb0ES3_S5_NS0_18transform_iteratorINS0_17counting_iteratorImlEEZNS1_24adjacent_difference_implIS3_Lb1ELb0EPfN6thrust23THRUST_200600_302600_NS16discard_iteratorINSD_11use_defaultEEENSD_5minusIfEEEE10hipError_tPvRmT2_T3_mT4_P12ihipStream_tbEUlmE_fEESB_NS0_8identityIvEEEESJ_SM_SN_mSO_SQ_bEUlT_E_NS1_11comp_targetILNS1_3genE5ELNS1_11target_archE942ELNS1_3gpuE9ELNS1_3repE0EEENS1_30default_config_static_selectorELNS0_4arch9wavefront6targetE1EEEvT1_,comdat
.Lfunc_end769:
	.size	_ZN7rocprim17ROCPRIM_400000_NS6detail17trampoline_kernelINS0_14default_configENS1_25transform_config_selectorIfLb0EEEZNS1_14transform_implILb0ES3_S5_NS0_18transform_iteratorINS0_17counting_iteratorImlEEZNS1_24adjacent_difference_implIS3_Lb1ELb0EPfN6thrust23THRUST_200600_302600_NS16discard_iteratorINSD_11use_defaultEEENSD_5minusIfEEEE10hipError_tPvRmT2_T3_mT4_P12ihipStream_tbEUlmE_fEESB_NS0_8identityIvEEEESJ_SM_SN_mSO_SQ_bEUlT_E_NS1_11comp_targetILNS1_3genE5ELNS1_11target_archE942ELNS1_3gpuE9ELNS1_3repE0EEENS1_30default_config_static_selectorELNS0_4arch9wavefront6targetE1EEEvT1_, .Lfunc_end769-_ZN7rocprim17ROCPRIM_400000_NS6detail17trampoline_kernelINS0_14default_configENS1_25transform_config_selectorIfLb0EEEZNS1_14transform_implILb0ES3_S5_NS0_18transform_iteratorINS0_17counting_iteratorImlEEZNS1_24adjacent_difference_implIS3_Lb1ELb0EPfN6thrust23THRUST_200600_302600_NS16discard_iteratorINSD_11use_defaultEEENSD_5minusIfEEEE10hipError_tPvRmT2_T3_mT4_P12ihipStream_tbEUlmE_fEESB_NS0_8identityIvEEEESJ_SM_SN_mSO_SQ_bEUlT_E_NS1_11comp_targetILNS1_3genE5ELNS1_11target_archE942ELNS1_3gpuE9ELNS1_3repE0EEENS1_30default_config_static_selectorELNS0_4arch9wavefront6targetE1EEEvT1_
                                        ; -- End function
	.section	.AMDGPU.csdata,"",@progbits
; Kernel info:
; codeLenInByte = 796
; NumSgprs: 28
; NumVgprs: 13
; NumAgprs: 0
; TotalNumVgprs: 13
; ScratchSize: 0
; MemoryBound: 0
; FloatMode: 240
; IeeeMode: 1
; LDSByteSize: 0 bytes/workgroup (compile time only)
; SGPRBlocks: 3
; VGPRBlocks: 1
; NumSGPRsForWavesPerEU: 28
; NumVGPRsForWavesPerEU: 13
; AccumOffset: 16
; Occupancy: 8
; WaveLimiterHint : 1
; COMPUTE_PGM_RSRC2:SCRATCH_EN: 0
; COMPUTE_PGM_RSRC2:USER_SGPR: 2
; COMPUTE_PGM_RSRC2:TRAP_HANDLER: 0
; COMPUTE_PGM_RSRC2:TGID_X_EN: 1
; COMPUTE_PGM_RSRC2:TGID_Y_EN: 0
; COMPUTE_PGM_RSRC2:TGID_Z_EN: 0
; COMPUTE_PGM_RSRC2:TIDIG_COMP_CNT: 0
; COMPUTE_PGM_RSRC3_GFX90A:ACCUM_OFFSET: 3
; COMPUTE_PGM_RSRC3_GFX90A:TG_SPLIT: 0
	.section	.text._ZN7rocprim17ROCPRIM_400000_NS6detail17trampoline_kernelINS0_14default_configENS1_25transform_config_selectorIfLb0EEEZNS1_14transform_implILb0ES3_S5_NS0_18transform_iteratorINS0_17counting_iteratorImlEEZNS1_24adjacent_difference_implIS3_Lb1ELb0EPfN6thrust23THRUST_200600_302600_NS16discard_iteratorINSD_11use_defaultEEENSD_5minusIfEEEE10hipError_tPvRmT2_T3_mT4_P12ihipStream_tbEUlmE_fEESB_NS0_8identityIvEEEESJ_SM_SN_mSO_SQ_bEUlT_E_NS1_11comp_targetILNS1_3genE4ELNS1_11target_archE910ELNS1_3gpuE8ELNS1_3repE0EEENS1_30default_config_static_selectorELNS0_4arch9wavefront6targetE1EEEvT1_,"axG",@progbits,_ZN7rocprim17ROCPRIM_400000_NS6detail17trampoline_kernelINS0_14default_configENS1_25transform_config_selectorIfLb0EEEZNS1_14transform_implILb0ES3_S5_NS0_18transform_iteratorINS0_17counting_iteratorImlEEZNS1_24adjacent_difference_implIS3_Lb1ELb0EPfN6thrust23THRUST_200600_302600_NS16discard_iteratorINSD_11use_defaultEEENSD_5minusIfEEEE10hipError_tPvRmT2_T3_mT4_P12ihipStream_tbEUlmE_fEESB_NS0_8identityIvEEEESJ_SM_SN_mSO_SQ_bEUlT_E_NS1_11comp_targetILNS1_3genE4ELNS1_11target_archE910ELNS1_3gpuE8ELNS1_3repE0EEENS1_30default_config_static_selectorELNS0_4arch9wavefront6targetE1EEEvT1_,comdat
	.protected	_ZN7rocprim17ROCPRIM_400000_NS6detail17trampoline_kernelINS0_14default_configENS1_25transform_config_selectorIfLb0EEEZNS1_14transform_implILb0ES3_S5_NS0_18transform_iteratorINS0_17counting_iteratorImlEEZNS1_24adjacent_difference_implIS3_Lb1ELb0EPfN6thrust23THRUST_200600_302600_NS16discard_iteratorINSD_11use_defaultEEENSD_5minusIfEEEE10hipError_tPvRmT2_T3_mT4_P12ihipStream_tbEUlmE_fEESB_NS0_8identityIvEEEESJ_SM_SN_mSO_SQ_bEUlT_E_NS1_11comp_targetILNS1_3genE4ELNS1_11target_archE910ELNS1_3gpuE8ELNS1_3repE0EEENS1_30default_config_static_selectorELNS0_4arch9wavefront6targetE1EEEvT1_ ; -- Begin function _ZN7rocprim17ROCPRIM_400000_NS6detail17trampoline_kernelINS0_14default_configENS1_25transform_config_selectorIfLb0EEEZNS1_14transform_implILb0ES3_S5_NS0_18transform_iteratorINS0_17counting_iteratorImlEEZNS1_24adjacent_difference_implIS3_Lb1ELb0EPfN6thrust23THRUST_200600_302600_NS16discard_iteratorINSD_11use_defaultEEENSD_5minusIfEEEE10hipError_tPvRmT2_T3_mT4_P12ihipStream_tbEUlmE_fEESB_NS0_8identityIvEEEESJ_SM_SN_mSO_SQ_bEUlT_E_NS1_11comp_targetILNS1_3genE4ELNS1_11target_archE910ELNS1_3gpuE8ELNS1_3repE0EEENS1_30default_config_static_selectorELNS0_4arch9wavefront6targetE1EEEvT1_
	.globl	_ZN7rocprim17ROCPRIM_400000_NS6detail17trampoline_kernelINS0_14default_configENS1_25transform_config_selectorIfLb0EEEZNS1_14transform_implILb0ES3_S5_NS0_18transform_iteratorINS0_17counting_iteratorImlEEZNS1_24adjacent_difference_implIS3_Lb1ELb0EPfN6thrust23THRUST_200600_302600_NS16discard_iteratorINSD_11use_defaultEEENSD_5minusIfEEEE10hipError_tPvRmT2_T3_mT4_P12ihipStream_tbEUlmE_fEESB_NS0_8identityIvEEEESJ_SM_SN_mSO_SQ_bEUlT_E_NS1_11comp_targetILNS1_3genE4ELNS1_11target_archE910ELNS1_3gpuE8ELNS1_3repE0EEENS1_30default_config_static_selectorELNS0_4arch9wavefront6targetE1EEEvT1_
	.p2align	8
	.type	_ZN7rocprim17ROCPRIM_400000_NS6detail17trampoline_kernelINS0_14default_configENS1_25transform_config_selectorIfLb0EEEZNS1_14transform_implILb0ES3_S5_NS0_18transform_iteratorINS0_17counting_iteratorImlEEZNS1_24adjacent_difference_implIS3_Lb1ELb0EPfN6thrust23THRUST_200600_302600_NS16discard_iteratorINSD_11use_defaultEEENSD_5minusIfEEEE10hipError_tPvRmT2_T3_mT4_P12ihipStream_tbEUlmE_fEESB_NS0_8identityIvEEEESJ_SM_SN_mSO_SQ_bEUlT_E_NS1_11comp_targetILNS1_3genE4ELNS1_11target_archE910ELNS1_3gpuE8ELNS1_3repE0EEENS1_30default_config_static_selectorELNS0_4arch9wavefront6targetE1EEEvT1_,@function
_ZN7rocprim17ROCPRIM_400000_NS6detail17trampoline_kernelINS0_14default_configENS1_25transform_config_selectorIfLb0EEEZNS1_14transform_implILb0ES3_S5_NS0_18transform_iteratorINS0_17counting_iteratorImlEEZNS1_24adjacent_difference_implIS3_Lb1ELb0EPfN6thrust23THRUST_200600_302600_NS16discard_iteratorINSD_11use_defaultEEENSD_5minusIfEEEE10hipError_tPvRmT2_T3_mT4_P12ihipStream_tbEUlmE_fEESB_NS0_8identityIvEEEESJ_SM_SN_mSO_SQ_bEUlT_E_NS1_11comp_targetILNS1_3genE4ELNS1_11target_archE910ELNS1_3gpuE8ELNS1_3repE0EEENS1_30default_config_static_selectorELNS0_4arch9wavefront6targetE1EEEvT1_: ; @_ZN7rocprim17ROCPRIM_400000_NS6detail17trampoline_kernelINS0_14default_configENS1_25transform_config_selectorIfLb0EEEZNS1_14transform_implILb0ES3_S5_NS0_18transform_iteratorINS0_17counting_iteratorImlEEZNS1_24adjacent_difference_implIS3_Lb1ELb0EPfN6thrust23THRUST_200600_302600_NS16discard_iteratorINSD_11use_defaultEEENSD_5minusIfEEEE10hipError_tPvRmT2_T3_mT4_P12ihipStream_tbEUlmE_fEESB_NS0_8identityIvEEEESJ_SM_SN_mSO_SQ_bEUlT_E_NS1_11comp_targetILNS1_3genE4ELNS1_11target_archE910ELNS1_3gpuE8ELNS1_3repE0EEENS1_30default_config_static_selectorELNS0_4arch9wavefront6targetE1EEEvT1_
; %bb.0:
	.section	.rodata,"a",@progbits
	.p2align	6, 0x0
	.amdhsa_kernel _ZN7rocprim17ROCPRIM_400000_NS6detail17trampoline_kernelINS0_14default_configENS1_25transform_config_selectorIfLb0EEEZNS1_14transform_implILb0ES3_S5_NS0_18transform_iteratorINS0_17counting_iteratorImlEEZNS1_24adjacent_difference_implIS3_Lb1ELb0EPfN6thrust23THRUST_200600_302600_NS16discard_iteratorINSD_11use_defaultEEENSD_5minusIfEEEE10hipError_tPvRmT2_T3_mT4_P12ihipStream_tbEUlmE_fEESB_NS0_8identityIvEEEESJ_SM_SN_mSO_SQ_bEUlT_E_NS1_11comp_targetILNS1_3genE4ELNS1_11target_archE910ELNS1_3gpuE8ELNS1_3repE0EEENS1_30default_config_static_selectorELNS0_4arch9wavefront6targetE1EEEvT1_
		.amdhsa_group_segment_fixed_size 0
		.amdhsa_private_segment_fixed_size 0
		.amdhsa_kernarg_size 56
		.amdhsa_user_sgpr_count 2
		.amdhsa_user_sgpr_dispatch_ptr 0
		.amdhsa_user_sgpr_queue_ptr 0
		.amdhsa_user_sgpr_kernarg_segment_ptr 1
		.amdhsa_user_sgpr_dispatch_id 0
		.amdhsa_user_sgpr_kernarg_preload_length 0
		.amdhsa_user_sgpr_kernarg_preload_offset 0
		.amdhsa_user_sgpr_private_segment_size 0
		.amdhsa_uses_dynamic_stack 0
		.amdhsa_enable_private_segment 0
		.amdhsa_system_sgpr_workgroup_id_x 1
		.amdhsa_system_sgpr_workgroup_id_y 0
		.amdhsa_system_sgpr_workgroup_id_z 0
		.amdhsa_system_sgpr_workgroup_info 0
		.amdhsa_system_vgpr_workitem_id 0
		.amdhsa_next_free_vgpr 1
		.amdhsa_next_free_sgpr 0
		.amdhsa_accum_offset 4
		.amdhsa_reserve_vcc 0
		.amdhsa_float_round_mode_32 0
		.amdhsa_float_round_mode_16_64 0
		.amdhsa_float_denorm_mode_32 3
		.amdhsa_float_denorm_mode_16_64 3
		.amdhsa_dx10_clamp 1
		.amdhsa_ieee_mode 1
		.amdhsa_fp16_overflow 0
		.amdhsa_tg_split 0
		.amdhsa_exception_fp_ieee_invalid_op 0
		.amdhsa_exception_fp_denorm_src 0
		.amdhsa_exception_fp_ieee_div_zero 0
		.amdhsa_exception_fp_ieee_overflow 0
		.amdhsa_exception_fp_ieee_underflow 0
		.amdhsa_exception_fp_ieee_inexact 0
		.amdhsa_exception_int_div_zero 0
	.end_amdhsa_kernel
	.section	.text._ZN7rocprim17ROCPRIM_400000_NS6detail17trampoline_kernelINS0_14default_configENS1_25transform_config_selectorIfLb0EEEZNS1_14transform_implILb0ES3_S5_NS0_18transform_iteratorINS0_17counting_iteratorImlEEZNS1_24adjacent_difference_implIS3_Lb1ELb0EPfN6thrust23THRUST_200600_302600_NS16discard_iteratorINSD_11use_defaultEEENSD_5minusIfEEEE10hipError_tPvRmT2_T3_mT4_P12ihipStream_tbEUlmE_fEESB_NS0_8identityIvEEEESJ_SM_SN_mSO_SQ_bEUlT_E_NS1_11comp_targetILNS1_3genE4ELNS1_11target_archE910ELNS1_3gpuE8ELNS1_3repE0EEENS1_30default_config_static_selectorELNS0_4arch9wavefront6targetE1EEEvT1_,"axG",@progbits,_ZN7rocprim17ROCPRIM_400000_NS6detail17trampoline_kernelINS0_14default_configENS1_25transform_config_selectorIfLb0EEEZNS1_14transform_implILb0ES3_S5_NS0_18transform_iteratorINS0_17counting_iteratorImlEEZNS1_24adjacent_difference_implIS3_Lb1ELb0EPfN6thrust23THRUST_200600_302600_NS16discard_iteratorINSD_11use_defaultEEENSD_5minusIfEEEE10hipError_tPvRmT2_T3_mT4_P12ihipStream_tbEUlmE_fEESB_NS0_8identityIvEEEESJ_SM_SN_mSO_SQ_bEUlT_E_NS1_11comp_targetILNS1_3genE4ELNS1_11target_archE910ELNS1_3gpuE8ELNS1_3repE0EEENS1_30default_config_static_selectorELNS0_4arch9wavefront6targetE1EEEvT1_,comdat
.Lfunc_end770:
	.size	_ZN7rocprim17ROCPRIM_400000_NS6detail17trampoline_kernelINS0_14default_configENS1_25transform_config_selectorIfLb0EEEZNS1_14transform_implILb0ES3_S5_NS0_18transform_iteratorINS0_17counting_iteratorImlEEZNS1_24adjacent_difference_implIS3_Lb1ELb0EPfN6thrust23THRUST_200600_302600_NS16discard_iteratorINSD_11use_defaultEEENSD_5minusIfEEEE10hipError_tPvRmT2_T3_mT4_P12ihipStream_tbEUlmE_fEESB_NS0_8identityIvEEEESJ_SM_SN_mSO_SQ_bEUlT_E_NS1_11comp_targetILNS1_3genE4ELNS1_11target_archE910ELNS1_3gpuE8ELNS1_3repE0EEENS1_30default_config_static_selectorELNS0_4arch9wavefront6targetE1EEEvT1_, .Lfunc_end770-_ZN7rocprim17ROCPRIM_400000_NS6detail17trampoline_kernelINS0_14default_configENS1_25transform_config_selectorIfLb0EEEZNS1_14transform_implILb0ES3_S5_NS0_18transform_iteratorINS0_17counting_iteratorImlEEZNS1_24adjacent_difference_implIS3_Lb1ELb0EPfN6thrust23THRUST_200600_302600_NS16discard_iteratorINSD_11use_defaultEEENSD_5minusIfEEEE10hipError_tPvRmT2_T3_mT4_P12ihipStream_tbEUlmE_fEESB_NS0_8identityIvEEEESJ_SM_SN_mSO_SQ_bEUlT_E_NS1_11comp_targetILNS1_3genE4ELNS1_11target_archE910ELNS1_3gpuE8ELNS1_3repE0EEENS1_30default_config_static_selectorELNS0_4arch9wavefront6targetE1EEEvT1_
                                        ; -- End function
	.section	.AMDGPU.csdata,"",@progbits
; Kernel info:
; codeLenInByte = 0
; NumSgprs: 6
; NumVgprs: 0
; NumAgprs: 0
; TotalNumVgprs: 0
; ScratchSize: 0
; MemoryBound: 0
; FloatMode: 240
; IeeeMode: 1
; LDSByteSize: 0 bytes/workgroup (compile time only)
; SGPRBlocks: 0
; VGPRBlocks: 0
; NumSGPRsForWavesPerEU: 6
; NumVGPRsForWavesPerEU: 1
; AccumOffset: 4
; Occupancy: 8
; WaveLimiterHint : 0
; COMPUTE_PGM_RSRC2:SCRATCH_EN: 0
; COMPUTE_PGM_RSRC2:USER_SGPR: 2
; COMPUTE_PGM_RSRC2:TRAP_HANDLER: 0
; COMPUTE_PGM_RSRC2:TGID_X_EN: 1
; COMPUTE_PGM_RSRC2:TGID_Y_EN: 0
; COMPUTE_PGM_RSRC2:TGID_Z_EN: 0
; COMPUTE_PGM_RSRC2:TIDIG_COMP_CNT: 0
; COMPUTE_PGM_RSRC3_GFX90A:ACCUM_OFFSET: 0
; COMPUTE_PGM_RSRC3_GFX90A:TG_SPLIT: 0
	.section	.text._ZN7rocprim17ROCPRIM_400000_NS6detail17trampoline_kernelINS0_14default_configENS1_25transform_config_selectorIfLb0EEEZNS1_14transform_implILb0ES3_S5_NS0_18transform_iteratorINS0_17counting_iteratorImlEEZNS1_24adjacent_difference_implIS3_Lb1ELb0EPfN6thrust23THRUST_200600_302600_NS16discard_iteratorINSD_11use_defaultEEENSD_5minusIfEEEE10hipError_tPvRmT2_T3_mT4_P12ihipStream_tbEUlmE_fEESB_NS0_8identityIvEEEESJ_SM_SN_mSO_SQ_bEUlT_E_NS1_11comp_targetILNS1_3genE3ELNS1_11target_archE908ELNS1_3gpuE7ELNS1_3repE0EEENS1_30default_config_static_selectorELNS0_4arch9wavefront6targetE1EEEvT1_,"axG",@progbits,_ZN7rocprim17ROCPRIM_400000_NS6detail17trampoline_kernelINS0_14default_configENS1_25transform_config_selectorIfLb0EEEZNS1_14transform_implILb0ES3_S5_NS0_18transform_iteratorINS0_17counting_iteratorImlEEZNS1_24adjacent_difference_implIS3_Lb1ELb0EPfN6thrust23THRUST_200600_302600_NS16discard_iteratorINSD_11use_defaultEEENSD_5minusIfEEEE10hipError_tPvRmT2_T3_mT4_P12ihipStream_tbEUlmE_fEESB_NS0_8identityIvEEEESJ_SM_SN_mSO_SQ_bEUlT_E_NS1_11comp_targetILNS1_3genE3ELNS1_11target_archE908ELNS1_3gpuE7ELNS1_3repE0EEENS1_30default_config_static_selectorELNS0_4arch9wavefront6targetE1EEEvT1_,comdat
	.protected	_ZN7rocprim17ROCPRIM_400000_NS6detail17trampoline_kernelINS0_14default_configENS1_25transform_config_selectorIfLb0EEEZNS1_14transform_implILb0ES3_S5_NS0_18transform_iteratorINS0_17counting_iteratorImlEEZNS1_24adjacent_difference_implIS3_Lb1ELb0EPfN6thrust23THRUST_200600_302600_NS16discard_iteratorINSD_11use_defaultEEENSD_5minusIfEEEE10hipError_tPvRmT2_T3_mT4_P12ihipStream_tbEUlmE_fEESB_NS0_8identityIvEEEESJ_SM_SN_mSO_SQ_bEUlT_E_NS1_11comp_targetILNS1_3genE3ELNS1_11target_archE908ELNS1_3gpuE7ELNS1_3repE0EEENS1_30default_config_static_selectorELNS0_4arch9wavefront6targetE1EEEvT1_ ; -- Begin function _ZN7rocprim17ROCPRIM_400000_NS6detail17trampoline_kernelINS0_14default_configENS1_25transform_config_selectorIfLb0EEEZNS1_14transform_implILb0ES3_S5_NS0_18transform_iteratorINS0_17counting_iteratorImlEEZNS1_24adjacent_difference_implIS3_Lb1ELb0EPfN6thrust23THRUST_200600_302600_NS16discard_iteratorINSD_11use_defaultEEENSD_5minusIfEEEE10hipError_tPvRmT2_T3_mT4_P12ihipStream_tbEUlmE_fEESB_NS0_8identityIvEEEESJ_SM_SN_mSO_SQ_bEUlT_E_NS1_11comp_targetILNS1_3genE3ELNS1_11target_archE908ELNS1_3gpuE7ELNS1_3repE0EEENS1_30default_config_static_selectorELNS0_4arch9wavefront6targetE1EEEvT1_
	.globl	_ZN7rocprim17ROCPRIM_400000_NS6detail17trampoline_kernelINS0_14default_configENS1_25transform_config_selectorIfLb0EEEZNS1_14transform_implILb0ES3_S5_NS0_18transform_iteratorINS0_17counting_iteratorImlEEZNS1_24adjacent_difference_implIS3_Lb1ELb0EPfN6thrust23THRUST_200600_302600_NS16discard_iteratorINSD_11use_defaultEEENSD_5minusIfEEEE10hipError_tPvRmT2_T3_mT4_P12ihipStream_tbEUlmE_fEESB_NS0_8identityIvEEEESJ_SM_SN_mSO_SQ_bEUlT_E_NS1_11comp_targetILNS1_3genE3ELNS1_11target_archE908ELNS1_3gpuE7ELNS1_3repE0EEENS1_30default_config_static_selectorELNS0_4arch9wavefront6targetE1EEEvT1_
	.p2align	8
	.type	_ZN7rocprim17ROCPRIM_400000_NS6detail17trampoline_kernelINS0_14default_configENS1_25transform_config_selectorIfLb0EEEZNS1_14transform_implILb0ES3_S5_NS0_18transform_iteratorINS0_17counting_iteratorImlEEZNS1_24adjacent_difference_implIS3_Lb1ELb0EPfN6thrust23THRUST_200600_302600_NS16discard_iteratorINSD_11use_defaultEEENSD_5minusIfEEEE10hipError_tPvRmT2_T3_mT4_P12ihipStream_tbEUlmE_fEESB_NS0_8identityIvEEEESJ_SM_SN_mSO_SQ_bEUlT_E_NS1_11comp_targetILNS1_3genE3ELNS1_11target_archE908ELNS1_3gpuE7ELNS1_3repE0EEENS1_30default_config_static_selectorELNS0_4arch9wavefront6targetE1EEEvT1_,@function
_ZN7rocprim17ROCPRIM_400000_NS6detail17trampoline_kernelINS0_14default_configENS1_25transform_config_selectorIfLb0EEEZNS1_14transform_implILb0ES3_S5_NS0_18transform_iteratorINS0_17counting_iteratorImlEEZNS1_24adjacent_difference_implIS3_Lb1ELb0EPfN6thrust23THRUST_200600_302600_NS16discard_iteratorINSD_11use_defaultEEENSD_5minusIfEEEE10hipError_tPvRmT2_T3_mT4_P12ihipStream_tbEUlmE_fEESB_NS0_8identityIvEEEESJ_SM_SN_mSO_SQ_bEUlT_E_NS1_11comp_targetILNS1_3genE3ELNS1_11target_archE908ELNS1_3gpuE7ELNS1_3repE0EEENS1_30default_config_static_selectorELNS0_4arch9wavefront6targetE1EEEvT1_: ; @_ZN7rocprim17ROCPRIM_400000_NS6detail17trampoline_kernelINS0_14default_configENS1_25transform_config_selectorIfLb0EEEZNS1_14transform_implILb0ES3_S5_NS0_18transform_iteratorINS0_17counting_iteratorImlEEZNS1_24adjacent_difference_implIS3_Lb1ELb0EPfN6thrust23THRUST_200600_302600_NS16discard_iteratorINSD_11use_defaultEEENSD_5minusIfEEEE10hipError_tPvRmT2_T3_mT4_P12ihipStream_tbEUlmE_fEESB_NS0_8identityIvEEEESJ_SM_SN_mSO_SQ_bEUlT_E_NS1_11comp_targetILNS1_3genE3ELNS1_11target_archE908ELNS1_3gpuE7ELNS1_3repE0EEENS1_30default_config_static_selectorELNS0_4arch9wavefront6targetE1EEEvT1_
; %bb.0:
	.section	.rodata,"a",@progbits
	.p2align	6, 0x0
	.amdhsa_kernel _ZN7rocprim17ROCPRIM_400000_NS6detail17trampoline_kernelINS0_14default_configENS1_25transform_config_selectorIfLb0EEEZNS1_14transform_implILb0ES3_S5_NS0_18transform_iteratorINS0_17counting_iteratorImlEEZNS1_24adjacent_difference_implIS3_Lb1ELb0EPfN6thrust23THRUST_200600_302600_NS16discard_iteratorINSD_11use_defaultEEENSD_5minusIfEEEE10hipError_tPvRmT2_T3_mT4_P12ihipStream_tbEUlmE_fEESB_NS0_8identityIvEEEESJ_SM_SN_mSO_SQ_bEUlT_E_NS1_11comp_targetILNS1_3genE3ELNS1_11target_archE908ELNS1_3gpuE7ELNS1_3repE0EEENS1_30default_config_static_selectorELNS0_4arch9wavefront6targetE1EEEvT1_
		.amdhsa_group_segment_fixed_size 0
		.amdhsa_private_segment_fixed_size 0
		.amdhsa_kernarg_size 56
		.amdhsa_user_sgpr_count 2
		.amdhsa_user_sgpr_dispatch_ptr 0
		.amdhsa_user_sgpr_queue_ptr 0
		.amdhsa_user_sgpr_kernarg_segment_ptr 1
		.amdhsa_user_sgpr_dispatch_id 0
		.amdhsa_user_sgpr_kernarg_preload_length 0
		.amdhsa_user_sgpr_kernarg_preload_offset 0
		.amdhsa_user_sgpr_private_segment_size 0
		.amdhsa_uses_dynamic_stack 0
		.amdhsa_enable_private_segment 0
		.amdhsa_system_sgpr_workgroup_id_x 1
		.amdhsa_system_sgpr_workgroup_id_y 0
		.amdhsa_system_sgpr_workgroup_id_z 0
		.amdhsa_system_sgpr_workgroup_info 0
		.amdhsa_system_vgpr_workitem_id 0
		.amdhsa_next_free_vgpr 1
		.amdhsa_next_free_sgpr 0
		.amdhsa_accum_offset 4
		.amdhsa_reserve_vcc 0
		.amdhsa_float_round_mode_32 0
		.amdhsa_float_round_mode_16_64 0
		.amdhsa_float_denorm_mode_32 3
		.amdhsa_float_denorm_mode_16_64 3
		.amdhsa_dx10_clamp 1
		.amdhsa_ieee_mode 1
		.amdhsa_fp16_overflow 0
		.amdhsa_tg_split 0
		.amdhsa_exception_fp_ieee_invalid_op 0
		.amdhsa_exception_fp_denorm_src 0
		.amdhsa_exception_fp_ieee_div_zero 0
		.amdhsa_exception_fp_ieee_overflow 0
		.amdhsa_exception_fp_ieee_underflow 0
		.amdhsa_exception_fp_ieee_inexact 0
		.amdhsa_exception_int_div_zero 0
	.end_amdhsa_kernel
	.section	.text._ZN7rocprim17ROCPRIM_400000_NS6detail17trampoline_kernelINS0_14default_configENS1_25transform_config_selectorIfLb0EEEZNS1_14transform_implILb0ES3_S5_NS0_18transform_iteratorINS0_17counting_iteratorImlEEZNS1_24adjacent_difference_implIS3_Lb1ELb0EPfN6thrust23THRUST_200600_302600_NS16discard_iteratorINSD_11use_defaultEEENSD_5minusIfEEEE10hipError_tPvRmT2_T3_mT4_P12ihipStream_tbEUlmE_fEESB_NS0_8identityIvEEEESJ_SM_SN_mSO_SQ_bEUlT_E_NS1_11comp_targetILNS1_3genE3ELNS1_11target_archE908ELNS1_3gpuE7ELNS1_3repE0EEENS1_30default_config_static_selectorELNS0_4arch9wavefront6targetE1EEEvT1_,"axG",@progbits,_ZN7rocprim17ROCPRIM_400000_NS6detail17trampoline_kernelINS0_14default_configENS1_25transform_config_selectorIfLb0EEEZNS1_14transform_implILb0ES3_S5_NS0_18transform_iteratorINS0_17counting_iteratorImlEEZNS1_24adjacent_difference_implIS3_Lb1ELb0EPfN6thrust23THRUST_200600_302600_NS16discard_iteratorINSD_11use_defaultEEENSD_5minusIfEEEE10hipError_tPvRmT2_T3_mT4_P12ihipStream_tbEUlmE_fEESB_NS0_8identityIvEEEESJ_SM_SN_mSO_SQ_bEUlT_E_NS1_11comp_targetILNS1_3genE3ELNS1_11target_archE908ELNS1_3gpuE7ELNS1_3repE0EEENS1_30default_config_static_selectorELNS0_4arch9wavefront6targetE1EEEvT1_,comdat
.Lfunc_end771:
	.size	_ZN7rocprim17ROCPRIM_400000_NS6detail17trampoline_kernelINS0_14default_configENS1_25transform_config_selectorIfLb0EEEZNS1_14transform_implILb0ES3_S5_NS0_18transform_iteratorINS0_17counting_iteratorImlEEZNS1_24adjacent_difference_implIS3_Lb1ELb0EPfN6thrust23THRUST_200600_302600_NS16discard_iteratorINSD_11use_defaultEEENSD_5minusIfEEEE10hipError_tPvRmT2_T3_mT4_P12ihipStream_tbEUlmE_fEESB_NS0_8identityIvEEEESJ_SM_SN_mSO_SQ_bEUlT_E_NS1_11comp_targetILNS1_3genE3ELNS1_11target_archE908ELNS1_3gpuE7ELNS1_3repE0EEENS1_30default_config_static_selectorELNS0_4arch9wavefront6targetE1EEEvT1_, .Lfunc_end771-_ZN7rocprim17ROCPRIM_400000_NS6detail17trampoline_kernelINS0_14default_configENS1_25transform_config_selectorIfLb0EEEZNS1_14transform_implILb0ES3_S5_NS0_18transform_iteratorINS0_17counting_iteratorImlEEZNS1_24adjacent_difference_implIS3_Lb1ELb0EPfN6thrust23THRUST_200600_302600_NS16discard_iteratorINSD_11use_defaultEEENSD_5minusIfEEEE10hipError_tPvRmT2_T3_mT4_P12ihipStream_tbEUlmE_fEESB_NS0_8identityIvEEEESJ_SM_SN_mSO_SQ_bEUlT_E_NS1_11comp_targetILNS1_3genE3ELNS1_11target_archE908ELNS1_3gpuE7ELNS1_3repE0EEENS1_30default_config_static_selectorELNS0_4arch9wavefront6targetE1EEEvT1_
                                        ; -- End function
	.section	.AMDGPU.csdata,"",@progbits
; Kernel info:
; codeLenInByte = 0
; NumSgprs: 6
; NumVgprs: 0
; NumAgprs: 0
; TotalNumVgprs: 0
; ScratchSize: 0
; MemoryBound: 0
; FloatMode: 240
; IeeeMode: 1
; LDSByteSize: 0 bytes/workgroup (compile time only)
; SGPRBlocks: 0
; VGPRBlocks: 0
; NumSGPRsForWavesPerEU: 6
; NumVGPRsForWavesPerEU: 1
; AccumOffset: 4
; Occupancy: 8
; WaveLimiterHint : 0
; COMPUTE_PGM_RSRC2:SCRATCH_EN: 0
; COMPUTE_PGM_RSRC2:USER_SGPR: 2
; COMPUTE_PGM_RSRC2:TRAP_HANDLER: 0
; COMPUTE_PGM_RSRC2:TGID_X_EN: 1
; COMPUTE_PGM_RSRC2:TGID_Y_EN: 0
; COMPUTE_PGM_RSRC2:TGID_Z_EN: 0
; COMPUTE_PGM_RSRC2:TIDIG_COMP_CNT: 0
; COMPUTE_PGM_RSRC3_GFX90A:ACCUM_OFFSET: 0
; COMPUTE_PGM_RSRC3_GFX90A:TG_SPLIT: 0
	.section	.text._ZN7rocprim17ROCPRIM_400000_NS6detail17trampoline_kernelINS0_14default_configENS1_25transform_config_selectorIfLb0EEEZNS1_14transform_implILb0ES3_S5_NS0_18transform_iteratorINS0_17counting_iteratorImlEEZNS1_24adjacent_difference_implIS3_Lb1ELb0EPfN6thrust23THRUST_200600_302600_NS16discard_iteratorINSD_11use_defaultEEENSD_5minusIfEEEE10hipError_tPvRmT2_T3_mT4_P12ihipStream_tbEUlmE_fEESB_NS0_8identityIvEEEESJ_SM_SN_mSO_SQ_bEUlT_E_NS1_11comp_targetILNS1_3genE2ELNS1_11target_archE906ELNS1_3gpuE6ELNS1_3repE0EEENS1_30default_config_static_selectorELNS0_4arch9wavefront6targetE1EEEvT1_,"axG",@progbits,_ZN7rocprim17ROCPRIM_400000_NS6detail17trampoline_kernelINS0_14default_configENS1_25transform_config_selectorIfLb0EEEZNS1_14transform_implILb0ES3_S5_NS0_18transform_iteratorINS0_17counting_iteratorImlEEZNS1_24adjacent_difference_implIS3_Lb1ELb0EPfN6thrust23THRUST_200600_302600_NS16discard_iteratorINSD_11use_defaultEEENSD_5minusIfEEEE10hipError_tPvRmT2_T3_mT4_P12ihipStream_tbEUlmE_fEESB_NS0_8identityIvEEEESJ_SM_SN_mSO_SQ_bEUlT_E_NS1_11comp_targetILNS1_3genE2ELNS1_11target_archE906ELNS1_3gpuE6ELNS1_3repE0EEENS1_30default_config_static_selectorELNS0_4arch9wavefront6targetE1EEEvT1_,comdat
	.protected	_ZN7rocprim17ROCPRIM_400000_NS6detail17trampoline_kernelINS0_14default_configENS1_25transform_config_selectorIfLb0EEEZNS1_14transform_implILb0ES3_S5_NS0_18transform_iteratorINS0_17counting_iteratorImlEEZNS1_24adjacent_difference_implIS3_Lb1ELb0EPfN6thrust23THRUST_200600_302600_NS16discard_iteratorINSD_11use_defaultEEENSD_5minusIfEEEE10hipError_tPvRmT2_T3_mT4_P12ihipStream_tbEUlmE_fEESB_NS0_8identityIvEEEESJ_SM_SN_mSO_SQ_bEUlT_E_NS1_11comp_targetILNS1_3genE2ELNS1_11target_archE906ELNS1_3gpuE6ELNS1_3repE0EEENS1_30default_config_static_selectorELNS0_4arch9wavefront6targetE1EEEvT1_ ; -- Begin function _ZN7rocprim17ROCPRIM_400000_NS6detail17trampoline_kernelINS0_14default_configENS1_25transform_config_selectorIfLb0EEEZNS1_14transform_implILb0ES3_S5_NS0_18transform_iteratorINS0_17counting_iteratorImlEEZNS1_24adjacent_difference_implIS3_Lb1ELb0EPfN6thrust23THRUST_200600_302600_NS16discard_iteratorINSD_11use_defaultEEENSD_5minusIfEEEE10hipError_tPvRmT2_T3_mT4_P12ihipStream_tbEUlmE_fEESB_NS0_8identityIvEEEESJ_SM_SN_mSO_SQ_bEUlT_E_NS1_11comp_targetILNS1_3genE2ELNS1_11target_archE906ELNS1_3gpuE6ELNS1_3repE0EEENS1_30default_config_static_selectorELNS0_4arch9wavefront6targetE1EEEvT1_
	.globl	_ZN7rocprim17ROCPRIM_400000_NS6detail17trampoline_kernelINS0_14default_configENS1_25transform_config_selectorIfLb0EEEZNS1_14transform_implILb0ES3_S5_NS0_18transform_iteratorINS0_17counting_iteratorImlEEZNS1_24adjacent_difference_implIS3_Lb1ELb0EPfN6thrust23THRUST_200600_302600_NS16discard_iteratorINSD_11use_defaultEEENSD_5minusIfEEEE10hipError_tPvRmT2_T3_mT4_P12ihipStream_tbEUlmE_fEESB_NS0_8identityIvEEEESJ_SM_SN_mSO_SQ_bEUlT_E_NS1_11comp_targetILNS1_3genE2ELNS1_11target_archE906ELNS1_3gpuE6ELNS1_3repE0EEENS1_30default_config_static_selectorELNS0_4arch9wavefront6targetE1EEEvT1_
	.p2align	8
	.type	_ZN7rocprim17ROCPRIM_400000_NS6detail17trampoline_kernelINS0_14default_configENS1_25transform_config_selectorIfLb0EEEZNS1_14transform_implILb0ES3_S5_NS0_18transform_iteratorINS0_17counting_iteratorImlEEZNS1_24adjacent_difference_implIS3_Lb1ELb0EPfN6thrust23THRUST_200600_302600_NS16discard_iteratorINSD_11use_defaultEEENSD_5minusIfEEEE10hipError_tPvRmT2_T3_mT4_P12ihipStream_tbEUlmE_fEESB_NS0_8identityIvEEEESJ_SM_SN_mSO_SQ_bEUlT_E_NS1_11comp_targetILNS1_3genE2ELNS1_11target_archE906ELNS1_3gpuE6ELNS1_3repE0EEENS1_30default_config_static_selectorELNS0_4arch9wavefront6targetE1EEEvT1_,@function
_ZN7rocprim17ROCPRIM_400000_NS6detail17trampoline_kernelINS0_14default_configENS1_25transform_config_selectorIfLb0EEEZNS1_14transform_implILb0ES3_S5_NS0_18transform_iteratorINS0_17counting_iteratorImlEEZNS1_24adjacent_difference_implIS3_Lb1ELb0EPfN6thrust23THRUST_200600_302600_NS16discard_iteratorINSD_11use_defaultEEENSD_5minusIfEEEE10hipError_tPvRmT2_T3_mT4_P12ihipStream_tbEUlmE_fEESB_NS0_8identityIvEEEESJ_SM_SN_mSO_SQ_bEUlT_E_NS1_11comp_targetILNS1_3genE2ELNS1_11target_archE906ELNS1_3gpuE6ELNS1_3repE0EEENS1_30default_config_static_selectorELNS0_4arch9wavefront6targetE1EEEvT1_: ; @_ZN7rocprim17ROCPRIM_400000_NS6detail17trampoline_kernelINS0_14default_configENS1_25transform_config_selectorIfLb0EEEZNS1_14transform_implILb0ES3_S5_NS0_18transform_iteratorINS0_17counting_iteratorImlEEZNS1_24adjacent_difference_implIS3_Lb1ELb0EPfN6thrust23THRUST_200600_302600_NS16discard_iteratorINSD_11use_defaultEEENSD_5minusIfEEEE10hipError_tPvRmT2_T3_mT4_P12ihipStream_tbEUlmE_fEESB_NS0_8identityIvEEEESJ_SM_SN_mSO_SQ_bEUlT_E_NS1_11comp_targetILNS1_3genE2ELNS1_11target_archE906ELNS1_3gpuE6ELNS1_3repE0EEENS1_30default_config_static_selectorELNS0_4arch9wavefront6targetE1EEEvT1_
; %bb.0:
	.section	.rodata,"a",@progbits
	.p2align	6, 0x0
	.amdhsa_kernel _ZN7rocprim17ROCPRIM_400000_NS6detail17trampoline_kernelINS0_14default_configENS1_25transform_config_selectorIfLb0EEEZNS1_14transform_implILb0ES3_S5_NS0_18transform_iteratorINS0_17counting_iteratorImlEEZNS1_24adjacent_difference_implIS3_Lb1ELb0EPfN6thrust23THRUST_200600_302600_NS16discard_iteratorINSD_11use_defaultEEENSD_5minusIfEEEE10hipError_tPvRmT2_T3_mT4_P12ihipStream_tbEUlmE_fEESB_NS0_8identityIvEEEESJ_SM_SN_mSO_SQ_bEUlT_E_NS1_11comp_targetILNS1_3genE2ELNS1_11target_archE906ELNS1_3gpuE6ELNS1_3repE0EEENS1_30default_config_static_selectorELNS0_4arch9wavefront6targetE1EEEvT1_
		.amdhsa_group_segment_fixed_size 0
		.amdhsa_private_segment_fixed_size 0
		.amdhsa_kernarg_size 56
		.amdhsa_user_sgpr_count 2
		.amdhsa_user_sgpr_dispatch_ptr 0
		.amdhsa_user_sgpr_queue_ptr 0
		.amdhsa_user_sgpr_kernarg_segment_ptr 1
		.amdhsa_user_sgpr_dispatch_id 0
		.amdhsa_user_sgpr_kernarg_preload_length 0
		.amdhsa_user_sgpr_kernarg_preload_offset 0
		.amdhsa_user_sgpr_private_segment_size 0
		.amdhsa_uses_dynamic_stack 0
		.amdhsa_enable_private_segment 0
		.amdhsa_system_sgpr_workgroup_id_x 1
		.amdhsa_system_sgpr_workgroup_id_y 0
		.amdhsa_system_sgpr_workgroup_id_z 0
		.amdhsa_system_sgpr_workgroup_info 0
		.amdhsa_system_vgpr_workitem_id 0
		.amdhsa_next_free_vgpr 1
		.amdhsa_next_free_sgpr 0
		.amdhsa_accum_offset 4
		.amdhsa_reserve_vcc 0
		.amdhsa_float_round_mode_32 0
		.amdhsa_float_round_mode_16_64 0
		.amdhsa_float_denorm_mode_32 3
		.amdhsa_float_denorm_mode_16_64 3
		.amdhsa_dx10_clamp 1
		.amdhsa_ieee_mode 1
		.amdhsa_fp16_overflow 0
		.amdhsa_tg_split 0
		.amdhsa_exception_fp_ieee_invalid_op 0
		.amdhsa_exception_fp_denorm_src 0
		.amdhsa_exception_fp_ieee_div_zero 0
		.amdhsa_exception_fp_ieee_overflow 0
		.amdhsa_exception_fp_ieee_underflow 0
		.amdhsa_exception_fp_ieee_inexact 0
		.amdhsa_exception_int_div_zero 0
	.end_amdhsa_kernel
	.section	.text._ZN7rocprim17ROCPRIM_400000_NS6detail17trampoline_kernelINS0_14default_configENS1_25transform_config_selectorIfLb0EEEZNS1_14transform_implILb0ES3_S5_NS0_18transform_iteratorINS0_17counting_iteratorImlEEZNS1_24adjacent_difference_implIS3_Lb1ELb0EPfN6thrust23THRUST_200600_302600_NS16discard_iteratorINSD_11use_defaultEEENSD_5minusIfEEEE10hipError_tPvRmT2_T3_mT4_P12ihipStream_tbEUlmE_fEESB_NS0_8identityIvEEEESJ_SM_SN_mSO_SQ_bEUlT_E_NS1_11comp_targetILNS1_3genE2ELNS1_11target_archE906ELNS1_3gpuE6ELNS1_3repE0EEENS1_30default_config_static_selectorELNS0_4arch9wavefront6targetE1EEEvT1_,"axG",@progbits,_ZN7rocprim17ROCPRIM_400000_NS6detail17trampoline_kernelINS0_14default_configENS1_25transform_config_selectorIfLb0EEEZNS1_14transform_implILb0ES3_S5_NS0_18transform_iteratorINS0_17counting_iteratorImlEEZNS1_24adjacent_difference_implIS3_Lb1ELb0EPfN6thrust23THRUST_200600_302600_NS16discard_iteratorINSD_11use_defaultEEENSD_5minusIfEEEE10hipError_tPvRmT2_T3_mT4_P12ihipStream_tbEUlmE_fEESB_NS0_8identityIvEEEESJ_SM_SN_mSO_SQ_bEUlT_E_NS1_11comp_targetILNS1_3genE2ELNS1_11target_archE906ELNS1_3gpuE6ELNS1_3repE0EEENS1_30default_config_static_selectorELNS0_4arch9wavefront6targetE1EEEvT1_,comdat
.Lfunc_end772:
	.size	_ZN7rocprim17ROCPRIM_400000_NS6detail17trampoline_kernelINS0_14default_configENS1_25transform_config_selectorIfLb0EEEZNS1_14transform_implILb0ES3_S5_NS0_18transform_iteratorINS0_17counting_iteratorImlEEZNS1_24adjacent_difference_implIS3_Lb1ELb0EPfN6thrust23THRUST_200600_302600_NS16discard_iteratorINSD_11use_defaultEEENSD_5minusIfEEEE10hipError_tPvRmT2_T3_mT4_P12ihipStream_tbEUlmE_fEESB_NS0_8identityIvEEEESJ_SM_SN_mSO_SQ_bEUlT_E_NS1_11comp_targetILNS1_3genE2ELNS1_11target_archE906ELNS1_3gpuE6ELNS1_3repE0EEENS1_30default_config_static_selectorELNS0_4arch9wavefront6targetE1EEEvT1_, .Lfunc_end772-_ZN7rocprim17ROCPRIM_400000_NS6detail17trampoline_kernelINS0_14default_configENS1_25transform_config_selectorIfLb0EEEZNS1_14transform_implILb0ES3_S5_NS0_18transform_iteratorINS0_17counting_iteratorImlEEZNS1_24adjacent_difference_implIS3_Lb1ELb0EPfN6thrust23THRUST_200600_302600_NS16discard_iteratorINSD_11use_defaultEEENSD_5minusIfEEEE10hipError_tPvRmT2_T3_mT4_P12ihipStream_tbEUlmE_fEESB_NS0_8identityIvEEEESJ_SM_SN_mSO_SQ_bEUlT_E_NS1_11comp_targetILNS1_3genE2ELNS1_11target_archE906ELNS1_3gpuE6ELNS1_3repE0EEENS1_30default_config_static_selectorELNS0_4arch9wavefront6targetE1EEEvT1_
                                        ; -- End function
	.section	.AMDGPU.csdata,"",@progbits
; Kernel info:
; codeLenInByte = 0
; NumSgprs: 6
; NumVgprs: 0
; NumAgprs: 0
; TotalNumVgprs: 0
; ScratchSize: 0
; MemoryBound: 0
; FloatMode: 240
; IeeeMode: 1
; LDSByteSize: 0 bytes/workgroup (compile time only)
; SGPRBlocks: 0
; VGPRBlocks: 0
; NumSGPRsForWavesPerEU: 6
; NumVGPRsForWavesPerEU: 1
; AccumOffset: 4
; Occupancy: 8
; WaveLimiterHint : 0
; COMPUTE_PGM_RSRC2:SCRATCH_EN: 0
; COMPUTE_PGM_RSRC2:USER_SGPR: 2
; COMPUTE_PGM_RSRC2:TRAP_HANDLER: 0
; COMPUTE_PGM_RSRC2:TGID_X_EN: 1
; COMPUTE_PGM_RSRC2:TGID_Y_EN: 0
; COMPUTE_PGM_RSRC2:TGID_Z_EN: 0
; COMPUTE_PGM_RSRC2:TIDIG_COMP_CNT: 0
; COMPUTE_PGM_RSRC3_GFX90A:ACCUM_OFFSET: 0
; COMPUTE_PGM_RSRC3_GFX90A:TG_SPLIT: 0
	.section	.text._ZN7rocprim17ROCPRIM_400000_NS6detail17trampoline_kernelINS0_14default_configENS1_25transform_config_selectorIfLb0EEEZNS1_14transform_implILb0ES3_S5_NS0_18transform_iteratorINS0_17counting_iteratorImlEEZNS1_24adjacent_difference_implIS3_Lb1ELb0EPfN6thrust23THRUST_200600_302600_NS16discard_iteratorINSD_11use_defaultEEENSD_5minusIfEEEE10hipError_tPvRmT2_T3_mT4_P12ihipStream_tbEUlmE_fEESB_NS0_8identityIvEEEESJ_SM_SN_mSO_SQ_bEUlT_E_NS1_11comp_targetILNS1_3genE10ELNS1_11target_archE1201ELNS1_3gpuE5ELNS1_3repE0EEENS1_30default_config_static_selectorELNS0_4arch9wavefront6targetE1EEEvT1_,"axG",@progbits,_ZN7rocprim17ROCPRIM_400000_NS6detail17trampoline_kernelINS0_14default_configENS1_25transform_config_selectorIfLb0EEEZNS1_14transform_implILb0ES3_S5_NS0_18transform_iteratorINS0_17counting_iteratorImlEEZNS1_24adjacent_difference_implIS3_Lb1ELb0EPfN6thrust23THRUST_200600_302600_NS16discard_iteratorINSD_11use_defaultEEENSD_5minusIfEEEE10hipError_tPvRmT2_T3_mT4_P12ihipStream_tbEUlmE_fEESB_NS0_8identityIvEEEESJ_SM_SN_mSO_SQ_bEUlT_E_NS1_11comp_targetILNS1_3genE10ELNS1_11target_archE1201ELNS1_3gpuE5ELNS1_3repE0EEENS1_30default_config_static_selectorELNS0_4arch9wavefront6targetE1EEEvT1_,comdat
	.protected	_ZN7rocprim17ROCPRIM_400000_NS6detail17trampoline_kernelINS0_14default_configENS1_25transform_config_selectorIfLb0EEEZNS1_14transform_implILb0ES3_S5_NS0_18transform_iteratorINS0_17counting_iteratorImlEEZNS1_24adjacent_difference_implIS3_Lb1ELb0EPfN6thrust23THRUST_200600_302600_NS16discard_iteratorINSD_11use_defaultEEENSD_5minusIfEEEE10hipError_tPvRmT2_T3_mT4_P12ihipStream_tbEUlmE_fEESB_NS0_8identityIvEEEESJ_SM_SN_mSO_SQ_bEUlT_E_NS1_11comp_targetILNS1_3genE10ELNS1_11target_archE1201ELNS1_3gpuE5ELNS1_3repE0EEENS1_30default_config_static_selectorELNS0_4arch9wavefront6targetE1EEEvT1_ ; -- Begin function _ZN7rocprim17ROCPRIM_400000_NS6detail17trampoline_kernelINS0_14default_configENS1_25transform_config_selectorIfLb0EEEZNS1_14transform_implILb0ES3_S5_NS0_18transform_iteratorINS0_17counting_iteratorImlEEZNS1_24adjacent_difference_implIS3_Lb1ELb0EPfN6thrust23THRUST_200600_302600_NS16discard_iteratorINSD_11use_defaultEEENSD_5minusIfEEEE10hipError_tPvRmT2_T3_mT4_P12ihipStream_tbEUlmE_fEESB_NS0_8identityIvEEEESJ_SM_SN_mSO_SQ_bEUlT_E_NS1_11comp_targetILNS1_3genE10ELNS1_11target_archE1201ELNS1_3gpuE5ELNS1_3repE0EEENS1_30default_config_static_selectorELNS0_4arch9wavefront6targetE1EEEvT1_
	.globl	_ZN7rocprim17ROCPRIM_400000_NS6detail17trampoline_kernelINS0_14default_configENS1_25transform_config_selectorIfLb0EEEZNS1_14transform_implILb0ES3_S5_NS0_18transform_iteratorINS0_17counting_iteratorImlEEZNS1_24adjacent_difference_implIS3_Lb1ELb0EPfN6thrust23THRUST_200600_302600_NS16discard_iteratorINSD_11use_defaultEEENSD_5minusIfEEEE10hipError_tPvRmT2_T3_mT4_P12ihipStream_tbEUlmE_fEESB_NS0_8identityIvEEEESJ_SM_SN_mSO_SQ_bEUlT_E_NS1_11comp_targetILNS1_3genE10ELNS1_11target_archE1201ELNS1_3gpuE5ELNS1_3repE0EEENS1_30default_config_static_selectorELNS0_4arch9wavefront6targetE1EEEvT1_
	.p2align	8
	.type	_ZN7rocprim17ROCPRIM_400000_NS6detail17trampoline_kernelINS0_14default_configENS1_25transform_config_selectorIfLb0EEEZNS1_14transform_implILb0ES3_S5_NS0_18transform_iteratorINS0_17counting_iteratorImlEEZNS1_24adjacent_difference_implIS3_Lb1ELb0EPfN6thrust23THRUST_200600_302600_NS16discard_iteratorINSD_11use_defaultEEENSD_5minusIfEEEE10hipError_tPvRmT2_T3_mT4_P12ihipStream_tbEUlmE_fEESB_NS0_8identityIvEEEESJ_SM_SN_mSO_SQ_bEUlT_E_NS1_11comp_targetILNS1_3genE10ELNS1_11target_archE1201ELNS1_3gpuE5ELNS1_3repE0EEENS1_30default_config_static_selectorELNS0_4arch9wavefront6targetE1EEEvT1_,@function
_ZN7rocprim17ROCPRIM_400000_NS6detail17trampoline_kernelINS0_14default_configENS1_25transform_config_selectorIfLb0EEEZNS1_14transform_implILb0ES3_S5_NS0_18transform_iteratorINS0_17counting_iteratorImlEEZNS1_24adjacent_difference_implIS3_Lb1ELb0EPfN6thrust23THRUST_200600_302600_NS16discard_iteratorINSD_11use_defaultEEENSD_5minusIfEEEE10hipError_tPvRmT2_T3_mT4_P12ihipStream_tbEUlmE_fEESB_NS0_8identityIvEEEESJ_SM_SN_mSO_SQ_bEUlT_E_NS1_11comp_targetILNS1_3genE10ELNS1_11target_archE1201ELNS1_3gpuE5ELNS1_3repE0EEENS1_30default_config_static_selectorELNS0_4arch9wavefront6targetE1EEEvT1_: ; @_ZN7rocprim17ROCPRIM_400000_NS6detail17trampoline_kernelINS0_14default_configENS1_25transform_config_selectorIfLb0EEEZNS1_14transform_implILb0ES3_S5_NS0_18transform_iteratorINS0_17counting_iteratorImlEEZNS1_24adjacent_difference_implIS3_Lb1ELb0EPfN6thrust23THRUST_200600_302600_NS16discard_iteratorINSD_11use_defaultEEENSD_5minusIfEEEE10hipError_tPvRmT2_T3_mT4_P12ihipStream_tbEUlmE_fEESB_NS0_8identityIvEEEESJ_SM_SN_mSO_SQ_bEUlT_E_NS1_11comp_targetILNS1_3genE10ELNS1_11target_archE1201ELNS1_3gpuE5ELNS1_3repE0EEENS1_30default_config_static_selectorELNS0_4arch9wavefront6targetE1EEEvT1_
; %bb.0:
	.section	.rodata,"a",@progbits
	.p2align	6, 0x0
	.amdhsa_kernel _ZN7rocprim17ROCPRIM_400000_NS6detail17trampoline_kernelINS0_14default_configENS1_25transform_config_selectorIfLb0EEEZNS1_14transform_implILb0ES3_S5_NS0_18transform_iteratorINS0_17counting_iteratorImlEEZNS1_24adjacent_difference_implIS3_Lb1ELb0EPfN6thrust23THRUST_200600_302600_NS16discard_iteratorINSD_11use_defaultEEENSD_5minusIfEEEE10hipError_tPvRmT2_T3_mT4_P12ihipStream_tbEUlmE_fEESB_NS0_8identityIvEEEESJ_SM_SN_mSO_SQ_bEUlT_E_NS1_11comp_targetILNS1_3genE10ELNS1_11target_archE1201ELNS1_3gpuE5ELNS1_3repE0EEENS1_30default_config_static_selectorELNS0_4arch9wavefront6targetE1EEEvT1_
		.amdhsa_group_segment_fixed_size 0
		.amdhsa_private_segment_fixed_size 0
		.amdhsa_kernarg_size 56
		.amdhsa_user_sgpr_count 2
		.amdhsa_user_sgpr_dispatch_ptr 0
		.amdhsa_user_sgpr_queue_ptr 0
		.amdhsa_user_sgpr_kernarg_segment_ptr 1
		.amdhsa_user_sgpr_dispatch_id 0
		.amdhsa_user_sgpr_kernarg_preload_length 0
		.amdhsa_user_sgpr_kernarg_preload_offset 0
		.amdhsa_user_sgpr_private_segment_size 0
		.amdhsa_uses_dynamic_stack 0
		.amdhsa_enable_private_segment 0
		.amdhsa_system_sgpr_workgroup_id_x 1
		.amdhsa_system_sgpr_workgroup_id_y 0
		.amdhsa_system_sgpr_workgroup_id_z 0
		.amdhsa_system_sgpr_workgroup_info 0
		.amdhsa_system_vgpr_workitem_id 0
		.amdhsa_next_free_vgpr 1
		.amdhsa_next_free_sgpr 0
		.amdhsa_accum_offset 4
		.amdhsa_reserve_vcc 0
		.amdhsa_float_round_mode_32 0
		.amdhsa_float_round_mode_16_64 0
		.amdhsa_float_denorm_mode_32 3
		.amdhsa_float_denorm_mode_16_64 3
		.amdhsa_dx10_clamp 1
		.amdhsa_ieee_mode 1
		.amdhsa_fp16_overflow 0
		.amdhsa_tg_split 0
		.amdhsa_exception_fp_ieee_invalid_op 0
		.amdhsa_exception_fp_denorm_src 0
		.amdhsa_exception_fp_ieee_div_zero 0
		.amdhsa_exception_fp_ieee_overflow 0
		.amdhsa_exception_fp_ieee_underflow 0
		.amdhsa_exception_fp_ieee_inexact 0
		.amdhsa_exception_int_div_zero 0
	.end_amdhsa_kernel
	.section	.text._ZN7rocprim17ROCPRIM_400000_NS6detail17trampoline_kernelINS0_14default_configENS1_25transform_config_selectorIfLb0EEEZNS1_14transform_implILb0ES3_S5_NS0_18transform_iteratorINS0_17counting_iteratorImlEEZNS1_24adjacent_difference_implIS3_Lb1ELb0EPfN6thrust23THRUST_200600_302600_NS16discard_iteratorINSD_11use_defaultEEENSD_5minusIfEEEE10hipError_tPvRmT2_T3_mT4_P12ihipStream_tbEUlmE_fEESB_NS0_8identityIvEEEESJ_SM_SN_mSO_SQ_bEUlT_E_NS1_11comp_targetILNS1_3genE10ELNS1_11target_archE1201ELNS1_3gpuE5ELNS1_3repE0EEENS1_30default_config_static_selectorELNS0_4arch9wavefront6targetE1EEEvT1_,"axG",@progbits,_ZN7rocprim17ROCPRIM_400000_NS6detail17trampoline_kernelINS0_14default_configENS1_25transform_config_selectorIfLb0EEEZNS1_14transform_implILb0ES3_S5_NS0_18transform_iteratorINS0_17counting_iteratorImlEEZNS1_24adjacent_difference_implIS3_Lb1ELb0EPfN6thrust23THRUST_200600_302600_NS16discard_iteratorINSD_11use_defaultEEENSD_5minusIfEEEE10hipError_tPvRmT2_T3_mT4_P12ihipStream_tbEUlmE_fEESB_NS0_8identityIvEEEESJ_SM_SN_mSO_SQ_bEUlT_E_NS1_11comp_targetILNS1_3genE10ELNS1_11target_archE1201ELNS1_3gpuE5ELNS1_3repE0EEENS1_30default_config_static_selectorELNS0_4arch9wavefront6targetE1EEEvT1_,comdat
.Lfunc_end773:
	.size	_ZN7rocprim17ROCPRIM_400000_NS6detail17trampoline_kernelINS0_14default_configENS1_25transform_config_selectorIfLb0EEEZNS1_14transform_implILb0ES3_S5_NS0_18transform_iteratorINS0_17counting_iteratorImlEEZNS1_24adjacent_difference_implIS3_Lb1ELb0EPfN6thrust23THRUST_200600_302600_NS16discard_iteratorINSD_11use_defaultEEENSD_5minusIfEEEE10hipError_tPvRmT2_T3_mT4_P12ihipStream_tbEUlmE_fEESB_NS0_8identityIvEEEESJ_SM_SN_mSO_SQ_bEUlT_E_NS1_11comp_targetILNS1_3genE10ELNS1_11target_archE1201ELNS1_3gpuE5ELNS1_3repE0EEENS1_30default_config_static_selectorELNS0_4arch9wavefront6targetE1EEEvT1_, .Lfunc_end773-_ZN7rocprim17ROCPRIM_400000_NS6detail17trampoline_kernelINS0_14default_configENS1_25transform_config_selectorIfLb0EEEZNS1_14transform_implILb0ES3_S5_NS0_18transform_iteratorINS0_17counting_iteratorImlEEZNS1_24adjacent_difference_implIS3_Lb1ELb0EPfN6thrust23THRUST_200600_302600_NS16discard_iteratorINSD_11use_defaultEEENSD_5minusIfEEEE10hipError_tPvRmT2_T3_mT4_P12ihipStream_tbEUlmE_fEESB_NS0_8identityIvEEEESJ_SM_SN_mSO_SQ_bEUlT_E_NS1_11comp_targetILNS1_3genE10ELNS1_11target_archE1201ELNS1_3gpuE5ELNS1_3repE0EEENS1_30default_config_static_selectorELNS0_4arch9wavefront6targetE1EEEvT1_
                                        ; -- End function
	.section	.AMDGPU.csdata,"",@progbits
; Kernel info:
; codeLenInByte = 0
; NumSgprs: 6
; NumVgprs: 0
; NumAgprs: 0
; TotalNumVgprs: 0
; ScratchSize: 0
; MemoryBound: 0
; FloatMode: 240
; IeeeMode: 1
; LDSByteSize: 0 bytes/workgroup (compile time only)
; SGPRBlocks: 0
; VGPRBlocks: 0
; NumSGPRsForWavesPerEU: 6
; NumVGPRsForWavesPerEU: 1
; AccumOffset: 4
; Occupancy: 8
; WaveLimiterHint : 0
; COMPUTE_PGM_RSRC2:SCRATCH_EN: 0
; COMPUTE_PGM_RSRC2:USER_SGPR: 2
; COMPUTE_PGM_RSRC2:TRAP_HANDLER: 0
; COMPUTE_PGM_RSRC2:TGID_X_EN: 1
; COMPUTE_PGM_RSRC2:TGID_Y_EN: 0
; COMPUTE_PGM_RSRC2:TGID_Z_EN: 0
; COMPUTE_PGM_RSRC2:TIDIG_COMP_CNT: 0
; COMPUTE_PGM_RSRC3_GFX90A:ACCUM_OFFSET: 0
; COMPUTE_PGM_RSRC3_GFX90A:TG_SPLIT: 0
	.section	.text._ZN7rocprim17ROCPRIM_400000_NS6detail17trampoline_kernelINS0_14default_configENS1_25transform_config_selectorIfLb0EEEZNS1_14transform_implILb0ES3_S5_NS0_18transform_iteratorINS0_17counting_iteratorImlEEZNS1_24adjacent_difference_implIS3_Lb1ELb0EPfN6thrust23THRUST_200600_302600_NS16discard_iteratorINSD_11use_defaultEEENSD_5minusIfEEEE10hipError_tPvRmT2_T3_mT4_P12ihipStream_tbEUlmE_fEESB_NS0_8identityIvEEEESJ_SM_SN_mSO_SQ_bEUlT_E_NS1_11comp_targetILNS1_3genE10ELNS1_11target_archE1200ELNS1_3gpuE4ELNS1_3repE0EEENS1_30default_config_static_selectorELNS0_4arch9wavefront6targetE1EEEvT1_,"axG",@progbits,_ZN7rocprim17ROCPRIM_400000_NS6detail17trampoline_kernelINS0_14default_configENS1_25transform_config_selectorIfLb0EEEZNS1_14transform_implILb0ES3_S5_NS0_18transform_iteratorINS0_17counting_iteratorImlEEZNS1_24adjacent_difference_implIS3_Lb1ELb0EPfN6thrust23THRUST_200600_302600_NS16discard_iteratorINSD_11use_defaultEEENSD_5minusIfEEEE10hipError_tPvRmT2_T3_mT4_P12ihipStream_tbEUlmE_fEESB_NS0_8identityIvEEEESJ_SM_SN_mSO_SQ_bEUlT_E_NS1_11comp_targetILNS1_3genE10ELNS1_11target_archE1200ELNS1_3gpuE4ELNS1_3repE0EEENS1_30default_config_static_selectorELNS0_4arch9wavefront6targetE1EEEvT1_,comdat
	.protected	_ZN7rocprim17ROCPRIM_400000_NS6detail17trampoline_kernelINS0_14default_configENS1_25transform_config_selectorIfLb0EEEZNS1_14transform_implILb0ES3_S5_NS0_18transform_iteratorINS0_17counting_iteratorImlEEZNS1_24adjacent_difference_implIS3_Lb1ELb0EPfN6thrust23THRUST_200600_302600_NS16discard_iteratorINSD_11use_defaultEEENSD_5minusIfEEEE10hipError_tPvRmT2_T3_mT4_P12ihipStream_tbEUlmE_fEESB_NS0_8identityIvEEEESJ_SM_SN_mSO_SQ_bEUlT_E_NS1_11comp_targetILNS1_3genE10ELNS1_11target_archE1200ELNS1_3gpuE4ELNS1_3repE0EEENS1_30default_config_static_selectorELNS0_4arch9wavefront6targetE1EEEvT1_ ; -- Begin function _ZN7rocprim17ROCPRIM_400000_NS6detail17trampoline_kernelINS0_14default_configENS1_25transform_config_selectorIfLb0EEEZNS1_14transform_implILb0ES3_S5_NS0_18transform_iteratorINS0_17counting_iteratorImlEEZNS1_24adjacent_difference_implIS3_Lb1ELb0EPfN6thrust23THRUST_200600_302600_NS16discard_iteratorINSD_11use_defaultEEENSD_5minusIfEEEE10hipError_tPvRmT2_T3_mT4_P12ihipStream_tbEUlmE_fEESB_NS0_8identityIvEEEESJ_SM_SN_mSO_SQ_bEUlT_E_NS1_11comp_targetILNS1_3genE10ELNS1_11target_archE1200ELNS1_3gpuE4ELNS1_3repE0EEENS1_30default_config_static_selectorELNS0_4arch9wavefront6targetE1EEEvT1_
	.globl	_ZN7rocprim17ROCPRIM_400000_NS6detail17trampoline_kernelINS0_14default_configENS1_25transform_config_selectorIfLb0EEEZNS1_14transform_implILb0ES3_S5_NS0_18transform_iteratorINS0_17counting_iteratorImlEEZNS1_24adjacent_difference_implIS3_Lb1ELb0EPfN6thrust23THRUST_200600_302600_NS16discard_iteratorINSD_11use_defaultEEENSD_5minusIfEEEE10hipError_tPvRmT2_T3_mT4_P12ihipStream_tbEUlmE_fEESB_NS0_8identityIvEEEESJ_SM_SN_mSO_SQ_bEUlT_E_NS1_11comp_targetILNS1_3genE10ELNS1_11target_archE1200ELNS1_3gpuE4ELNS1_3repE0EEENS1_30default_config_static_selectorELNS0_4arch9wavefront6targetE1EEEvT1_
	.p2align	8
	.type	_ZN7rocprim17ROCPRIM_400000_NS6detail17trampoline_kernelINS0_14default_configENS1_25transform_config_selectorIfLb0EEEZNS1_14transform_implILb0ES3_S5_NS0_18transform_iteratorINS0_17counting_iteratorImlEEZNS1_24adjacent_difference_implIS3_Lb1ELb0EPfN6thrust23THRUST_200600_302600_NS16discard_iteratorINSD_11use_defaultEEENSD_5minusIfEEEE10hipError_tPvRmT2_T3_mT4_P12ihipStream_tbEUlmE_fEESB_NS0_8identityIvEEEESJ_SM_SN_mSO_SQ_bEUlT_E_NS1_11comp_targetILNS1_3genE10ELNS1_11target_archE1200ELNS1_3gpuE4ELNS1_3repE0EEENS1_30default_config_static_selectorELNS0_4arch9wavefront6targetE1EEEvT1_,@function
_ZN7rocprim17ROCPRIM_400000_NS6detail17trampoline_kernelINS0_14default_configENS1_25transform_config_selectorIfLb0EEEZNS1_14transform_implILb0ES3_S5_NS0_18transform_iteratorINS0_17counting_iteratorImlEEZNS1_24adjacent_difference_implIS3_Lb1ELb0EPfN6thrust23THRUST_200600_302600_NS16discard_iteratorINSD_11use_defaultEEENSD_5minusIfEEEE10hipError_tPvRmT2_T3_mT4_P12ihipStream_tbEUlmE_fEESB_NS0_8identityIvEEEESJ_SM_SN_mSO_SQ_bEUlT_E_NS1_11comp_targetILNS1_3genE10ELNS1_11target_archE1200ELNS1_3gpuE4ELNS1_3repE0EEENS1_30default_config_static_selectorELNS0_4arch9wavefront6targetE1EEEvT1_: ; @_ZN7rocprim17ROCPRIM_400000_NS6detail17trampoline_kernelINS0_14default_configENS1_25transform_config_selectorIfLb0EEEZNS1_14transform_implILb0ES3_S5_NS0_18transform_iteratorINS0_17counting_iteratorImlEEZNS1_24adjacent_difference_implIS3_Lb1ELb0EPfN6thrust23THRUST_200600_302600_NS16discard_iteratorINSD_11use_defaultEEENSD_5minusIfEEEE10hipError_tPvRmT2_T3_mT4_P12ihipStream_tbEUlmE_fEESB_NS0_8identityIvEEEESJ_SM_SN_mSO_SQ_bEUlT_E_NS1_11comp_targetILNS1_3genE10ELNS1_11target_archE1200ELNS1_3gpuE4ELNS1_3repE0EEENS1_30default_config_static_selectorELNS0_4arch9wavefront6targetE1EEEvT1_
; %bb.0:
	.section	.rodata,"a",@progbits
	.p2align	6, 0x0
	.amdhsa_kernel _ZN7rocprim17ROCPRIM_400000_NS6detail17trampoline_kernelINS0_14default_configENS1_25transform_config_selectorIfLb0EEEZNS1_14transform_implILb0ES3_S5_NS0_18transform_iteratorINS0_17counting_iteratorImlEEZNS1_24adjacent_difference_implIS3_Lb1ELb0EPfN6thrust23THRUST_200600_302600_NS16discard_iteratorINSD_11use_defaultEEENSD_5minusIfEEEE10hipError_tPvRmT2_T3_mT4_P12ihipStream_tbEUlmE_fEESB_NS0_8identityIvEEEESJ_SM_SN_mSO_SQ_bEUlT_E_NS1_11comp_targetILNS1_3genE10ELNS1_11target_archE1200ELNS1_3gpuE4ELNS1_3repE0EEENS1_30default_config_static_selectorELNS0_4arch9wavefront6targetE1EEEvT1_
		.amdhsa_group_segment_fixed_size 0
		.amdhsa_private_segment_fixed_size 0
		.amdhsa_kernarg_size 56
		.amdhsa_user_sgpr_count 2
		.amdhsa_user_sgpr_dispatch_ptr 0
		.amdhsa_user_sgpr_queue_ptr 0
		.amdhsa_user_sgpr_kernarg_segment_ptr 1
		.amdhsa_user_sgpr_dispatch_id 0
		.amdhsa_user_sgpr_kernarg_preload_length 0
		.amdhsa_user_sgpr_kernarg_preload_offset 0
		.amdhsa_user_sgpr_private_segment_size 0
		.amdhsa_uses_dynamic_stack 0
		.amdhsa_enable_private_segment 0
		.amdhsa_system_sgpr_workgroup_id_x 1
		.amdhsa_system_sgpr_workgroup_id_y 0
		.amdhsa_system_sgpr_workgroup_id_z 0
		.amdhsa_system_sgpr_workgroup_info 0
		.amdhsa_system_vgpr_workitem_id 0
		.amdhsa_next_free_vgpr 1
		.amdhsa_next_free_sgpr 0
		.amdhsa_accum_offset 4
		.amdhsa_reserve_vcc 0
		.amdhsa_float_round_mode_32 0
		.amdhsa_float_round_mode_16_64 0
		.amdhsa_float_denorm_mode_32 3
		.amdhsa_float_denorm_mode_16_64 3
		.amdhsa_dx10_clamp 1
		.amdhsa_ieee_mode 1
		.amdhsa_fp16_overflow 0
		.amdhsa_tg_split 0
		.amdhsa_exception_fp_ieee_invalid_op 0
		.amdhsa_exception_fp_denorm_src 0
		.amdhsa_exception_fp_ieee_div_zero 0
		.amdhsa_exception_fp_ieee_overflow 0
		.amdhsa_exception_fp_ieee_underflow 0
		.amdhsa_exception_fp_ieee_inexact 0
		.amdhsa_exception_int_div_zero 0
	.end_amdhsa_kernel
	.section	.text._ZN7rocprim17ROCPRIM_400000_NS6detail17trampoline_kernelINS0_14default_configENS1_25transform_config_selectorIfLb0EEEZNS1_14transform_implILb0ES3_S5_NS0_18transform_iteratorINS0_17counting_iteratorImlEEZNS1_24adjacent_difference_implIS3_Lb1ELb0EPfN6thrust23THRUST_200600_302600_NS16discard_iteratorINSD_11use_defaultEEENSD_5minusIfEEEE10hipError_tPvRmT2_T3_mT4_P12ihipStream_tbEUlmE_fEESB_NS0_8identityIvEEEESJ_SM_SN_mSO_SQ_bEUlT_E_NS1_11comp_targetILNS1_3genE10ELNS1_11target_archE1200ELNS1_3gpuE4ELNS1_3repE0EEENS1_30default_config_static_selectorELNS0_4arch9wavefront6targetE1EEEvT1_,"axG",@progbits,_ZN7rocprim17ROCPRIM_400000_NS6detail17trampoline_kernelINS0_14default_configENS1_25transform_config_selectorIfLb0EEEZNS1_14transform_implILb0ES3_S5_NS0_18transform_iteratorINS0_17counting_iteratorImlEEZNS1_24adjacent_difference_implIS3_Lb1ELb0EPfN6thrust23THRUST_200600_302600_NS16discard_iteratorINSD_11use_defaultEEENSD_5minusIfEEEE10hipError_tPvRmT2_T3_mT4_P12ihipStream_tbEUlmE_fEESB_NS0_8identityIvEEEESJ_SM_SN_mSO_SQ_bEUlT_E_NS1_11comp_targetILNS1_3genE10ELNS1_11target_archE1200ELNS1_3gpuE4ELNS1_3repE0EEENS1_30default_config_static_selectorELNS0_4arch9wavefront6targetE1EEEvT1_,comdat
.Lfunc_end774:
	.size	_ZN7rocprim17ROCPRIM_400000_NS6detail17trampoline_kernelINS0_14default_configENS1_25transform_config_selectorIfLb0EEEZNS1_14transform_implILb0ES3_S5_NS0_18transform_iteratorINS0_17counting_iteratorImlEEZNS1_24adjacent_difference_implIS3_Lb1ELb0EPfN6thrust23THRUST_200600_302600_NS16discard_iteratorINSD_11use_defaultEEENSD_5minusIfEEEE10hipError_tPvRmT2_T3_mT4_P12ihipStream_tbEUlmE_fEESB_NS0_8identityIvEEEESJ_SM_SN_mSO_SQ_bEUlT_E_NS1_11comp_targetILNS1_3genE10ELNS1_11target_archE1200ELNS1_3gpuE4ELNS1_3repE0EEENS1_30default_config_static_selectorELNS0_4arch9wavefront6targetE1EEEvT1_, .Lfunc_end774-_ZN7rocprim17ROCPRIM_400000_NS6detail17trampoline_kernelINS0_14default_configENS1_25transform_config_selectorIfLb0EEEZNS1_14transform_implILb0ES3_S5_NS0_18transform_iteratorINS0_17counting_iteratorImlEEZNS1_24adjacent_difference_implIS3_Lb1ELb0EPfN6thrust23THRUST_200600_302600_NS16discard_iteratorINSD_11use_defaultEEENSD_5minusIfEEEE10hipError_tPvRmT2_T3_mT4_P12ihipStream_tbEUlmE_fEESB_NS0_8identityIvEEEESJ_SM_SN_mSO_SQ_bEUlT_E_NS1_11comp_targetILNS1_3genE10ELNS1_11target_archE1200ELNS1_3gpuE4ELNS1_3repE0EEENS1_30default_config_static_selectorELNS0_4arch9wavefront6targetE1EEEvT1_
                                        ; -- End function
	.section	.AMDGPU.csdata,"",@progbits
; Kernel info:
; codeLenInByte = 0
; NumSgprs: 6
; NumVgprs: 0
; NumAgprs: 0
; TotalNumVgprs: 0
; ScratchSize: 0
; MemoryBound: 0
; FloatMode: 240
; IeeeMode: 1
; LDSByteSize: 0 bytes/workgroup (compile time only)
; SGPRBlocks: 0
; VGPRBlocks: 0
; NumSGPRsForWavesPerEU: 6
; NumVGPRsForWavesPerEU: 1
; AccumOffset: 4
; Occupancy: 8
; WaveLimiterHint : 0
; COMPUTE_PGM_RSRC2:SCRATCH_EN: 0
; COMPUTE_PGM_RSRC2:USER_SGPR: 2
; COMPUTE_PGM_RSRC2:TRAP_HANDLER: 0
; COMPUTE_PGM_RSRC2:TGID_X_EN: 1
; COMPUTE_PGM_RSRC2:TGID_Y_EN: 0
; COMPUTE_PGM_RSRC2:TGID_Z_EN: 0
; COMPUTE_PGM_RSRC2:TIDIG_COMP_CNT: 0
; COMPUTE_PGM_RSRC3_GFX90A:ACCUM_OFFSET: 0
; COMPUTE_PGM_RSRC3_GFX90A:TG_SPLIT: 0
	.section	.text._ZN7rocprim17ROCPRIM_400000_NS6detail17trampoline_kernelINS0_14default_configENS1_25transform_config_selectorIfLb0EEEZNS1_14transform_implILb0ES3_S5_NS0_18transform_iteratorINS0_17counting_iteratorImlEEZNS1_24adjacent_difference_implIS3_Lb1ELb0EPfN6thrust23THRUST_200600_302600_NS16discard_iteratorINSD_11use_defaultEEENSD_5minusIfEEEE10hipError_tPvRmT2_T3_mT4_P12ihipStream_tbEUlmE_fEESB_NS0_8identityIvEEEESJ_SM_SN_mSO_SQ_bEUlT_E_NS1_11comp_targetILNS1_3genE9ELNS1_11target_archE1100ELNS1_3gpuE3ELNS1_3repE0EEENS1_30default_config_static_selectorELNS0_4arch9wavefront6targetE1EEEvT1_,"axG",@progbits,_ZN7rocprim17ROCPRIM_400000_NS6detail17trampoline_kernelINS0_14default_configENS1_25transform_config_selectorIfLb0EEEZNS1_14transform_implILb0ES3_S5_NS0_18transform_iteratorINS0_17counting_iteratorImlEEZNS1_24adjacent_difference_implIS3_Lb1ELb0EPfN6thrust23THRUST_200600_302600_NS16discard_iteratorINSD_11use_defaultEEENSD_5minusIfEEEE10hipError_tPvRmT2_T3_mT4_P12ihipStream_tbEUlmE_fEESB_NS0_8identityIvEEEESJ_SM_SN_mSO_SQ_bEUlT_E_NS1_11comp_targetILNS1_3genE9ELNS1_11target_archE1100ELNS1_3gpuE3ELNS1_3repE0EEENS1_30default_config_static_selectorELNS0_4arch9wavefront6targetE1EEEvT1_,comdat
	.protected	_ZN7rocprim17ROCPRIM_400000_NS6detail17trampoline_kernelINS0_14default_configENS1_25transform_config_selectorIfLb0EEEZNS1_14transform_implILb0ES3_S5_NS0_18transform_iteratorINS0_17counting_iteratorImlEEZNS1_24adjacent_difference_implIS3_Lb1ELb0EPfN6thrust23THRUST_200600_302600_NS16discard_iteratorINSD_11use_defaultEEENSD_5minusIfEEEE10hipError_tPvRmT2_T3_mT4_P12ihipStream_tbEUlmE_fEESB_NS0_8identityIvEEEESJ_SM_SN_mSO_SQ_bEUlT_E_NS1_11comp_targetILNS1_3genE9ELNS1_11target_archE1100ELNS1_3gpuE3ELNS1_3repE0EEENS1_30default_config_static_selectorELNS0_4arch9wavefront6targetE1EEEvT1_ ; -- Begin function _ZN7rocprim17ROCPRIM_400000_NS6detail17trampoline_kernelINS0_14default_configENS1_25transform_config_selectorIfLb0EEEZNS1_14transform_implILb0ES3_S5_NS0_18transform_iteratorINS0_17counting_iteratorImlEEZNS1_24adjacent_difference_implIS3_Lb1ELb0EPfN6thrust23THRUST_200600_302600_NS16discard_iteratorINSD_11use_defaultEEENSD_5minusIfEEEE10hipError_tPvRmT2_T3_mT4_P12ihipStream_tbEUlmE_fEESB_NS0_8identityIvEEEESJ_SM_SN_mSO_SQ_bEUlT_E_NS1_11comp_targetILNS1_3genE9ELNS1_11target_archE1100ELNS1_3gpuE3ELNS1_3repE0EEENS1_30default_config_static_selectorELNS0_4arch9wavefront6targetE1EEEvT1_
	.globl	_ZN7rocprim17ROCPRIM_400000_NS6detail17trampoline_kernelINS0_14default_configENS1_25transform_config_selectorIfLb0EEEZNS1_14transform_implILb0ES3_S5_NS0_18transform_iteratorINS0_17counting_iteratorImlEEZNS1_24adjacent_difference_implIS3_Lb1ELb0EPfN6thrust23THRUST_200600_302600_NS16discard_iteratorINSD_11use_defaultEEENSD_5minusIfEEEE10hipError_tPvRmT2_T3_mT4_P12ihipStream_tbEUlmE_fEESB_NS0_8identityIvEEEESJ_SM_SN_mSO_SQ_bEUlT_E_NS1_11comp_targetILNS1_3genE9ELNS1_11target_archE1100ELNS1_3gpuE3ELNS1_3repE0EEENS1_30default_config_static_selectorELNS0_4arch9wavefront6targetE1EEEvT1_
	.p2align	8
	.type	_ZN7rocprim17ROCPRIM_400000_NS6detail17trampoline_kernelINS0_14default_configENS1_25transform_config_selectorIfLb0EEEZNS1_14transform_implILb0ES3_S5_NS0_18transform_iteratorINS0_17counting_iteratorImlEEZNS1_24adjacent_difference_implIS3_Lb1ELb0EPfN6thrust23THRUST_200600_302600_NS16discard_iteratorINSD_11use_defaultEEENSD_5minusIfEEEE10hipError_tPvRmT2_T3_mT4_P12ihipStream_tbEUlmE_fEESB_NS0_8identityIvEEEESJ_SM_SN_mSO_SQ_bEUlT_E_NS1_11comp_targetILNS1_3genE9ELNS1_11target_archE1100ELNS1_3gpuE3ELNS1_3repE0EEENS1_30default_config_static_selectorELNS0_4arch9wavefront6targetE1EEEvT1_,@function
_ZN7rocprim17ROCPRIM_400000_NS6detail17trampoline_kernelINS0_14default_configENS1_25transform_config_selectorIfLb0EEEZNS1_14transform_implILb0ES3_S5_NS0_18transform_iteratorINS0_17counting_iteratorImlEEZNS1_24adjacent_difference_implIS3_Lb1ELb0EPfN6thrust23THRUST_200600_302600_NS16discard_iteratorINSD_11use_defaultEEENSD_5minusIfEEEE10hipError_tPvRmT2_T3_mT4_P12ihipStream_tbEUlmE_fEESB_NS0_8identityIvEEEESJ_SM_SN_mSO_SQ_bEUlT_E_NS1_11comp_targetILNS1_3genE9ELNS1_11target_archE1100ELNS1_3gpuE3ELNS1_3repE0EEENS1_30default_config_static_selectorELNS0_4arch9wavefront6targetE1EEEvT1_: ; @_ZN7rocprim17ROCPRIM_400000_NS6detail17trampoline_kernelINS0_14default_configENS1_25transform_config_selectorIfLb0EEEZNS1_14transform_implILb0ES3_S5_NS0_18transform_iteratorINS0_17counting_iteratorImlEEZNS1_24adjacent_difference_implIS3_Lb1ELb0EPfN6thrust23THRUST_200600_302600_NS16discard_iteratorINSD_11use_defaultEEENSD_5minusIfEEEE10hipError_tPvRmT2_T3_mT4_P12ihipStream_tbEUlmE_fEESB_NS0_8identityIvEEEESJ_SM_SN_mSO_SQ_bEUlT_E_NS1_11comp_targetILNS1_3genE9ELNS1_11target_archE1100ELNS1_3gpuE3ELNS1_3repE0EEENS1_30default_config_static_selectorELNS0_4arch9wavefront6targetE1EEEvT1_
; %bb.0:
	.section	.rodata,"a",@progbits
	.p2align	6, 0x0
	.amdhsa_kernel _ZN7rocprim17ROCPRIM_400000_NS6detail17trampoline_kernelINS0_14default_configENS1_25transform_config_selectorIfLb0EEEZNS1_14transform_implILb0ES3_S5_NS0_18transform_iteratorINS0_17counting_iteratorImlEEZNS1_24adjacent_difference_implIS3_Lb1ELb0EPfN6thrust23THRUST_200600_302600_NS16discard_iteratorINSD_11use_defaultEEENSD_5minusIfEEEE10hipError_tPvRmT2_T3_mT4_P12ihipStream_tbEUlmE_fEESB_NS0_8identityIvEEEESJ_SM_SN_mSO_SQ_bEUlT_E_NS1_11comp_targetILNS1_3genE9ELNS1_11target_archE1100ELNS1_3gpuE3ELNS1_3repE0EEENS1_30default_config_static_selectorELNS0_4arch9wavefront6targetE1EEEvT1_
		.amdhsa_group_segment_fixed_size 0
		.amdhsa_private_segment_fixed_size 0
		.amdhsa_kernarg_size 56
		.amdhsa_user_sgpr_count 2
		.amdhsa_user_sgpr_dispatch_ptr 0
		.amdhsa_user_sgpr_queue_ptr 0
		.amdhsa_user_sgpr_kernarg_segment_ptr 1
		.amdhsa_user_sgpr_dispatch_id 0
		.amdhsa_user_sgpr_kernarg_preload_length 0
		.amdhsa_user_sgpr_kernarg_preload_offset 0
		.amdhsa_user_sgpr_private_segment_size 0
		.amdhsa_uses_dynamic_stack 0
		.amdhsa_enable_private_segment 0
		.amdhsa_system_sgpr_workgroup_id_x 1
		.amdhsa_system_sgpr_workgroup_id_y 0
		.amdhsa_system_sgpr_workgroup_id_z 0
		.amdhsa_system_sgpr_workgroup_info 0
		.amdhsa_system_vgpr_workitem_id 0
		.amdhsa_next_free_vgpr 1
		.amdhsa_next_free_sgpr 0
		.amdhsa_accum_offset 4
		.amdhsa_reserve_vcc 0
		.amdhsa_float_round_mode_32 0
		.amdhsa_float_round_mode_16_64 0
		.amdhsa_float_denorm_mode_32 3
		.amdhsa_float_denorm_mode_16_64 3
		.amdhsa_dx10_clamp 1
		.amdhsa_ieee_mode 1
		.amdhsa_fp16_overflow 0
		.amdhsa_tg_split 0
		.amdhsa_exception_fp_ieee_invalid_op 0
		.amdhsa_exception_fp_denorm_src 0
		.amdhsa_exception_fp_ieee_div_zero 0
		.amdhsa_exception_fp_ieee_overflow 0
		.amdhsa_exception_fp_ieee_underflow 0
		.amdhsa_exception_fp_ieee_inexact 0
		.amdhsa_exception_int_div_zero 0
	.end_amdhsa_kernel
	.section	.text._ZN7rocprim17ROCPRIM_400000_NS6detail17trampoline_kernelINS0_14default_configENS1_25transform_config_selectorIfLb0EEEZNS1_14transform_implILb0ES3_S5_NS0_18transform_iteratorINS0_17counting_iteratorImlEEZNS1_24adjacent_difference_implIS3_Lb1ELb0EPfN6thrust23THRUST_200600_302600_NS16discard_iteratorINSD_11use_defaultEEENSD_5minusIfEEEE10hipError_tPvRmT2_T3_mT4_P12ihipStream_tbEUlmE_fEESB_NS0_8identityIvEEEESJ_SM_SN_mSO_SQ_bEUlT_E_NS1_11comp_targetILNS1_3genE9ELNS1_11target_archE1100ELNS1_3gpuE3ELNS1_3repE0EEENS1_30default_config_static_selectorELNS0_4arch9wavefront6targetE1EEEvT1_,"axG",@progbits,_ZN7rocprim17ROCPRIM_400000_NS6detail17trampoline_kernelINS0_14default_configENS1_25transform_config_selectorIfLb0EEEZNS1_14transform_implILb0ES3_S5_NS0_18transform_iteratorINS0_17counting_iteratorImlEEZNS1_24adjacent_difference_implIS3_Lb1ELb0EPfN6thrust23THRUST_200600_302600_NS16discard_iteratorINSD_11use_defaultEEENSD_5minusIfEEEE10hipError_tPvRmT2_T3_mT4_P12ihipStream_tbEUlmE_fEESB_NS0_8identityIvEEEESJ_SM_SN_mSO_SQ_bEUlT_E_NS1_11comp_targetILNS1_3genE9ELNS1_11target_archE1100ELNS1_3gpuE3ELNS1_3repE0EEENS1_30default_config_static_selectorELNS0_4arch9wavefront6targetE1EEEvT1_,comdat
.Lfunc_end775:
	.size	_ZN7rocprim17ROCPRIM_400000_NS6detail17trampoline_kernelINS0_14default_configENS1_25transform_config_selectorIfLb0EEEZNS1_14transform_implILb0ES3_S5_NS0_18transform_iteratorINS0_17counting_iteratorImlEEZNS1_24adjacent_difference_implIS3_Lb1ELb0EPfN6thrust23THRUST_200600_302600_NS16discard_iteratorINSD_11use_defaultEEENSD_5minusIfEEEE10hipError_tPvRmT2_T3_mT4_P12ihipStream_tbEUlmE_fEESB_NS0_8identityIvEEEESJ_SM_SN_mSO_SQ_bEUlT_E_NS1_11comp_targetILNS1_3genE9ELNS1_11target_archE1100ELNS1_3gpuE3ELNS1_3repE0EEENS1_30default_config_static_selectorELNS0_4arch9wavefront6targetE1EEEvT1_, .Lfunc_end775-_ZN7rocprim17ROCPRIM_400000_NS6detail17trampoline_kernelINS0_14default_configENS1_25transform_config_selectorIfLb0EEEZNS1_14transform_implILb0ES3_S5_NS0_18transform_iteratorINS0_17counting_iteratorImlEEZNS1_24adjacent_difference_implIS3_Lb1ELb0EPfN6thrust23THRUST_200600_302600_NS16discard_iteratorINSD_11use_defaultEEENSD_5minusIfEEEE10hipError_tPvRmT2_T3_mT4_P12ihipStream_tbEUlmE_fEESB_NS0_8identityIvEEEESJ_SM_SN_mSO_SQ_bEUlT_E_NS1_11comp_targetILNS1_3genE9ELNS1_11target_archE1100ELNS1_3gpuE3ELNS1_3repE0EEENS1_30default_config_static_selectorELNS0_4arch9wavefront6targetE1EEEvT1_
                                        ; -- End function
	.section	.AMDGPU.csdata,"",@progbits
; Kernel info:
; codeLenInByte = 0
; NumSgprs: 6
; NumVgprs: 0
; NumAgprs: 0
; TotalNumVgprs: 0
; ScratchSize: 0
; MemoryBound: 0
; FloatMode: 240
; IeeeMode: 1
; LDSByteSize: 0 bytes/workgroup (compile time only)
; SGPRBlocks: 0
; VGPRBlocks: 0
; NumSGPRsForWavesPerEU: 6
; NumVGPRsForWavesPerEU: 1
; AccumOffset: 4
; Occupancy: 8
; WaveLimiterHint : 0
; COMPUTE_PGM_RSRC2:SCRATCH_EN: 0
; COMPUTE_PGM_RSRC2:USER_SGPR: 2
; COMPUTE_PGM_RSRC2:TRAP_HANDLER: 0
; COMPUTE_PGM_RSRC2:TGID_X_EN: 1
; COMPUTE_PGM_RSRC2:TGID_Y_EN: 0
; COMPUTE_PGM_RSRC2:TGID_Z_EN: 0
; COMPUTE_PGM_RSRC2:TIDIG_COMP_CNT: 0
; COMPUTE_PGM_RSRC3_GFX90A:ACCUM_OFFSET: 0
; COMPUTE_PGM_RSRC3_GFX90A:TG_SPLIT: 0
	.section	.text._ZN7rocprim17ROCPRIM_400000_NS6detail17trampoline_kernelINS0_14default_configENS1_25transform_config_selectorIfLb0EEEZNS1_14transform_implILb0ES3_S5_NS0_18transform_iteratorINS0_17counting_iteratorImlEEZNS1_24adjacent_difference_implIS3_Lb1ELb0EPfN6thrust23THRUST_200600_302600_NS16discard_iteratorINSD_11use_defaultEEENSD_5minusIfEEEE10hipError_tPvRmT2_T3_mT4_P12ihipStream_tbEUlmE_fEESB_NS0_8identityIvEEEESJ_SM_SN_mSO_SQ_bEUlT_E_NS1_11comp_targetILNS1_3genE8ELNS1_11target_archE1030ELNS1_3gpuE2ELNS1_3repE0EEENS1_30default_config_static_selectorELNS0_4arch9wavefront6targetE1EEEvT1_,"axG",@progbits,_ZN7rocprim17ROCPRIM_400000_NS6detail17trampoline_kernelINS0_14default_configENS1_25transform_config_selectorIfLb0EEEZNS1_14transform_implILb0ES3_S5_NS0_18transform_iteratorINS0_17counting_iteratorImlEEZNS1_24adjacent_difference_implIS3_Lb1ELb0EPfN6thrust23THRUST_200600_302600_NS16discard_iteratorINSD_11use_defaultEEENSD_5minusIfEEEE10hipError_tPvRmT2_T3_mT4_P12ihipStream_tbEUlmE_fEESB_NS0_8identityIvEEEESJ_SM_SN_mSO_SQ_bEUlT_E_NS1_11comp_targetILNS1_3genE8ELNS1_11target_archE1030ELNS1_3gpuE2ELNS1_3repE0EEENS1_30default_config_static_selectorELNS0_4arch9wavefront6targetE1EEEvT1_,comdat
	.protected	_ZN7rocprim17ROCPRIM_400000_NS6detail17trampoline_kernelINS0_14default_configENS1_25transform_config_selectorIfLb0EEEZNS1_14transform_implILb0ES3_S5_NS0_18transform_iteratorINS0_17counting_iteratorImlEEZNS1_24adjacent_difference_implIS3_Lb1ELb0EPfN6thrust23THRUST_200600_302600_NS16discard_iteratorINSD_11use_defaultEEENSD_5minusIfEEEE10hipError_tPvRmT2_T3_mT4_P12ihipStream_tbEUlmE_fEESB_NS0_8identityIvEEEESJ_SM_SN_mSO_SQ_bEUlT_E_NS1_11comp_targetILNS1_3genE8ELNS1_11target_archE1030ELNS1_3gpuE2ELNS1_3repE0EEENS1_30default_config_static_selectorELNS0_4arch9wavefront6targetE1EEEvT1_ ; -- Begin function _ZN7rocprim17ROCPRIM_400000_NS6detail17trampoline_kernelINS0_14default_configENS1_25transform_config_selectorIfLb0EEEZNS1_14transform_implILb0ES3_S5_NS0_18transform_iteratorINS0_17counting_iteratorImlEEZNS1_24adjacent_difference_implIS3_Lb1ELb0EPfN6thrust23THRUST_200600_302600_NS16discard_iteratorINSD_11use_defaultEEENSD_5minusIfEEEE10hipError_tPvRmT2_T3_mT4_P12ihipStream_tbEUlmE_fEESB_NS0_8identityIvEEEESJ_SM_SN_mSO_SQ_bEUlT_E_NS1_11comp_targetILNS1_3genE8ELNS1_11target_archE1030ELNS1_3gpuE2ELNS1_3repE0EEENS1_30default_config_static_selectorELNS0_4arch9wavefront6targetE1EEEvT1_
	.globl	_ZN7rocprim17ROCPRIM_400000_NS6detail17trampoline_kernelINS0_14default_configENS1_25transform_config_selectorIfLb0EEEZNS1_14transform_implILb0ES3_S5_NS0_18transform_iteratorINS0_17counting_iteratorImlEEZNS1_24adjacent_difference_implIS3_Lb1ELb0EPfN6thrust23THRUST_200600_302600_NS16discard_iteratorINSD_11use_defaultEEENSD_5minusIfEEEE10hipError_tPvRmT2_T3_mT4_P12ihipStream_tbEUlmE_fEESB_NS0_8identityIvEEEESJ_SM_SN_mSO_SQ_bEUlT_E_NS1_11comp_targetILNS1_3genE8ELNS1_11target_archE1030ELNS1_3gpuE2ELNS1_3repE0EEENS1_30default_config_static_selectorELNS0_4arch9wavefront6targetE1EEEvT1_
	.p2align	8
	.type	_ZN7rocprim17ROCPRIM_400000_NS6detail17trampoline_kernelINS0_14default_configENS1_25transform_config_selectorIfLb0EEEZNS1_14transform_implILb0ES3_S5_NS0_18transform_iteratorINS0_17counting_iteratorImlEEZNS1_24adjacent_difference_implIS3_Lb1ELb0EPfN6thrust23THRUST_200600_302600_NS16discard_iteratorINSD_11use_defaultEEENSD_5minusIfEEEE10hipError_tPvRmT2_T3_mT4_P12ihipStream_tbEUlmE_fEESB_NS0_8identityIvEEEESJ_SM_SN_mSO_SQ_bEUlT_E_NS1_11comp_targetILNS1_3genE8ELNS1_11target_archE1030ELNS1_3gpuE2ELNS1_3repE0EEENS1_30default_config_static_selectorELNS0_4arch9wavefront6targetE1EEEvT1_,@function
_ZN7rocprim17ROCPRIM_400000_NS6detail17trampoline_kernelINS0_14default_configENS1_25transform_config_selectorIfLb0EEEZNS1_14transform_implILb0ES3_S5_NS0_18transform_iteratorINS0_17counting_iteratorImlEEZNS1_24adjacent_difference_implIS3_Lb1ELb0EPfN6thrust23THRUST_200600_302600_NS16discard_iteratorINSD_11use_defaultEEENSD_5minusIfEEEE10hipError_tPvRmT2_T3_mT4_P12ihipStream_tbEUlmE_fEESB_NS0_8identityIvEEEESJ_SM_SN_mSO_SQ_bEUlT_E_NS1_11comp_targetILNS1_3genE8ELNS1_11target_archE1030ELNS1_3gpuE2ELNS1_3repE0EEENS1_30default_config_static_selectorELNS0_4arch9wavefront6targetE1EEEvT1_: ; @_ZN7rocprim17ROCPRIM_400000_NS6detail17trampoline_kernelINS0_14default_configENS1_25transform_config_selectorIfLb0EEEZNS1_14transform_implILb0ES3_S5_NS0_18transform_iteratorINS0_17counting_iteratorImlEEZNS1_24adjacent_difference_implIS3_Lb1ELb0EPfN6thrust23THRUST_200600_302600_NS16discard_iteratorINSD_11use_defaultEEENSD_5minusIfEEEE10hipError_tPvRmT2_T3_mT4_P12ihipStream_tbEUlmE_fEESB_NS0_8identityIvEEEESJ_SM_SN_mSO_SQ_bEUlT_E_NS1_11comp_targetILNS1_3genE8ELNS1_11target_archE1030ELNS1_3gpuE2ELNS1_3repE0EEENS1_30default_config_static_selectorELNS0_4arch9wavefront6targetE1EEEvT1_
; %bb.0:
	.section	.rodata,"a",@progbits
	.p2align	6, 0x0
	.amdhsa_kernel _ZN7rocprim17ROCPRIM_400000_NS6detail17trampoline_kernelINS0_14default_configENS1_25transform_config_selectorIfLb0EEEZNS1_14transform_implILb0ES3_S5_NS0_18transform_iteratorINS0_17counting_iteratorImlEEZNS1_24adjacent_difference_implIS3_Lb1ELb0EPfN6thrust23THRUST_200600_302600_NS16discard_iteratorINSD_11use_defaultEEENSD_5minusIfEEEE10hipError_tPvRmT2_T3_mT4_P12ihipStream_tbEUlmE_fEESB_NS0_8identityIvEEEESJ_SM_SN_mSO_SQ_bEUlT_E_NS1_11comp_targetILNS1_3genE8ELNS1_11target_archE1030ELNS1_3gpuE2ELNS1_3repE0EEENS1_30default_config_static_selectorELNS0_4arch9wavefront6targetE1EEEvT1_
		.amdhsa_group_segment_fixed_size 0
		.amdhsa_private_segment_fixed_size 0
		.amdhsa_kernarg_size 56
		.amdhsa_user_sgpr_count 2
		.amdhsa_user_sgpr_dispatch_ptr 0
		.amdhsa_user_sgpr_queue_ptr 0
		.amdhsa_user_sgpr_kernarg_segment_ptr 1
		.amdhsa_user_sgpr_dispatch_id 0
		.amdhsa_user_sgpr_kernarg_preload_length 0
		.amdhsa_user_sgpr_kernarg_preload_offset 0
		.amdhsa_user_sgpr_private_segment_size 0
		.amdhsa_uses_dynamic_stack 0
		.amdhsa_enable_private_segment 0
		.amdhsa_system_sgpr_workgroup_id_x 1
		.amdhsa_system_sgpr_workgroup_id_y 0
		.amdhsa_system_sgpr_workgroup_id_z 0
		.amdhsa_system_sgpr_workgroup_info 0
		.amdhsa_system_vgpr_workitem_id 0
		.amdhsa_next_free_vgpr 1
		.amdhsa_next_free_sgpr 0
		.amdhsa_accum_offset 4
		.amdhsa_reserve_vcc 0
		.amdhsa_float_round_mode_32 0
		.amdhsa_float_round_mode_16_64 0
		.amdhsa_float_denorm_mode_32 3
		.amdhsa_float_denorm_mode_16_64 3
		.amdhsa_dx10_clamp 1
		.amdhsa_ieee_mode 1
		.amdhsa_fp16_overflow 0
		.amdhsa_tg_split 0
		.amdhsa_exception_fp_ieee_invalid_op 0
		.amdhsa_exception_fp_denorm_src 0
		.amdhsa_exception_fp_ieee_div_zero 0
		.amdhsa_exception_fp_ieee_overflow 0
		.amdhsa_exception_fp_ieee_underflow 0
		.amdhsa_exception_fp_ieee_inexact 0
		.amdhsa_exception_int_div_zero 0
	.end_amdhsa_kernel
	.section	.text._ZN7rocprim17ROCPRIM_400000_NS6detail17trampoline_kernelINS0_14default_configENS1_25transform_config_selectorIfLb0EEEZNS1_14transform_implILb0ES3_S5_NS0_18transform_iteratorINS0_17counting_iteratorImlEEZNS1_24adjacent_difference_implIS3_Lb1ELb0EPfN6thrust23THRUST_200600_302600_NS16discard_iteratorINSD_11use_defaultEEENSD_5minusIfEEEE10hipError_tPvRmT2_T3_mT4_P12ihipStream_tbEUlmE_fEESB_NS0_8identityIvEEEESJ_SM_SN_mSO_SQ_bEUlT_E_NS1_11comp_targetILNS1_3genE8ELNS1_11target_archE1030ELNS1_3gpuE2ELNS1_3repE0EEENS1_30default_config_static_selectorELNS0_4arch9wavefront6targetE1EEEvT1_,"axG",@progbits,_ZN7rocprim17ROCPRIM_400000_NS6detail17trampoline_kernelINS0_14default_configENS1_25transform_config_selectorIfLb0EEEZNS1_14transform_implILb0ES3_S5_NS0_18transform_iteratorINS0_17counting_iteratorImlEEZNS1_24adjacent_difference_implIS3_Lb1ELb0EPfN6thrust23THRUST_200600_302600_NS16discard_iteratorINSD_11use_defaultEEENSD_5minusIfEEEE10hipError_tPvRmT2_T3_mT4_P12ihipStream_tbEUlmE_fEESB_NS0_8identityIvEEEESJ_SM_SN_mSO_SQ_bEUlT_E_NS1_11comp_targetILNS1_3genE8ELNS1_11target_archE1030ELNS1_3gpuE2ELNS1_3repE0EEENS1_30default_config_static_selectorELNS0_4arch9wavefront6targetE1EEEvT1_,comdat
.Lfunc_end776:
	.size	_ZN7rocprim17ROCPRIM_400000_NS6detail17trampoline_kernelINS0_14default_configENS1_25transform_config_selectorIfLb0EEEZNS1_14transform_implILb0ES3_S5_NS0_18transform_iteratorINS0_17counting_iteratorImlEEZNS1_24adjacent_difference_implIS3_Lb1ELb0EPfN6thrust23THRUST_200600_302600_NS16discard_iteratorINSD_11use_defaultEEENSD_5minusIfEEEE10hipError_tPvRmT2_T3_mT4_P12ihipStream_tbEUlmE_fEESB_NS0_8identityIvEEEESJ_SM_SN_mSO_SQ_bEUlT_E_NS1_11comp_targetILNS1_3genE8ELNS1_11target_archE1030ELNS1_3gpuE2ELNS1_3repE0EEENS1_30default_config_static_selectorELNS0_4arch9wavefront6targetE1EEEvT1_, .Lfunc_end776-_ZN7rocprim17ROCPRIM_400000_NS6detail17trampoline_kernelINS0_14default_configENS1_25transform_config_selectorIfLb0EEEZNS1_14transform_implILb0ES3_S5_NS0_18transform_iteratorINS0_17counting_iteratorImlEEZNS1_24adjacent_difference_implIS3_Lb1ELb0EPfN6thrust23THRUST_200600_302600_NS16discard_iteratorINSD_11use_defaultEEENSD_5minusIfEEEE10hipError_tPvRmT2_T3_mT4_P12ihipStream_tbEUlmE_fEESB_NS0_8identityIvEEEESJ_SM_SN_mSO_SQ_bEUlT_E_NS1_11comp_targetILNS1_3genE8ELNS1_11target_archE1030ELNS1_3gpuE2ELNS1_3repE0EEENS1_30default_config_static_selectorELNS0_4arch9wavefront6targetE1EEEvT1_
                                        ; -- End function
	.section	.AMDGPU.csdata,"",@progbits
; Kernel info:
; codeLenInByte = 0
; NumSgprs: 6
; NumVgprs: 0
; NumAgprs: 0
; TotalNumVgprs: 0
; ScratchSize: 0
; MemoryBound: 0
; FloatMode: 240
; IeeeMode: 1
; LDSByteSize: 0 bytes/workgroup (compile time only)
; SGPRBlocks: 0
; VGPRBlocks: 0
; NumSGPRsForWavesPerEU: 6
; NumVGPRsForWavesPerEU: 1
; AccumOffset: 4
; Occupancy: 8
; WaveLimiterHint : 0
; COMPUTE_PGM_RSRC2:SCRATCH_EN: 0
; COMPUTE_PGM_RSRC2:USER_SGPR: 2
; COMPUTE_PGM_RSRC2:TRAP_HANDLER: 0
; COMPUTE_PGM_RSRC2:TGID_X_EN: 1
; COMPUTE_PGM_RSRC2:TGID_Y_EN: 0
; COMPUTE_PGM_RSRC2:TGID_Z_EN: 0
; COMPUTE_PGM_RSRC2:TIDIG_COMP_CNT: 0
; COMPUTE_PGM_RSRC3_GFX90A:ACCUM_OFFSET: 0
; COMPUTE_PGM_RSRC3_GFX90A:TG_SPLIT: 0
	.section	.text._ZN7rocprim17ROCPRIM_400000_NS6detail17trampoline_kernelINS0_14default_configENS1_35adjacent_difference_config_selectorILb1EfEEZNS1_24adjacent_difference_implIS3_Lb1ELb0EPfN6thrust23THRUST_200600_302600_NS16discard_iteratorINS9_11use_defaultEEENS9_5minusIfEEEE10hipError_tPvRmT2_T3_mT4_P12ihipStream_tbEUlT_E_NS1_11comp_targetILNS1_3genE0ELNS1_11target_archE4294967295ELNS1_3gpuE0ELNS1_3repE0EEENS1_30default_config_static_selectorELNS0_4arch9wavefront6targetE1EEEvT1_,"axG",@progbits,_ZN7rocprim17ROCPRIM_400000_NS6detail17trampoline_kernelINS0_14default_configENS1_35adjacent_difference_config_selectorILb1EfEEZNS1_24adjacent_difference_implIS3_Lb1ELb0EPfN6thrust23THRUST_200600_302600_NS16discard_iteratorINS9_11use_defaultEEENS9_5minusIfEEEE10hipError_tPvRmT2_T3_mT4_P12ihipStream_tbEUlT_E_NS1_11comp_targetILNS1_3genE0ELNS1_11target_archE4294967295ELNS1_3gpuE0ELNS1_3repE0EEENS1_30default_config_static_selectorELNS0_4arch9wavefront6targetE1EEEvT1_,comdat
	.protected	_ZN7rocprim17ROCPRIM_400000_NS6detail17trampoline_kernelINS0_14default_configENS1_35adjacent_difference_config_selectorILb1EfEEZNS1_24adjacent_difference_implIS3_Lb1ELb0EPfN6thrust23THRUST_200600_302600_NS16discard_iteratorINS9_11use_defaultEEENS9_5minusIfEEEE10hipError_tPvRmT2_T3_mT4_P12ihipStream_tbEUlT_E_NS1_11comp_targetILNS1_3genE0ELNS1_11target_archE4294967295ELNS1_3gpuE0ELNS1_3repE0EEENS1_30default_config_static_selectorELNS0_4arch9wavefront6targetE1EEEvT1_ ; -- Begin function _ZN7rocprim17ROCPRIM_400000_NS6detail17trampoline_kernelINS0_14default_configENS1_35adjacent_difference_config_selectorILb1EfEEZNS1_24adjacent_difference_implIS3_Lb1ELb0EPfN6thrust23THRUST_200600_302600_NS16discard_iteratorINS9_11use_defaultEEENS9_5minusIfEEEE10hipError_tPvRmT2_T3_mT4_P12ihipStream_tbEUlT_E_NS1_11comp_targetILNS1_3genE0ELNS1_11target_archE4294967295ELNS1_3gpuE0ELNS1_3repE0EEENS1_30default_config_static_selectorELNS0_4arch9wavefront6targetE1EEEvT1_
	.globl	_ZN7rocprim17ROCPRIM_400000_NS6detail17trampoline_kernelINS0_14default_configENS1_35adjacent_difference_config_selectorILb1EfEEZNS1_24adjacent_difference_implIS3_Lb1ELb0EPfN6thrust23THRUST_200600_302600_NS16discard_iteratorINS9_11use_defaultEEENS9_5minusIfEEEE10hipError_tPvRmT2_T3_mT4_P12ihipStream_tbEUlT_E_NS1_11comp_targetILNS1_3genE0ELNS1_11target_archE4294967295ELNS1_3gpuE0ELNS1_3repE0EEENS1_30default_config_static_selectorELNS0_4arch9wavefront6targetE1EEEvT1_
	.p2align	8
	.type	_ZN7rocprim17ROCPRIM_400000_NS6detail17trampoline_kernelINS0_14default_configENS1_35adjacent_difference_config_selectorILb1EfEEZNS1_24adjacent_difference_implIS3_Lb1ELb0EPfN6thrust23THRUST_200600_302600_NS16discard_iteratorINS9_11use_defaultEEENS9_5minusIfEEEE10hipError_tPvRmT2_T3_mT4_P12ihipStream_tbEUlT_E_NS1_11comp_targetILNS1_3genE0ELNS1_11target_archE4294967295ELNS1_3gpuE0ELNS1_3repE0EEENS1_30default_config_static_selectorELNS0_4arch9wavefront6targetE1EEEvT1_,@function
_ZN7rocprim17ROCPRIM_400000_NS6detail17trampoline_kernelINS0_14default_configENS1_35adjacent_difference_config_selectorILb1EfEEZNS1_24adjacent_difference_implIS3_Lb1ELb0EPfN6thrust23THRUST_200600_302600_NS16discard_iteratorINS9_11use_defaultEEENS9_5minusIfEEEE10hipError_tPvRmT2_T3_mT4_P12ihipStream_tbEUlT_E_NS1_11comp_targetILNS1_3genE0ELNS1_11target_archE4294967295ELNS1_3gpuE0ELNS1_3repE0EEENS1_30default_config_static_selectorELNS0_4arch9wavefront6targetE1EEEvT1_: ; @_ZN7rocprim17ROCPRIM_400000_NS6detail17trampoline_kernelINS0_14default_configENS1_35adjacent_difference_config_selectorILb1EfEEZNS1_24adjacent_difference_implIS3_Lb1ELb0EPfN6thrust23THRUST_200600_302600_NS16discard_iteratorINS9_11use_defaultEEENS9_5minusIfEEEE10hipError_tPvRmT2_T3_mT4_P12ihipStream_tbEUlT_E_NS1_11comp_targetILNS1_3genE0ELNS1_11target_archE4294967295ELNS1_3gpuE0ELNS1_3repE0EEENS1_30default_config_static_selectorELNS0_4arch9wavefront6targetE1EEEvT1_
; %bb.0:
	.section	.rodata,"a",@progbits
	.p2align	6, 0x0
	.amdhsa_kernel _ZN7rocprim17ROCPRIM_400000_NS6detail17trampoline_kernelINS0_14default_configENS1_35adjacent_difference_config_selectorILb1EfEEZNS1_24adjacent_difference_implIS3_Lb1ELb0EPfN6thrust23THRUST_200600_302600_NS16discard_iteratorINS9_11use_defaultEEENS9_5minusIfEEEE10hipError_tPvRmT2_T3_mT4_P12ihipStream_tbEUlT_E_NS1_11comp_targetILNS1_3genE0ELNS1_11target_archE4294967295ELNS1_3gpuE0ELNS1_3repE0EEENS1_30default_config_static_selectorELNS0_4arch9wavefront6targetE1EEEvT1_
		.amdhsa_group_segment_fixed_size 0
		.amdhsa_private_segment_fixed_size 0
		.amdhsa_kernarg_size 64
		.amdhsa_user_sgpr_count 2
		.amdhsa_user_sgpr_dispatch_ptr 0
		.amdhsa_user_sgpr_queue_ptr 0
		.amdhsa_user_sgpr_kernarg_segment_ptr 1
		.amdhsa_user_sgpr_dispatch_id 0
		.amdhsa_user_sgpr_kernarg_preload_length 0
		.amdhsa_user_sgpr_kernarg_preload_offset 0
		.amdhsa_user_sgpr_private_segment_size 0
		.amdhsa_uses_dynamic_stack 0
		.amdhsa_enable_private_segment 0
		.amdhsa_system_sgpr_workgroup_id_x 1
		.amdhsa_system_sgpr_workgroup_id_y 0
		.amdhsa_system_sgpr_workgroup_id_z 0
		.amdhsa_system_sgpr_workgroup_info 0
		.amdhsa_system_vgpr_workitem_id 0
		.amdhsa_next_free_vgpr 1
		.amdhsa_next_free_sgpr 0
		.amdhsa_accum_offset 4
		.amdhsa_reserve_vcc 0
		.amdhsa_float_round_mode_32 0
		.amdhsa_float_round_mode_16_64 0
		.amdhsa_float_denorm_mode_32 3
		.amdhsa_float_denorm_mode_16_64 3
		.amdhsa_dx10_clamp 1
		.amdhsa_ieee_mode 1
		.amdhsa_fp16_overflow 0
		.amdhsa_tg_split 0
		.amdhsa_exception_fp_ieee_invalid_op 0
		.amdhsa_exception_fp_denorm_src 0
		.amdhsa_exception_fp_ieee_div_zero 0
		.amdhsa_exception_fp_ieee_overflow 0
		.amdhsa_exception_fp_ieee_underflow 0
		.amdhsa_exception_fp_ieee_inexact 0
		.amdhsa_exception_int_div_zero 0
	.end_amdhsa_kernel
	.section	.text._ZN7rocprim17ROCPRIM_400000_NS6detail17trampoline_kernelINS0_14default_configENS1_35adjacent_difference_config_selectorILb1EfEEZNS1_24adjacent_difference_implIS3_Lb1ELb0EPfN6thrust23THRUST_200600_302600_NS16discard_iteratorINS9_11use_defaultEEENS9_5minusIfEEEE10hipError_tPvRmT2_T3_mT4_P12ihipStream_tbEUlT_E_NS1_11comp_targetILNS1_3genE0ELNS1_11target_archE4294967295ELNS1_3gpuE0ELNS1_3repE0EEENS1_30default_config_static_selectorELNS0_4arch9wavefront6targetE1EEEvT1_,"axG",@progbits,_ZN7rocprim17ROCPRIM_400000_NS6detail17trampoline_kernelINS0_14default_configENS1_35adjacent_difference_config_selectorILb1EfEEZNS1_24adjacent_difference_implIS3_Lb1ELb0EPfN6thrust23THRUST_200600_302600_NS16discard_iteratorINS9_11use_defaultEEENS9_5minusIfEEEE10hipError_tPvRmT2_T3_mT4_P12ihipStream_tbEUlT_E_NS1_11comp_targetILNS1_3genE0ELNS1_11target_archE4294967295ELNS1_3gpuE0ELNS1_3repE0EEENS1_30default_config_static_selectorELNS0_4arch9wavefront6targetE1EEEvT1_,comdat
.Lfunc_end777:
	.size	_ZN7rocprim17ROCPRIM_400000_NS6detail17trampoline_kernelINS0_14default_configENS1_35adjacent_difference_config_selectorILb1EfEEZNS1_24adjacent_difference_implIS3_Lb1ELb0EPfN6thrust23THRUST_200600_302600_NS16discard_iteratorINS9_11use_defaultEEENS9_5minusIfEEEE10hipError_tPvRmT2_T3_mT4_P12ihipStream_tbEUlT_E_NS1_11comp_targetILNS1_3genE0ELNS1_11target_archE4294967295ELNS1_3gpuE0ELNS1_3repE0EEENS1_30default_config_static_selectorELNS0_4arch9wavefront6targetE1EEEvT1_, .Lfunc_end777-_ZN7rocprim17ROCPRIM_400000_NS6detail17trampoline_kernelINS0_14default_configENS1_35adjacent_difference_config_selectorILb1EfEEZNS1_24adjacent_difference_implIS3_Lb1ELb0EPfN6thrust23THRUST_200600_302600_NS16discard_iteratorINS9_11use_defaultEEENS9_5minusIfEEEE10hipError_tPvRmT2_T3_mT4_P12ihipStream_tbEUlT_E_NS1_11comp_targetILNS1_3genE0ELNS1_11target_archE4294967295ELNS1_3gpuE0ELNS1_3repE0EEENS1_30default_config_static_selectorELNS0_4arch9wavefront6targetE1EEEvT1_
                                        ; -- End function
	.section	.AMDGPU.csdata,"",@progbits
; Kernel info:
; codeLenInByte = 0
; NumSgprs: 6
; NumVgprs: 0
; NumAgprs: 0
; TotalNumVgprs: 0
; ScratchSize: 0
; MemoryBound: 0
; FloatMode: 240
; IeeeMode: 1
; LDSByteSize: 0 bytes/workgroup (compile time only)
; SGPRBlocks: 0
; VGPRBlocks: 0
; NumSGPRsForWavesPerEU: 6
; NumVGPRsForWavesPerEU: 1
; AccumOffset: 4
; Occupancy: 8
; WaveLimiterHint : 0
; COMPUTE_PGM_RSRC2:SCRATCH_EN: 0
; COMPUTE_PGM_RSRC2:USER_SGPR: 2
; COMPUTE_PGM_RSRC2:TRAP_HANDLER: 0
; COMPUTE_PGM_RSRC2:TGID_X_EN: 1
; COMPUTE_PGM_RSRC2:TGID_Y_EN: 0
; COMPUTE_PGM_RSRC2:TGID_Z_EN: 0
; COMPUTE_PGM_RSRC2:TIDIG_COMP_CNT: 0
; COMPUTE_PGM_RSRC3_GFX90A:ACCUM_OFFSET: 0
; COMPUTE_PGM_RSRC3_GFX90A:TG_SPLIT: 0
	.section	.text._ZN7rocprim17ROCPRIM_400000_NS6detail17trampoline_kernelINS0_14default_configENS1_35adjacent_difference_config_selectorILb1EfEEZNS1_24adjacent_difference_implIS3_Lb1ELb0EPfN6thrust23THRUST_200600_302600_NS16discard_iteratorINS9_11use_defaultEEENS9_5minusIfEEEE10hipError_tPvRmT2_T3_mT4_P12ihipStream_tbEUlT_E_NS1_11comp_targetILNS1_3genE10ELNS1_11target_archE1201ELNS1_3gpuE5ELNS1_3repE0EEENS1_30default_config_static_selectorELNS0_4arch9wavefront6targetE1EEEvT1_,"axG",@progbits,_ZN7rocprim17ROCPRIM_400000_NS6detail17trampoline_kernelINS0_14default_configENS1_35adjacent_difference_config_selectorILb1EfEEZNS1_24adjacent_difference_implIS3_Lb1ELb0EPfN6thrust23THRUST_200600_302600_NS16discard_iteratorINS9_11use_defaultEEENS9_5minusIfEEEE10hipError_tPvRmT2_T3_mT4_P12ihipStream_tbEUlT_E_NS1_11comp_targetILNS1_3genE10ELNS1_11target_archE1201ELNS1_3gpuE5ELNS1_3repE0EEENS1_30default_config_static_selectorELNS0_4arch9wavefront6targetE1EEEvT1_,comdat
	.protected	_ZN7rocprim17ROCPRIM_400000_NS6detail17trampoline_kernelINS0_14default_configENS1_35adjacent_difference_config_selectorILb1EfEEZNS1_24adjacent_difference_implIS3_Lb1ELb0EPfN6thrust23THRUST_200600_302600_NS16discard_iteratorINS9_11use_defaultEEENS9_5minusIfEEEE10hipError_tPvRmT2_T3_mT4_P12ihipStream_tbEUlT_E_NS1_11comp_targetILNS1_3genE10ELNS1_11target_archE1201ELNS1_3gpuE5ELNS1_3repE0EEENS1_30default_config_static_selectorELNS0_4arch9wavefront6targetE1EEEvT1_ ; -- Begin function _ZN7rocprim17ROCPRIM_400000_NS6detail17trampoline_kernelINS0_14default_configENS1_35adjacent_difference_config_selectorILb1EfEEZNS1_24adjacent_difference_implIS3_Lb1ELb0EPfN6thrust23THRUST_200600_302600_NS16discard_iteratorINS9_11use_defaultEEENS9_5minusIfEEEE10hipError_tPvRmT2_T3_mT4_P12ihipStream_tbEUlT_E_NS1_11comp_targetILNS1_3genE10ELNS1_11target_archE1201ELNS1_3gpuE5ELNS1_3repE0EEENS1_30default_config_static_selectorELNS0_4arch9wavefront6targetE1EEEvT1_
	.globl	_ZN7rocprim17ROCPRIM_400000_NS6detail17trampoline_kernelINS0_14default_configENS1_35adjacent_difference_config_selectorILb1EfEEZNS1_24adjacent_difference_implIS3_Lb1ELb0EPfN6thrust23THRUST_200600_302600_NS16discard_iteratorINS9_11use_defaultEEENS9_5minusIfEEEE10hipError_tPvRmT2_T3_mT4_P12ihipStream_tbEUlT_E_NS1_11comp_targetILNS1_3genE10ELNS1_11target_archE1201ELNS1_3gpuE5ELNS1_3repE0EEENS1_30default_config_static_selectorELNS0_4arch9wavefront6targetE1EEEvT1_
	.p2align	8
	.type	_ZN7rocprim17ROCPRIM_400000_NS6detail17trampoline_kernelINS0_14default_configENS1_35adjacent_difference_config_selectorILb1EfEEZNS1_24adjacent_difference_implIS3_Lb1ELb0EPfN6thrust23THRUST_200600_302600_NS16discard_iteratorINS9_11use_defaultEEENS9_5minusIfEEEE10hipError_tPvRmT2_T3_mT4_P12ihipStream_tbEUlT_E_NS1_11comp_targetILNS1_3genE10ELNS1_11target_archE1201ELNS1_3gpuE5ELNS1_3repE0EEENS1_30default_config_static_selectorELNS0_4arch9wavefront6targetE1EEEvT1_,@function
_ZN7rocprim17ROCPRIM_400000_NS6detail17trampoline_kernelINS0_14default_configENS1_35adjacent_difference_config_selectorILb1EfEEZNS1_24adjacent_difference_implIS3_Lb1ELb0EPfN6thrust23THRUST_200600_302600_NS16discard_iteratorINS9_11use_defaultEEENS9_5minusIfEEEE10hipError_tPvRmT2_T3_mT4_P12ihipStream_tbEUlT_E_NS1_11comp_targetILNS1_3genE10ELNS1_11target_archE1201ELNS1_3gpuE5ELNS1_3repE0EEENS1_30default_config_static_selectorELNS0_4arch9wavefront6targetE1EEEvT1_: ; @_ZN7rocprim17ROCPRIM_400000_NS6detail17trampoline_kernelINS0_14default_configENS1_35adjacent_difference_config_selectorILb1EfEEZNS1_24adjacent_difference_implIS3_Lb1ELb0EPfN6thrust23THRUST_200600_302600_NS16discard_iteratorINS9_11use_defaultEEENS9_5minusIfEEEE10hipError_tPvRmT2_T3_mT4_P12ihipStream_tbEUlT_E_NS1_11comp_targetILNS1_3genE10ELNS1_11target_archE1201ELNS1_3gpuE5ELNS1_3repE0EEENS1_30default_config_static_selectorELNS0_4arch9wavefront6targetE1EEEvT1_
; %bb.0:
	.section	.rodata,"a",@progbits
	.p2align	6, 0x0
	.amdhsa_kernel _ZN7rocprim17ROCPRIM_400000_NS6detail17trampoline_kernelINS0_14default_configENS1_35adjacent_difference_config_selectorILb1EfEEZNS1_24adjacent_difference_implIS3_Lb1ELb0EPfN6thrust23THRUST_200600_302600_NS16discard_iteratorINS9_11use_defaultEEENS9_5minusIfEEEE10hipError_tPvRmT2_T3_mT4_P12ihipStream_tbEUlT_E_NS1_11comp_targetILNS1_3genE10ELNS1_11target_archE1201ELNS1_3gpuE5ELNS1_3repE0EEENS1_30default_config_static_selectorELNS0_4arch9wavefront6targetE1EEEvT1_
		.amdhsa_group_segment_fixed_size 0
		.amdhsa_private_segment_fixed_size 0
		.amdhsa_kernarg_size 64
		.amdhsa_user_sgpr_count 2
		.amdhsa_user_sgpr_dispatch_ptr 0
		.amdhsa_user_sgpr_queue_ptr 0
		.amdhsa_user_sgpr_kernarg_segment_ptr 1
		.amdhsa_user_sgpr_dispatch_id 0
		.amdhsa_user_sgpr_kernarg_preload_length 0
		.amdhsa_user_sgpr_kernarg_preload_offset 0
		.amdhsa_user_sgpr_private_segment_size 0
		.amdhsa_uses_dynamic_stack 0
		.amdhsa_enable_private_segment 0
		.amdhsa_system_sgpr_workgroup_id_x 1
		.amdhsa_system_sgpr_workgroup_id_y 0
		.amdhsa_system_sgpr_workgroup_id_z 0
		.amdhsa_system_sgpr_workgroup_info 0
		.amdhsa_system_vgpr_workitem_id 0
		.amdhsa_next_free_vgpr 1
		.amdhsa_next_free_sgpr 0
		.amdhsa_accum_offset 4
		.amdhsa_reserve_vcc 0
		.amdhsa_float_round_mode_32 0
		.amdhsa_float_round_mode_16_64 0
		.amdhsa_float_denorm_mode_32 3
		.amdhsa_float_denorm_mode_16_64 3
		.amdhsa_dx10_clamp 1
		.amdhsa_ieee_mode 1
		.amdhsa_fp16_overflow 0
		.amdhsa_tg_split 0
		.amdhsa_exception_fp_ieee_invalid_op 0
		.amdhsa_exception_fp_denorm_src 0
		.amdhsa_exception_fp_ieee_div_zero 0
		.amdhsa_exception_fp_ieee_overflow 0
		.amdhsa_exception_fp_ieee_underflow 0
		.amdhsa_exception_fp_ieee_inexact 0
		.amdhsa_exception_int_div_zero 0
	.end_amdhsa_kernel
	.section	.text._ZN7rocprim17ROCPRIM_400000_NS6detail17trampoline_kernelINS0_14default_configENS1_35adjacent_difference_config_selectorILb1EfEEZNS1_24adjacent_difference_implIS3_Lb1ELb0EPfN6thrust23THRUST_200600_302600_NS16discard_iteratorINS9_11use_defaultEEENS9_5minusIfEEEE10hipError_tPvRmT2_T3_mT4_P12ihipStream_tbEUlT_E_NS1_11comp_targetILNS1_3genE10ELNS1_11target_archE1201ELNS1_3gpuE5ELNS1_3repE0EEENS1_30default_config_static_selectorELNS0_4arch9wavefront6targetE1EEEvT1_,"axG",@progbits,_ZN7rocprim17ROCPRIM_400000_NS6detail17trampoline_kernelINS0_14default_configENS1_35adjacent_difference_config_selectorILb1EfEEZNS1_24adjacent_difference_implIS3_Lb1ELb0EPfN6thrust23THRUST_200600_302600_NS16discard_iteratorINS9_11use_defaultEEENS9_5minusIfEEEE10hipError_tPvRmT2_T3_mT4_P12ihipStream_tbEUlT_E_NS1_11comp_targetILNS1_3genE10ELNS1_11target_archE1201ELNS1_3gpuE5ELNS1_3repE0EEENS1_30default_config_static_selectorELNS0_4arch9wavefront6targetE1EEEvT1_,comdat
.Lfunc_end778:
	.size	_ZN7rocprim17ROCPRIM_400000_NS6detail17trampoline_kernelINS0_14default_configENS1_35adjacent_difference_config_selectorILb1EfEEZNS1_24adjacent_difference_implIS3_Lb1ELb0EPfN6thrust23THRUST_200600_302600_NS16discard_iteratorINS9_11use_defaultEEENS9_5minusIfEEEE10hipError_tPvRmT2_T3_mT4_P12ihipStream_tbEUlT_E_NS1_11comp_targetILNS1_3genE10ELNS1_11target_archE1201ELNS1_3gpuE5ELNS1_3repE0EEENS1_30default_config_static_selectorELNS0_4arch9wavefront6targetE1EEEvT1_, .Lfunc_end778-_ZN7rocprim17ROCPRIM_400000_NS6detail17trampoline_kernelINS0_14default_configENS1_35adjacent_difference_config_selectorILb1EfEEZNS1_24adjacent_difference_implIS3_Lb1ELb0EPfN6thrust23THRUST_200600_302600_NS16discard_iteratorINS9_11use_defaultEEENS9_5minusIfEEEE10hipError_tPvRmT2_T3_mT4_P12ihipStream_tbEUlT_E_NS1_11comp_targetILNS1_3genE10ELNS1_11target_archE1201ELNS1_3gpuE5ELNS1_3repE0EEENS1_30default_config_static_selectorELNS0_4arch9wavefront6targetE1EEEvT1_
                                        ; -- End function
	.section	.AMDGPU.csdata,"",@progbits
; Kernel info:
; codeLenInByte = 0
; NumSgprs: 6
; NumVgprs: 0
; NumAgprs: 0
; TotalNumVgprs: 0
; ScratchSize: 0
; MemoryBound: 0
; FloatMode: 240
; IeeeMode: 1
; LDSByteSize: 0 bytes/workgroup (compile time only)
; SGPRBlocks: 0
; VGPRBlocks: 0
; NumSGPRsForWavesPerEU: 6
; NumVGPRsForWavesPerEU: 1
; AccumOffset: 4
; Occupancy: 8
; WaveLimiterHint : 0
; COMPUTE_PGM_RSRC2:SCRATCH_EN: 0
; COMPUTE_PGM_RSRC2:USER_SGPR: 2
; COMPUTE_PGM_RSRC2:TRAP_HANDLER: 0
; COMPUTE_PGM_RSRC2:TGID_X_EN: 1
; COMPUTE_PGM_RSRC2:TGID_Y_EN: 0
; COMPUTE_PGM_RSRC2:TGID_Z_EN: 0
; COMPUTE_PGM_RSRC2:TIDIG_COMP_CNT: 0
; COMPUTE_PGM_RSRC3_GFX90A:ACCUM_OFFSET: 0
; COMPUTE_PGM_RSRC3_GFX90A:TG_SPLIT: 0
	.section	.text._ZN7rocprim17ROCPRIM_400000_NS6detail17trampoline_kernelINS0_14default_configENS1_35adjacent_difference_config_selectorILb1EfEEZNS1_24adjacent_difference_implIS3_Lb1ELb0EPfN6thrust23THRUST_200600_302600_NS16discard_iteratorINS9_11use_defaultEEENS9_5minusIfEEEE10hipError_tPvRmT2_T3_mT4_P12ihipStream_tbEUlT_E_NS1_11comp_targetILNS1_3genE5ELNS1_11target_archE942ELNS1_3gpuE9ELNS1_3repE0EEENS1_30default_config_static_selectorELNS0_4arch9wavefront6targetE1EEEvT1_,"axG",@progbits,_ZN7rocprim17ROCPRIM_400000_NS6detail17trampoline_kernelINS0_14default_configENS1_35adjacent_difference_config_selectorILb1EfEEZNS1_24adjacent_difference_implIS3_Lb1ELb0EPfN6thrust23THRUST_200600_302600_NS16discard_iteratorINS9_11use_defaultEEENS9_5minusIfEEEE10hipError_tPvRmT2_T3_mT4_P12ihipStream_tbEUlT_E_NS1_11comp_targetILNS1_3genE5ELNS1_11target_archE942ELNS1_3gpuE9ELNS1_3repE0EEENS1_30default_config_static_selectorELNS0_4arch9wavefront6targetE1EEEvT1_,comdat
	.protected	_ZN7rocprim17ROCPRIM_400000_NS6detail17trampoline_kernelINS0_14default_configENS1_35adjacent_difference_config_selectorILb1EfEEZNS1_24adjacent_difference_implIS3_Lb1ELb0EPfN6thrust23THRUST_200600_302600_NS16discard_iteratorINS9_11use_defaultEEENS9_5minusIfEEEE10hipError_tPvRmT2_T3_mT4_P12ihipStream_tbEUlT_E_NS1_11comp_targetILNS1_3genE5ELNS1_11target_archE942ELNS1_3gpuE9ELNS1_3repE0EEENS1_30default_config_static_selectorELNS0_4arch9wavefront6targetE1EEEvT1_ ; -- Begin function _ZN7rocprim17ROCPRIM_400000_NS6detail17trampoline_kernelINS0_14default_configENS1_35adjacent_difference_config_selectorILb1EfEEZNS1_24adjacent_difference_implIS3_Lb1ELb0EPfN6thrust23THRUST_200600_302600_NS16discard_iteratorINS9_11use_defaultEEENS9_5minusIfEEEE10hipError_tPvRmT2_T3_mT4_P12ihipStream_tbEUlT_E_NS1_11comp_targetILNS1_3genE5ELNS1_11target_archE942ELNS1_3gpuE9ELNS1_3repE0EEENS1_30default_config_static_selectorELNS0_4arch9wavefront6targetE1EEEvT1_
	.globl	_ZN7rocprim17ROCPRIM_400000_NS6detail17trampoline_kernelINS0_14default_configENS1_35adjacent_difference_config_selectorILb1EfEEZNS1_24adjacent_difference_implIS3_Lb1ELb0EPfN6thrust23THRUST_200600_302600_NS16discard_iteratorINS9_11use_defaultEEENS9_5minusIfEEEE10hipError_tPvRmT2_T3_mT4_P12ihipStream_tbEUlT_E_NS1_11comp_targetILNS1_3genE5ELNS1_11target_archE942ELNS1_3gpuE9ELNS1_3repE0EEENS1_30default_config_static_selectorELNS0_4arch9wavefront6targetE1EEEvT1_
	.p2align	8
	.type	_ZN7rocprim17ROCPRIM_400000_NS6detail17trampoline_kernelINS0_14default_configENS1_35adjacent_difference_config_selectorILb1EfEEZNS1_24adjacent_difference_implIS3_Lb1ELb0EPfN6thrust23THRUST_200600_302600_NS16discard_iteratorINS9_11use_defaultEEENS9_5minusIfEEEE10hipError_tPvRmT2_T3_mT4_P12ihipStream_tbEUlT_E_NS1_11comp_targetILNS1_3genE5ELNS1_11target_archE942ELNS1_3gpuE9ELNS1_3repE0EEENS1_30default_config_static_selectorELNS0_4arch9wavefront6targetE1EEEvT1_,@function
_ZN7rocprim17ROCPRIM_400000_NS6detail17trampoline_kernelINS0_14default_configENS1_35adjacent_difference_config_selectorILb1EfEEZNS1_24adjacent_difference_implIS3_Lb1ELb0EPfN6thrust23THRUST_200600_302600_NS16discard_iteratorINS9_11use_defaultEEENS9_5minusIfEEEE10hipError_tPvRmT2_T3_mT4_P12ihipStream_tbEUlT_E_NS1_11comp_targetILNS1_3genE5ELNS1_11target_archE942ELNS1_3gpuE9ELNS1_3repE0EEENS1_30default_config_static_selectorELNS0_4arch9wavefront6targetE1EEEvT1_: ; @_ZN7rocprim17ROCPRIM_400000_NS6detail17trampoline_kernelINS0_14default_configENS1_35adjacent_difference_config_selectorILb1EfEEZNS1_24adjacent_difference_implIS3_Lb1ELb0EPfN6thrust23THRUST_200600_302600_NS16discard_iteratorINS9_11use_defaultEEENS9_5minusIfEEEE10hipError_tPvRmT2_T3_mT4_P12ihipStream_tbEUlT_E_NS1_11comp_targetILNS1_3genE5ELNS1_11target_archE942ELNS1_3gpuE9ELNS1_3repE0EEENS1_30default_config_static_selectorELNS0_4arch9wavefront6targetE1EEEvT1_
; %bb.0:
	s_load_dwordx4 s[12:15], s[0:1], 0x0
	s_load_dwordx2 s[8:9], s[0:1], 0x20
	s_load_dwordx4 s[4:7], s[0:1], 0x30
	v_mov_b32_e32 v1, 0x55555000
	s_mov_b32 s3, 0
	s_waitcnt lgkmcnt(0)
	s_lshl_b64 s[0:1], s[14:15], 2
	s_add_u32 s18, s12, s0
	s_addc_u32 s19, s13, s1
	s_mov_b32 s1, 0x55500000
	s_add_u32 s1, 0x55555, s1
	s_addc_u32 s1, 0, 0x555
	s_add_u32 s1, s1, 0
	s_addc_u32 s10, 0, 0
	v_add_co_u32_e32 v1, vcc, s1, v1
	s_cmp_lg_u64 vcc, 0
	s_addc_u32 s1, s10, 0x555555
	v_readfirstlane_b32 s13, v1
	s_mul_i32 s11, s8, s1
	s_mul_hi_u32 s14, s8, s13
	s_mul_hi_u32 s10, s8, s1
	s_add_u32 s11, s14, s11
	s_addc_u32 s10, 0, s10
	s_mul_hi_u32 s15, s9, s13
	s_mul_i32 s13, s9, s13
	s_add_u32 s11, s11, s13
	s_mul_hi_u32 s14, s9, s1
	s_addc_u32 s10, s10, s15
	s_addc_u32 s11, s14, 0
	s_mul_i32 s1, s9, s1
	s_add_u32 s10, s10, s1
	s_addc_u32 s1, 0, s11
	s_add_u32 s11, s10, 1
	s_addc_u32 s13, s1, 0
	s_add_u32 s14, s10, 2
	s_mul_i32 s16, s1, 0x300
	s_mul_hi_u32 s17, s10, 0x300
	s_addc_u32 s15, s1, 0
	s_add_i32 s17, s17, s16
	s_mul_i32 s16, s10, 0x300
	v_mov_b32_e32 v1, s16
	v_sub_co_u32_e32 v1, vcc, s8, v1
	s_movk_i32 s0, 0x300
	s_cmp_lg_u64 vcc, 0
	s_subb_u32 s16, s9, s17
	v_subrev_co_u32_e32 v2, vcc, s0, v1
	s_cmp_lg_u64 vcc, 0
	s_subb_u32 s0, s16, 0
	v_readfirstlane_b32 s17, v2
	s_cmpk_gt_u32 s17, 0x2ff
	s_cselect_b32 s17, -1, 0
	s_cmp_eq_u32 s0, 0
	s_cselect_b32 s0, s17, -1
	s_cmp_lg_u32 s0, 0
	s_cselect_b32 s0, s14, s11
	s_cselect_b32 s11, s15, s13
	v_readfirstlane_b32 s13, v1
	s_cmpk_gt_u32 s13, 0x2ff
	s_cselect_b32 s13, -1, 0
	s_cmp_eq_u32 s16, 0
	s_cselect_b32 s13, s13, -1
	s_cmp_lg_u32 s13, 0
	s_cselect_b32 s1, s11, s1
	s_cselect_b32 s0, s0, s10
	s_mul_i32 s10, s1, 0x300
	s_mul_hi_u32 s11, s0, 0x300
	s_add_i32 s11, s11, s10
	s_mul_i32 s10, s0, 0x300
	s_sub_u32 s10, s8, s10
	s_subb_u32 s11, s9, s11
	s_cmp_lg_u64 s[10:11], 0
	s_cselect_b64 s[10:11], -1, 0
	v_cndmask_b32_e64 v2, 0, 1, s[10:11]
	v_mov_b32_e32 v3, s3
	v_lshl_add_u64 v[10:11], s[0:1], 0, v[2:3]
	s_add_u32 s10, s6, s2
	s_addc_u32 s11, s7, 0
	v_lshl_add_u64 v[6:7], v[10:11], 0, -1
	v_cmp_ge_u64_e64 s[0:1], s[10:11], v[6:7]
	s_mul_i32 s12, s2, 0x300
	s_mov_b64 s[14:15], -1
	s_and_b64 vcc, exec, s[0:1]
	s_cbranch_vccz .LBB779_8
; %bb.1:
	s_movk_i32 s9, 0xfd00
	s_mov_b32 s13, s3
	v_mul_lo_u32 v1, v6, s9
	s_lshl_b64 s[14:15], s[12:13], 2
	v_add_u32_e32 v1, s8, v1
	s_add_u32 s14, s18, s14
	s_addc_u32 s15, s19, s15
	v_cmp_lt_u32_e32 vcc, v0, v1
                                        ; implicit-def: $vgpr2_vgpr3_vgpr4
	s_and_saveexec_b64 s[16:17], vcc
	s_cbranch_execz .LBB779_3
; %bb.2:
	v_lshlrev_b32_e32 v2, 2, v0
	global_load_dword v2, v2, s[14:15]
.LBB779_3:
	s_or_b64 exec, exec, s[16:17]
	v_or_b32_e32 v5, 0x100, v0
	v_cmp_lt_u32_e32 vcc, v5, v1
	s_and_saveexec_b64 s[16:17], vcc
	s_cbranch_execz .LBB779_5
; %bb.4:
	v_lshlrev_b32_e32 v3, 2, v0
	global_load_dword v3, v3, s[14:15] offset:1024
.LBB779_5:
	s_or_b64 exec, exec, s[16:17]
	v_or_b32_e32 v5, 0x200, v0
	v_cmp_lt_u32_e32 vcc, v5, v1
	s_and_saveexec_b64 s[16:17], vcc
	s_cbranch_execz .LBB779_7
; %bb.6:
	v_lshlrev_b32_e32 v1, 2, v0
	global_load_dword v4, v1, s[14:15] offset:2048
.LBB779_7:
	s_or_b64 exec, exec, s[16:17]
	v_lshlrev_b32_e32 v1, 2, v0
	s_mov_b64 s[14:15], 0
	s_waitcnt vmcnt(0)
	ds_write2st64_b32 v1, v2, v3 offset1:4
	ds_write_b32 v1, v4 offset:2048
	s_waitcnt lgkmcnt(0)
	s_barrier
.LBB779_8:
	s_and_b64 vcc, exec, s[14:15]
	v_lshlrev_b32_e32 v1, 2, v0
	s_cbranch_vccz .LBB779_10
; %bb.9:
	s_mov_b32 s13, 0
	s_lshl_b64 s[12:13], s[12:13], 2
	s_add_u32 s12, s18, s12
	s_addc_u32 s13, s19, s13
	global_load_dword v2, v1, s[12:13]
	global_load_dword v3, v1, s[12:13] offset:1024
	global_load_dword v4, v1, s[12:13] offset:2048
	s_waitcnt vmcnt(1)
	ds_write2st64_b32 v1, v2, v3 offset1:4
	s_waitcnt vmcnt(0)
	ds_write_b32 v1, v4 offset:2048
	s_waitcnt lgkmcnt(0)
	s_barrier
.LBB779_10:
	v_mul_u32_u24_e32 v2, 3, v0
	v_lshlrev_b32_e32 v3, 2, v2
	ds_read_b32 v2, v3
	ds_read2_b32 v[4:5], v3 offset0:1 offset1:2
	s_cmp_eq_u64 s[10:11], 0
	s_waitcnt lgkmcnt(0)
	s_barrier
	s_cbranch_scc1 .LBB779_15
; %bb.11:
	s_lshl_b64 s[6:7], s[6:7], 2
	s_add_u32 s4, s4, s6
	s_addc_u32 s5, s5, s7
	s_lshl_b64 s[2:3], s[2:3], 2
	s_add_u32 s2, s4, s2
	s_addc_u32 s3, s5, s3
	s_add_u32 s2, s2, -4
	s_addc_u32 s3, s3, -1
	s_load_dword s4, s[2:3], 0x0
	v_cmp_eq_u64_e32 vcc, s[10:11], v[6:7]
	s_cbranch_vccnz .LBB779_17
; %bb.12:
	v_cmp_ne_u32_e32 vcc, 0, v0
	s_waitcnt lgkmcnt(0)
	v_mov_b32_e32 v6, s4
	ds_write_b32 v1, v5
	s_waitcnt lgkmcnt(0)
	s_barrier
	s_and_saveexec_b64 s[2:3], vcc
	s_cbranch_execz .LBB779_14
; %bb.13:
	v_add_u32_e32 v3, -4, v1
	ds_read_b32 v6, v3
.LBB779_14:
	s_or_b64 exec, exec, s[2:3]
	v_mov_b32_e32 v3, v4
	v_pk_add_f32 v[8:9], v[4:5], v[2:3] neg_lo:[0,1] neg_hi:[0,1]
	s_waitcnt lgkmcnt(0)
	v_sub_f32_e32 v6, v2, v6
	s_branch .LBB779_21
.LBB779_15:
	s_mov_b64 s[4:5], 0
                                        ; implicit-def: $vgpr9
                                        ; implicit-def: $vgpr6
	s_branch .LBB779_22
.LBB779_16:
                                        ; implicit-def: $vgpr7
                                        ; implicit-def: $vgpr2_vgpr3_vgpr4
	s_and_saveexec_b64 s[2:3], s[4:5]
	s_cbranch_execnz .LBB779_31
	s_branch .LBB779_32
.LBB779_17:
                                        ; implicit-def: $vgpr9
                                        ; implicit-def: $vgpr6
	s_cbranch_execz .LBB779_21
; %bb.18:
	v_mul_u32_u24_e32 v3, 3, v0
	v_cmp_ne_u32_e32 vcc, 0, v0
	s_waitcnt lgkmcnt(0)
	v_mov_b32_e32 v6, s4
	ds_write_b32 v1, v5
	s_waitcnt lgkmcnt(0)
	s_barrier
	s_and_saveexec_b64 s[2:3], vcc
	s_cbranch_execz .LBB779_20
; %bb.19:
	v_add_u32_e32 v6, -4, v1
	ds_read_b32 v6, v6
.LBB779_20:
	s_or_b64 exec, exec, s[2:3]
	s_mul_i32 s2, s10, 0xfffffd00
	s_add_i32 s2, s2, s8
	v_add_u32_e32 v7, 2, v3
	v_mov_b32_e32 v8, v5
	v_pk_add_f32 v[8:9], v[8:9], v[4:5] neg_lo:[0,1] neg_hi:[0,1]
	v_cmp_gt_u32_e32 vcc, s2, v7
	v_add_u32_e32 v7, 1, v3
	s_waitcnt lgkmcnt(0)
	v_sub_f32_e32 v6, v2, v6
	v_cndmask_b32_e32 v9, v5, v8, vcc
	v_sub_f32_e32 v8, v4, v2
	v_cmp_gt_u32_e32 vcc, s2, v7
	s_nop 1
	v_cndmask_b32_e32 v8, v4, v8, vcc
	v_cmp_gt_u32_e32 vcc, s2, v3
	s_nop 1
	v_cndmask_b32_e32 v6, v2, v6, vcc
.LBB779_21:
	s_waitcnt lgkmcnt(0)
	s_mov_b64 s[4:5], -1
	s_cbranch_execnz .LBB779_16
.LBB779_22:
	v_cmp_ne_u64_e32 vcc, 1, v[10:11]
	v_cmp_ne_u32_e64 s[2:3], 0, v0
	s_cbranch_vccz .LBB779_27
; %bb.23:
	v_mov_b32_e32 v3, v4
	v_pk_add_f32 v[8:9], v[4:5], v[2:3] neg_lo:[0,1] neg_hi:[0,1]
	s_mov_b32 s9, 0
	ds_write_b32 v1, v5
	s_waitcnt lgkmcnt(0)
	s_barrier
	s_waitcnt lgkmcnt(0)
                                        ; implicit-def: $vgpr6
	s_and_saveexec_b64 s[6:7], s[2:3]
	s_cbranch_execz .LBB779_25
; %bb.24:
	v_add_u32_e32 v3, -4, v1
	ds_read_b32 v3, v3
	s_or_b64 s[4:5], s[4:5], exec
	s_waitcnt lgkmcnt(0)
	v_sub_f32_e32 v6, v2, v3
.LBB779_25:
	s_or_b64 exec, exec, s[6:7]
.LBB779_26:
	v_mov_b32_e32 v7, s9
	s_and_saveexec_b64 s[2:3], s[4:5]
	s_cbranch_execnz .LBB779_31
	s_branch .LBB779_32
.LBB779_27:
                                        ; implicit-def: $vgpr9
                                        ; implicit-def: $vgpr6
                                        ; implicit-def: $sgpr9
	s_cbranch_execz .LBB779_26
; %bb.28:
	v_mad_u32_u24 v8, v0, 3, 2
	v_mov_b32_e32 v6, v5
	v_pk_add_f32 v[6:7], v[6:7], v[4:5] neg_lo:[0,1] neg_hi:[0,1]
	v_cmp_gt_u32_e32 vcc, s8, v8
	ds_write_b32 v1, v5
	v_mul_u32_u24_e32 v3, 3, v0
	v_cndmask_b32_e32 v9, v5, v6, vcc
	v_mad_u32_u24 v5, v0, 3, 1
	v_sub_f32_e32 v6, v4, v2
	v_cmp_gt_u32_e32 vcc, s8, v5
	v_cmp_gt_u32_e64 s[2:3], s8, v3
	s_waitcnt lgkmcnt(0)
	v_cndmask_b32_e32 v8, v4, v6, vcc
	v_cmp_ne_u32_e32 vcc, 0, v0
	s_and_b64 s[6:7], vcc, s[2:3]
	s_barrier
	s_waitcnt lgkmcnt(0)
                                        ; implicit-def: $vgpr6
	s_and_saveexec_b64 s[2:3], s[6:7]
	s_cbranch_execz .LBB779_30
; %bb.29:
	v_add_u32_e32 v1, -4, v1
	ds_read_b32 v1, v1
	s_or_b64 s[4:5], s[4:5], exec
	s_waitcnt lgkmcnt(0)
	v_sub_f32_e32 v6, v2, v1
                                        ; implicit-def: $vgpr2_vgpr3_vgpr4
.LBB779_30:
	s_or_b64 exec, exec, s[2:3]
	v_mov_b32_e32 v7, v0
	s_and_saveexec_b64 s[2:3], s[4:5]
.LBB779_31:
	v_mov_b32_e32 v2, v6
	v_mov_b32_e32 v3, v7
	;; [unrolled: 1-line block ×4, first 2 shown]
.LBB779_32:
	s_or_b64 exec, exec, s[2:3]
	v_mul_i32_i24_e32 v0, 12, v7
	s_mov_b64 s[2:3], -1
	s_and_b64 vcc, exec, s[0:1]
	s_barrier
	ds_write2_b32 v0, v2, v8 offset1:1
	ds_write_b32 v0, v9 offset:8
	s_waitcnt lgkmcnt(0)
	s_cbranch_vccnz .LBB779_35
; %bb.33:
	s_andn2_b64 vcc, exec, s[2:3]
	s_cbranch_vccz .LBB779_36
.LBB779_34:
	s_endpgm
.LBB779_35:
	s_barrier
	s_cbranch_execnz .LBB779_34
.LBB779_36:
	s_barrier
	s_endpgm
	.section	.rodata,"a",@progbits
	.p2align	6, 0x0
	.amdhsa_kernel _ZN7rocprim17ROCPRIM_400000_NS6detail17trampoline_kernelINS0_14default_configENS1_35adjacent_difference_config_selectorILb1EfEEZNS1_24adjacent_difference_implIS3_Lb1ELb0EPfN6thrust23THRUST_200600_302600_NS16discard_iteratorINS9_11use_defaultEEENS9_5minusIfEEEE10hipError_tPvRmT2_T3_mT4_P12ihipStream_tbEUlT_E_NS1_11comp_targetILNS1_3genE5ELNS1_11target_archE942ELNS1_3gpuE9ELNS1_3repE0EEENS1_30default_config_static_selectorELNS0_4arch9wavefront6targetE1EEEvT1_
		.amdhsa_group_segment_fixed_size 3072
		.amdhsa_private_segment_fixed_size 0
		.amdhsa_kernarg_size 64
		.amdhsa_user_sgpr_count 2
		.amdhsa_user_sgpr_dispatch_ptr 0
		.amdhsa_user_sgpr_queue_ptr 0
		.amdhsa_user_sgpr_kernarg_segment_ptr 1
		.amdhsa_user_sgpr_dispatch_id 0
		.amdhsa_user_sgpr_kernarg_preload_length 0
		.amdhsa_user_sgpr_kernarg_preload_offset 0
		.amdhsa_user_sgpr_private_segment_size 0
		.amdhsa_uses_dynamic_stack 0
		.amdhsa_enable_private_segment 0
		.amdhsa_system_sgpr_workgroup_id_x 1
		.amdhsa_system_sgpr_workgroup_id_y 0
		.amdhsa_system_sgpr_workgroup_id_z 0
		.amdhsa_system_sgpr_workgroup_info 0
		.amdhsa_system_vgpr_workitem_id 0
		.amdhsa_next_free_vgpr 12
		.amdhsa_next_free_sgpr 20
		.amdhsa_accum_offset 12
		.amdhsa_reserve_vcc 1
		.amdhsa_float_round_mode_32 0
		.amdhsa_float_round_mode_16_64 0
		.amdhsa_float_denorm_mode_32 3
		.amdhsa_float_denorm_mode_16_64 3
		.amdhsa_dx10_clamp 1
		.amdhsa_ieee_mode 1
		.amdhsa_fp16_overflow 0
		.amdhsa_tg_split 0
		.amdhsa_exception_fp_ieee_invalid_op 0
		.amdhsa_exception_fp_denorm_src 0
		.amdhsa_exception_fp_ieee_div_zero 0
		.amdhsa_exception_fp_ieee_overflow 0
		.amdhsa_exception_fp_ieee_underflow 0
		.amdhsa_exception_fp_ieee_inexact 0
		.amdhsa_exception_int_div_zero 0
	.end_amdhsa_kernel
	.section	.text._ZN7rocprim17ROCPRIM_400000_NS6detail17trampoline_kernelINS0_14default_configENS1_35adjacent_difference_config_selectorILb1EfEEZNS1_24adjacent_difference_implIS3_Lb1ELb0EPfN6thrust23THRUST_200600_302600_NS16discard_iteratorINS9_11use_defaultEEENS9_5minusIfEEEE10hipError_tPvRmT2_T3_mT4_P12ihipStream_tbEUlT_E_NS1_11comp_targetILNS1_3genE5ELNS1_11target_archE942ELNS1_3gpuE9ELNS1_3repE0EEENS1_30default_config_static_selectorELNS0_4arch9wavefront6targetE1EEEvT1_,"axG",@progbits,_ZN7rocprim17ROCPRIM_400000_NS6detail17trampoline_kernelINS0_14default_configENS1_35adjacent_difference_config_selectorILb1EfEEZNS1_24adjacent_difference_implIS3_Lb1ELb0EPfN6thrust23THRUST_200600_302600_NS16discard_iteratorINS9_11use_defaultEEENS9_5minusIfEEEE10hipError_tPvRmT2_T3_mT4_P12ihipStream_tbEUlT_E_NS1_11comp_targetILNS1_3genE5ELNS1_11target_archE942ELNS1_3gpuE9ELNS1_3repE0EEENS1_30default_config_static_selectorELNS0_4arch9wavefront6targetE1EEEvT1_,comdat
.Lfunc_end779:
	.size	_ZN7rocprim17ROCPRIM_400000_NS6detail17trampoline_kernelINS0_14default_configENS1_35adjacent_difference_config_selectorILb1EfEEZNS1_24adjacent_difference_implIS3_Lb1ELb0EPfN6thrust23THRUST_200600_302600_NS16discard_iteratorINS9_11use_defaultEEENS9_5minusIfEEEE10hipError_tPvRmT2_T3_mT4_P12ihipStream_tbEUlT_E_NS1_11comp_targetILNS1_3genE5ELNS1_11target_archE942ELNS1_3gpuE9ELNS1_3repE0EEENS1_30default_config_static_selectorELNS0_4arch9wavefront6targetE1EEEvT1_, .Lfunc_end779-_ZN7rocprim17ROCPRIM_400000_NS6detail17trampoline_kernelINS0_14default_configENS1_35adjacent_difference_config_selectorILb1EfEEZNS1_24adjacent_difference_implIS3_Lb1ELb0EPfN6thrust23THRUST_200600_302600_NS16discard_iteratorINS9_11use_defaultEEENS9_5minusIfEEEE10hipError_tPvRmT2_T3_mT4_P12ihipStream_tbEUlT_E_NS1_11comp_targetILNS1_3genE5ELNS1_11target_archE942ELNS1_3gpuE9ELNS1_3repE0EEENS1_30default_config_static_selectorELNS0_4arch9wavefront6targetE1EEEvT1_
                                        ; -- End function
	.section	.AMDGPU.csdata,"",@progbits
; Kernel info:
; codeLenInByte = 1320
; NumSgprs: 26
; NumVgprs: 12
; NumAgprs: 0
; TotalNumVgprs: 12
; ScratchSize: 0
; MemoryBound: 0
; FloatMode: 240
; IeeeMode: 1
; LDSByteSize: 3072 bytes/workgroup (compile time only)
; SGPRBlocks: 3
; VGPRBlocks: 1
; NumSGPRsForWavesPerEU: 26
; NumVGPRsForWavesPerEU: 12
; AccumOffset: 12
; Occupancy: 8
; WaveLimiterHint : 1
; COMPUTE_PGM_RSRC2:SCRATCH_EN: 0
; COMPUTE_PGM_RSRC2:USER_SGPR: 2
; COMPUTE_PGM_RSRC2:TRAP_HANDLER: 0
; COMPUTE_PGM_RSRC2:TGID_X_EN: 1
; COMPUTE_PGM_RSRC2:TGID_Y_EN: 0
; COMPUTE_PGM_RSRC2:TGID_Z_EN: 0
; COMPUTE_PGM_RSRC2:TIDIG_COMP_CNT: 0
; COMPUTE_PGM_RSRC3_GFX90A:ACCUM_OFFSET: 2
; COMPUTE_PGM_RSRC3_GFX90A:TG_SPLIT: 0
	.section	.text._ZN7rocprim17ROCPRIM_400000_NS6detail17trampoline_kernelINS0_14default_configENS1_35adjacent_difference_config_selectorILb1EfEEZNS1_24adjacent_difference_implIS3_Lb1ELb0EPfN6thrust23THRUST_200600_302600_NS16discard_iteratorINS9_11use_defaultEEENS9_5minusIfEEEE10hipError_tPvRmT2_T3_mT4_P12ihipStream_tbEUlT_E_NS1_11comp_targetILNS1_3genE4ELNS1_11target_archE910ELNS1_3gpuE8ELNS1_3repE0EEENS1_30default_config_static_selectorELNS0_4arch9wavefront6targetE1EEEvT1_,"axG",@progbits,_ZN7rocprim17ROCPRIM_400000_NS6detail17trampoline_kernelINS0_14default_configENS1_35adjacent_difference_config_selectorILb1EfEEZNS1_24adjacent_difference_implIS3_Lb1ELb0EPfN6thrust23THRUST_200600_302600_NS16discard_iteratorINS9_11use_defaultEEENS9_5minusIfEEEE10hipError_tPvRmT2_T3_mT4_P12ihipStream_tbEUlT_E_NS1_11comp_targetILNS1_3genE4ELNS1_11target_archE910ELNS1_3gpuE8ELNS1_3repE0EEENS1_30default_config_static_selectorELNS0_4arch9wavefront6targetE1EEEvT1_,comdat
	.protected	_ZN7rocprim17ROCPRIM_400000_NS6detail17trampoline_kernelINS0_14default_configENS1_35adjacent_difference_config_selectorILb1EfEEZNS1_24adjacent_difference_implIS3_Lb1ELb0EPfN6thrust23THRUST_200600_302600_NS16discard_iteratorINS9_11use_defaultEEENS9_5minusIfEEEE10hipError_tPvRmT2_T3_mT4_P12ihipStream_tbEUlT_E_NS1_11comp_targetILNS1_3genE4ELNS1_11target_archE910ELNS1_3gpuE8ELNS1_3repE0EEENS1_30default_config_static_selectorELNS0_4arch9wavefront6targetE1EEEvT1_ ; -- Begin function _ZN7rocprim17ROCPRIM_400000_NS6detail17trampoline_kernelINS0_14default_configENS1_35adjacent_difference_config_selectorILb1EfEEZNS1_24adjacent_difference_implIS3_Lb1ELb0EPfN6thrust23THRUST_200600_302600_NS16discard_iteratorINS9_11use_defaultEEENS9_5minusIfEEEE10hipError_tPvRmT2_T3_mT4_P12ihipStream_tbEUlT_E_NS1_11comp_targetILNS1_3genE4ELNS1_11target_archE910ELNS1_3gpuE8ELNS1_3repE0EEENS1_30default_config_static_selectorELNS0_4arch9wavefront6targetE1EEEvT1_
	.globl	_ZN7rocprim17ROCPRIM_400000_NS6detail17trampoline_kernelINS0_14default_configENS1_35adjacent_difference_config_selectorILb1EfEEZNS1_24adjacent_difference_implIS3_Lb1ELb0EPfN6thrust23THRUST_200600_302600_NS16discard_iteratorINS9_11use_defaultEEENS9_5minusIfEEEE10hipError_tPvRmT2_T3_mT4_P12ihipStream_tbEUlT_E_NS1_11comp_targetILNS1_3genE4ELNS1_11target_archE910ELNS1_3gpuE8ELNS1_3repE0EEENS1_30default_config_static_selectorELNS0_4arch9wavefront6targetE1EEEvT1_
	.p2align	8
	.type	_ZN7rocprim17ROCPRIM_400000_NS6detail17trampoline_kernelINS0_14default_configENS1_35adjacent_difference_config_selectorILb1EfEEZNS1_24adjacent_difference_implIS3_Lb1ELb0EPfN6thrust23THRUST_200600_302600_NS16discard_iteratorINS9_11use_defaultEEENS9_5minusIfEEEE10hipError_tPvRmT2_T3_mT4_P12ihipStream_tbEUlT_E_NS1_11comp_targetILNS1_3genE4ELNS1_11target_archE910ELNS1_3gpuE8ELNS1_3repE0EEENS1_30default_config_static_selectorELNS0_4arch9wavefront6targetE1EEEvT1_,@function
_ZN7rocprim17ROCPRIM_400000_NS6detail17trampoline_kernelINS0_14default_configENS1_35adjacent_difference_config_selectorILb1EfEEZNS1_24adjacent_difference_implIS3_Lb1ELb0EPfN6thrust23THRUST_200600_302600_NS16discard_iteratorINS9_11use_defaultEEENS9_5minusIfEEEE10hipError_tPvRmT2_T3_mT4_P12ihipStream_tbEUlT_E_NS1_11comp_targetILNS1_3genE4ELNS1_11target_archE910ELNS1_3gpuE8ELNS1_3repE0EEENS1_30default_config_static_selectorELNS0_4arch9wavefront6targetE1EEEvT1_: ; @_ZN7rocprim17ROCPRIM_400000_NS6detail17trampoline_kernelINS0_14default_configENS1_35adjacent_difference_config_selectorILb1EfEEZNS1_24adjacent_difference_implIS3_Lb1ELb0EPfN6thrust23THRUST_200600_302600_NS16discard_iteratorINS9_11use_defaultEEENS9_5minusIfEEEE10hipError_tPvRmT2_T3_mT4_P12ihipStream_tbEUlT_E_NS1_11comp_targetILNS1_3genE4ELNS1_11target_archE910ELNS1_3gpuE8ELNS1_3repE0EEENS1_30default_config_static_selectorELNS0_4arch9wavefront6targetE1EEEvT1_
; %bb.0:
	.section	.rodata,"a",@progbits
	.p2align	6, 0x0
	.amdhsa_kernel _ZN7rocprim17ROCPRIM_400000_NS6detail17trampoline_kernelINS0_14default_configENS1_35adjacent_difference_config_selectorILb1EfEEZNS1_24adjacent_difference_implIS3_Lb1ELb0EPfN6thrust23THRUST_200600_302600_NS16discard_iteratorINS9_11use_defaultEEENS9_5minusIfEEEE10hipError_tPvRmT2_T3_mT4_P12ihipStream_tbEUlT_E_NS1_11comp_targetILNS1_3genE4ELNS1_11target_archE910ELNS1_3gpuE8ELNS1_3repE0EEENS1_30default_config_static_selectorELNS0_4arch9wavefront6targetE1EEEvT1_
		.amdhsa_group_segment_fixed_size 0
		.amdhsa_private_segment_fixed_size 0
		.amdhsa_kernarg_size 64
		.amdhsa_user_sgpr_count 2
		.amdhsa_user_sgpr_dispatch_ptr 0
		.amdhsa_user_sgpr_queue_ptr 0
		.amdhsa_user_sgpr_kernarg_segment_ptr 1
		.amdhsa_user_sgpr_dispatch_id 0
		.amdhsa_user_sgpr_kernarg_preload_length 0
		.amdhsa_user_sgpr_kernarg_preload_offset 0
		.amdhsa_user_sgpr_private_segment_size 0
		.amdhsa_uses_dynamic_stack 0
		.amdhsa_enable_private_segment 0
		.amdhsa_system_sgpr_workgroup_id_x 1
		.amdhsa_system_sgpr_workgroup_id_y 0
		.amdhsa_system_sgpr_workgroup_id_z 0
		.amdhsa_system_sgpr_workgroup_info 0
		.amdhsa_system_vgpr_workitem_id 0
		.amdhsa_next_free_vgpr 1
		.amdhsa_next_free_sgpr 0
		.amdhsa_accum_offset 4
		.amdhsa_reserve_vcc 0
		.amdhsa_float_round_mode_32 0
		.amdhsa_float_round_mode_16_64 0
		.amdhsa_float_denorm_mode_32 3
		.amdhsa_float_denorm_mode_16_64 3
		.amdhsa_dx10_clamp 1
		.amdhsa_ieee_mode 1
		.amdhsa_fp16_overflow 0
		.amdhsa_tg_split 0
		.amdhsa_exception_fp_ieee_invalid_op 0
		.amdhsa_exception_fp_denorm_src 0
		.amdhsa_exception_fp_ieee_div_zero 0
		.amdhsa_exception_fp_ieee_overflow 0
		.amdhsa_exception_fp_ieee_underflow 0
		.amdhsa_exception_fp_ieee_inexact 0
		.amdhsa_exception_int_div_zero 0
	.end_amdhsa_kernel
	.section	.text._ZN7rocprim17ROCPRIM_400000_NS6detail17trampoline_kernelINS0_14default_configENS1_35adjacent_difference_config_selectorILb1EfEEZNS1_24adjacent_difference_implIS3_Lb1ELb0EPfN6thrust23THRUST_200600_302600_NS16discard_iteratorINS9_11use_defaultEEENS9_5minusIfEEEE10hipError_tPvRmT2_T3_mT4_P12ihipStream_tbEUlT_E_NS1_11comp_targetILNS1_3genE4ELNS1_11target_archE910ELNS1_3gpuE8ELNS1_3repE0EEENS1_30default_config_static_selectorELNS0_4arch9wavefront6targetE1EEEvT1_,"axG",@progbits,_ZN7rocprim17ROCPRIM_400000_NS6detail17trampoline_kernelINS0_14default_configENS1_35adjacent_difference_config_selectorILb1EfEEZNS1_24adjacent_difference_implIS3_Lb1ELb0EPfN6thrust23THRUST_200600_302600_NS16discard_iteratorINS9_11use_defaultEEENS9_5minusIfEEEE10hipError_tPvRmT2_T3_mT4_P12ihipStream_tbEUlT_E_NS1_11comp_targetILNS1_3genE4ELNS1_11target_archE910ELNS1_3gpuE8ELNS1_3repE0EEENS1_30default_config_static_selectorELNS0_4arch9wavefront6targetE1EEEvT1_,comdat
.Lfunc_end780:
	.size	_ZN7rocprim17ROCPRIM_400000_NS6detail17trampoline_kernelINS0_14default_configENS1_35adjacent_difference_config_selectorILb1EfEEZNS1_24adjacent_difference_implIS3_Lb1ELb0EPfN6thrust23THRUST_200600_302600_NS16discard_iteratorINS9_11use_defaultEEENS9_5minusIfEEEE10hipError_tPvRmT2_T3_mT4_P12ihipStream_tbEUlT_E_NS1_11comp_targetILNS1_3genE4ELNS1_11target_archE910ELNS1_3gpuE8ELNS1_3repE0EEENS1_30default_config_static_selectorELNS0_4arch9wavefront6targetE1EEEvT1_, .Lfunc_end780-_ZN7rocprim17ROCPRIM_400000_NS6detail17trampoline_kernelINS0_14default_configENS1_35adjacent_difference_config_selectorILb1EfEEZNS1_24adjacent_difference_implIS3_Lb1ELb0EPfN6thrust23THRUST_200600_302600_NS16discard_iteratorINS9_11use_defaultEEENS9_5minusIfEEEE10hipError_tPvRmT2_T3_mT4_P12ihipStream_tbEUlT_E_NS1_11comp_targetILNS1_3genE4ELNS1_11target_archE910ELNS1_3gpuE8ELNS1_3repE0EEENS1_30default_config_static_selectorELNS0_4arch9wavefront6targetE1EEEvT1_
                                        ; -- End function
	.section	.AMDGPU.csdata,"",@progbits
; Kernel info:
; codeLenInByte = 0
; NumSgprs: 6
; NumVgprs: 0
; NumAgprs: 0
; TotalNumVgprs: 0
; ScratchSize: 0
; MemoryBound: 0
; FloatMode: 240
; IeeeMode: 1
; LDSByteSize: 0 bytes/workgroup (compile time only)
; SGPRBlocks: 0
; VGPRBlocks: 0
; NumSGPRsForWavesPerEU: 6
; NumVGPRsForWavesPerEU: 1
; AccumOffset: 4
; Occupancy: 8
; WaveLimiterHint : 0
; COMPUTE_PGM_RSRC2:SCRATCH_EN: 0
; COMPUTE_PGM_RSRC2:USER_SGPR: 2
; COMPUTE_PGM_RSRC2:TRAP_HANDLER: 0
; COMPUTE_PGM_RSRC2:TGID_X_EN: 1
; COMPUTE_PGM_RSRC2:TGID_Y_EN: 0
; COMPUTE_PGM_RSRC2:TGID_Z_EN: 0
; COMPUTE_PGM_RSRC2:TIDIG_COMP_CNT: 0
; COMPUTE_PGM_RSRC3_GFX90A:ACCUM_OFFSET: 0
; COMPUTE_PGM_RSRC3_GFX90A:TG_SPLIT: 0
	.section	.text._ZN7rocprim17ROCPRIM_400000_NS6detail17trampoline_kernelINS0_14default_configENS1_35adjacent_difference_config_selectorILb1EfEEZNS1_24adjacent_difference_implIS3_Lb1ELb0EPfN6thrust23THRUST_200600_302600_NS16discard_iteratorINS9_11use_defaultEEENS9_5minusIfEEEE10hipError_tPvRmT2_T3_mT4_P12ihipStream_tbEUlT_E_NS1_11comp_targetILNS1_3genE3ELNS1_11target_archE908ELNS1_3gpuE7ELNS1_3repE0EEENS1_30default_config_static_selectorELNS0_4arch9wavefront6targetE1EEEvT1_,"axG",@progbits,_ZN7rocprim17ROCPRIM_400000_NS6detail17trampoline_kernelINS0_14default_configENS1_35adjacent_difference_config_selectorILb1EfEEZNS1_24adjacent_difference_implIS3_Lb1ELb0EPfN6thrust23THRUST_200600_302600_NS16discard_iteratorINS9_11use_defaultEEENS9_5minusIfEEEE10hipError_tPvRmT2_T3_mT4_P12ihipStream_tbEUlT_E_NS1_11comp_targetILNS1_3genE3ELNS1_11target_archE908ELNS1_3gpuE7ELNS1_3repE0EEENS1_30default_config_static_selectorELNS0_4arch9wavefront6targetE1EEEvT1_,comdat
	.protected	_ZN7rocprim17ROCPRIM_400000_NS6detail17trampoline_kernelINS0_14default_configENS1_35adjacent_difference_config_selectorILb1EfEEZNS1_24adjacent_difference_implIS3_Lb1ELb0EPfN6thrust23THRUST_200600_302600_NS16discard_iteratorINS9_11use_defaultEEENS9_5minusIfEEEE10hipError_tPvRmT2_T3_mT4_P12ihipStream_tbEUlT_E_NS1_11comp_targetILNS1_3genE3ELNS1_11target_archE908ELNS1_3gpuE7ELNS1_3repE0EEENS1_30default_config_static_selectorELNS0_4arch9wavefront6targetE1EEEvT1_ ; -- Begin function _ZN7rocprim17ROCPRIM_400000_NS6detail17trampoline_kernelINS0_14default_configENS1_35adjacent_difference_config_selectorILb1EfEEZNS1_24adjacent_difference_implIS3_Lb1ELb0EPfN6thrust23THRUST_200600_302600_NS16discard_iteratorINS9_11use_defaultEEENS9_5minusIfEEEE10hipError_tPvRmT2_T3_mT4_P12ihipStream_tbEUlT_E_NS1_11comp_targetILNS1_3genE3ELNS1_11target_archE908ELNS1_3gpuE7ELNS1_3repE0EEENS1_30default_config_static_selectorELNS0_4arch9wavefront6targetE1EEEvT1_
	.globl	_ZN7rocprim17ROCPRIM_400000_NS6detail17trampoline_kernelINS0_14default_configENS1_35adjacent_difference_config_selectorILb1EfEEZNS1_24adjacent_difference_implIS3_Lb1ELb0EPfN6thrust23THRUST_200600_302600_NS16discard_iteratorINS9_11use_defaultEEENS9_5minusIfEEEE10hipError_tPvRmT2_T3_mT4_P12ihipStream_tbEUlT_E_NS1_11comp_targetILNS1_3genE3ELNS1_11target_archE908ELNS1_3gpuE7ELNS1_3repE0EEENS1_30default_config_static_selectorELNS0_4arch9wavefront6targetE1EEEvT1_
	.p2align	8
	.type	_ZN7rocprim17ROCPRIM_400000_NS6detail17trampoline_kernelINS0_14default_configENS1_35adjacent_difference_config_selectorILb1EfEEZNS1_24adjacent_difference_implIS3_Lb1ELb0EPfN6thrust23THRUST_200600_302600_NS16discard_iteratorINS9_11use_defaultEEENS9_5minusIfEEEE10hipError_tPvRmT2_T3_mT4_P12ihipStream_tbEUlT_E_NS1_11comp_targetILNS1_3genE3ELNS1_11target_archE908ELNS1_3gpuE7ELNS1_3repE0EEENS1_30default_config_static_selectorELNS0_4arch9wavefront6targetE1EEEvT1_,@function
_ZN7rocprim17ROCPRIM_400000_NS6detail17trampoline_kernelINS0_14default_configENS1_35adjacent_difference_config_selectorILb1EfEEZNS1_24adjacent_difference_implIS3_Lb1ELb0EPfN6thrust23THRUST_200600_302600_NS16discard_iteratorINS9_11use_defaultEEENS9_5minusIfEEEE10hipError_tPvRmT2_T3_mT4_P12ihipStream_tbEUlT_E_NS1_11comp_targetILNS1_3genE3ELNS1_11target_archE908ELNS1_3gpuE7ELNS1_3repE0EEENS1_30default_config_static_selectorELNS0_4arch9wavefront6targetE1EEEvT1_: ; @_ZN7rocprim17ROCPRIM_400000_NS6detail17trampoline_kernelINS0_14default_configENS1_35adjacent_difference_config_selectorILb1EfEEZNS1_24adjacent_difference_implIS3_Lb1ELb0EPfN6thrust23THRUST_200600_302600_NS16discard_iteratorINS9_11use_defaultEEENS9_5minusIfEEEE10hipError_tPvRmT2_T3_mT4_P12ihipStream_tbEUlT_E_NS1_11comp_targetILNS1_3genE3ELNS1_11target_archE908ELNS1_3gpuE7ELNS1_3repE0EEENS1_30default_config_static_selectorELNS0_4arch9wavefront6targetE1EEEvT1_
; %bb.0:
	.section	.rodata,"a",@progbits
	.p2align	6, 0x0
	.amdhsa_kernel _ZN7rocprim17ROCPRIM_400000_NS6detail17trampoline_kernelINS0_14default_configENS1_35adjacent_difference_config_selectorILb1EfEEZNS1_24adjacent_difference_implIS3_Lb1ELb0EPfN6thrust23THRUST_200600_302600_NS16discard_iteratorINS9_11use_defaultEEENS9_5minusIfEEEE10hipError_tPvRmT2_T3_mT4_P12ihipStream_tbEUlT_E_NS1_11comp_targetILNS1_3genE3ELNS1_11target_archE908ELNS1_3gpuE7ELNS1_3repE0EEENS1_30default_config_static_selectorELNS0_4arch9wavefront6targetE1EEEvT1_
		.amdhsa_group_segment_fixed_size 0
		.amdhsa_private_segment_fixed_size 0
		.amdhsa_kernarg_size 64
		.amdhsa_user_sgpr_count 2
		.amdhsa_user_sgpr_dispatch_ptr 0
		.amdhsa_user_sgpr_queue_ptr 0
		.amdhsa_user_sgpr_kernarg_segment_ptr 1
		.amdhsa_user_sgpr_dispatch_id 0
		.amdhsa_user_sgpr_kernarg_preload_length 0
		.amdhsa_user_sgpr_kernarg_preload_offset 0
		.amdhsa_user_sgpr_private_segment_size 0
		.amdhsa_uses_dynamic_stack 0
		.amdhsa_enable_private_segment 0
		.amdhsa_system_sgpr_workgroup_id_x 1
		.amdhsa_system_sgpr_workgroup_id_y 0
		.amdhsa_system_sgpr_workgroup_id_z 0
		.amdhsa_system_sgpr_workgroup_info 0
		.amdhsa_system_vgpr_workitem_id 0
		.amdhsa_next_free_vgpr 1
		.amdhsa_next_free_sgpr 0
		.amdhsa_accum_offset 4
		.amdhsa_reserve_vcc 0
		.amdhsa_float_round_mode_32 0
		.amdhsa_float_round_mode_16_64 0
		.amdhsa_float_denorm_mode_32 3
		.amdhsa_float_denorm_mode_16_64 3
		.amdhsa_dx10_clamp 1
		.amdhsa_ieee_mode 1
		.amdhsa_fp16_overflow 0
		.amdhsa_tg_split 0
		.amdhsa_exception_fp_ieee_invalid_op 0
		.amdhsa_exception_fp_denorm_src 0
		.amdhsa_exception_fp_ieee_div_zero 0
		.amdhsa_exception_fp_ieee_overflow 0
		.amdhsa_exception_fp_ieee_underflow 0
		.amdhsa_exception_fp_ieee_inexact 0
		.amdhsa_exception_int_div_zero 0
	.end_amdhsa_kernel
	.section	.text._ZN7rocprim17ROCPRIM_400000_NS6detail17trampoline_kernelINS0_14default_configENS1_35adjacent_difference_config_selectorILb1EfEEZNS1_24adjacent_difference_implIS3_Lb1ELb0EPfN6thrust23THRUST_200600_302600_NS16discard_iteratorINS9_11use_defaultEEENS9_5minusIfEEEE10hipError_tPvRmT2_T3_mT4_P12ihipStream_tbEUlT_E_NS1_11comp_targetILNS1_3genE3ELNS1_11target_archE908ELNS1_3gpuE7ELNS1_3repE0EEENS1_30default_config_static_selectorELNS0_4arch9wavefront6targetE1EEEvT1_,"axG",@progbits,_ZN7rocprim17ROCPRIM_400000_NS6detail17trampoline_kernelINS0_14default_configENS1_35adjacent_difference_config_selectorILb1EfEEZNS1_24adjacent_difference_implIS3_Lb1ELb0EPfN6thrust23THRUST_200600_302600_NS16discard_iteratorINS9_11use_defaultEEENS9_5minusIfEEEE10hipError_tPvRmT2_T3_mT4_P12ihipStream_tbEUlT_E_NS1_11comp_targetILNS1_3genE3ELNS1_11target_archE908ELNS1_3gpuE7ELNS1_3repE0EEENS1_30default_config_static_selectorELNS0_4arch9wavefront6targetE1EEEvT1_,comdat
.Lfunc_end781:
	.size	_ZN7rocprim17ROCPRIM_400000_NS6detail17trampoline_kernelINS0_14default_configENS1_35adjacent_difference_config_selectorILb1EfEEZNS1_24adjacent_difference_implIS3_Lb1ELb0EPfN6thrust23THRUST_200600_302600_NS16discard_iteratorINS9_11use_defaultEEENS9_5minusIfEEEE10hipError_tPvRmT2_T3_mT4_P12ihipStream_tbEUlT_E_NS1_11comp_targetILNS1_3genE3ELNS1_11target_archE908ELNS1_3gpuE7ELNS1_3repE0EEENS1_30default_config_static_selectorELNS0_4arch9wavefront6targetE1EEEvT1_, .Lfunc_end781-_ZN7rocprim17ROCPRIM_400000_NS6detail17trampoline_kernelINS0_14default_configENS1_35adjacent_difference_config_selectorILb1EfEEZNS1_24adjacent_difference_implIS3_Lb1ELb0EPfN6thrust23THRUST_200600_302600_NS16discard_iteratorINS9_11use_defaultEEENS9_5minusIfEEEE10hipError_tPvRmT2_T3_mT4_P12ihipStream_tbEUlT_E_NS1_11comp_targetILNS1_3genE3ELNS1_11target_archE908ELNS1_3gpuE7ELNS1_3repE0EEENS1_30default_config_static_selectorELNS0_4arch9wavefront6targetE1EEEvT1_
                                        ; -- End function
	.section	.AMDGPU.csdata,"",@progbits
; Kernel info:
; codeLenInByte = 0
; NumSgprs: 6
; NumVgprs: 0
; NumAgprs: 0
; TotalNumVgprs: 0
; ScratchSize: 0
; MemoryBound: 0
; FloatMode: 240
; IeeeMode: 1
; LDSByteSize: 0 bytes/workgroup (compile time only)
; SGPRBlocks: 0
; VGPRBlocks: 0
; NumSGPRsForWavesPerEU: 6
; NumVGPRsForWavesPerEU: 1
; AccumOffset: 4
; Occupancy: 8
; WaveLimiterHint : 0
; COMPUTE_PGM_RSRC2:SCRATCH_EN: 0
; COMPUTE_PGM_RSRC2:USER_SGPR: 2
; COMPUTE_PGM_RSRC2:TRAP_HANDLER: 0
; COMPUTE_PGM_RSRC2:TGID_X_EN: 1
; COMPUTE_PGM_RSRC2:TGID_Y_EN: 0
; COMPUTE_PGM_RSRC2:TGID_Z_EN: 0
; COMPUTE_PGM_RSRC2:TIDIG_COMP_CNT: 0
; COMPUTE_PGM_RSRC3_GFX90A:ACCUM_OFFSET: 0
; COMPUTE_PGM_RSRC3_GFX90A:TG_SPLIT: 0
	.section	.text._ZN7rocprim17ROCPRIM_400000_NS6detail17trampoline_kernelINS0_14default_configENS1_35adjacent_difference_config_selectorILb1EfEEZNS1_24adjacent_difference_implIS3_Lb1ELb0EPfN6thrust23THRUST_200600_302600_NS16discard_iteratorINS9_11use_defaultEEENS9_5minusIfEEEE10hipError_tPvRmT2_T3_mT4_P12ihipStream_tbEUlT_E_NS1_11comp_targetILNS1_3genE2ELNS1_11target_archE906ELNS1_3gpuE6ELNS1_3repE0EEENS1_30default_config_static_selectorELNS0_4arch9wavefront6targetE1EEEvT1_,"axG",@progbits,_ZN7rocprim17ROCPRIM_400000_NS6detail17trampoline_kernelINS0_14default_configENS1_35adjacent_difference_config_selectorILb1EfEEZNS1_24adjacent_difference_implIS3_Lb1ELb0EPfN6thrust23THRUST_200600_302600_NS16discard_iteratorINS9_11use_defaultEEENS9_5minusIfEEEE10hipError_tPvRmT2_T3_mT4_P12ihipStream_tbEUlT_E_NS1_11comp_targetILNS1_3genE2ELNS1_11target_archE906ELNS1_3gpuE6ELNS1_3repE0EEENS1_30default_config_static_selectorELNS0_4arch9wavefront6targetE1EEEvT1_,comdat
	.protected	_ZN7rocprim17ROCPRIM_400000_NS6detail17trampoline_kernelINS0_14default_configENS1_35adjacent_difference_config_selectorILb1EfEEZNS1_24adjacent_difference_implIS3_Lb1ELb0EPfN6thrust23THRUST_200600_302600_NS16discard_iteratorINS9_11use_defaultEEENS9_5minusIfEEEE10hipError_tPvRmT2_T3_mT4_P12ihipStream_tbEUlT_E_NS1_11comp_targetILNS1_3genE2ELNS1_11target_archE906ELNS1_3gpuE6ELNS1_3repE0EEENS1_30default_config_static_selectorELNS0_4arch9wavefront6targetE1EEEvT1_ ; -- Begin function _ZN7rocprim17ROCPRIM_400000_NS6detail17trampoline_kernelINS0_14default_configENS1_35adjacent_difference_config_selectorILb1EfEEZNS1_24adjacent_difference_implIS3_Lb1ELb0EPfN6thrust23THRUST_200600_302600_NS16discard_iteratorINS9_11use_defaultEEENS9_5minusIfEEEE10hipError_tPvRmT2_T3_mT4_P12ihipStream_tbEUlT_E_NS1_11comp_targetILNS1_3genE2ELNS1_11target_archE906ELNS1_3gpuE6ELNS1_3repE0EEENS1_30default_config_static_selectorELNS0_4arch9wavefront6targetE1EEEvT1_
	.globl	_ZN7rocprim17ROCPRIM_400000_NS6detail17trampoline_kernelINS0_14default_configENS1_35adjacent_difference_config_selectorILb1EfEEZNS1_24adjacent_difference_implIS3_Lb1ELb0EPfN6thrust23THRUST_200600_302600_NS16discard_iteratorINS9_11use_defaultEEENS9_5minusIfEEEE10hipError_tPvRmT2_T3_mT4_P12ihipStream_tbEUlT_E_NS1_11comp_targetILNS1_3genE2ELNS1_11target_archE906ELNS1_3gpuE6ELNS1_3repE0EEENS1_30default_config_static_selectorELNS0_4arch9wavefront6targetE1EEEvT1_
	.p2align	8
	.type	_ZN7rocprim17ROCPRIM_400000_NS6detail17trampoline_kernelINS0_14default_configENS1_35adjacent_difference_config_selectorILb1EfEEZNS1_24adjacent_difference_implIS3_Lb1ELb0EPfN6thrust23THRUST_200600_302600_NS16discard_iteratorINS9_11use_defaultEEENS9_5minusIfEEEE10hipError_tPvRmT2_T3_mT4_P12ihipStream_tbEUlT_E_NS1_11comp_targetILNS1_3genE2ELNS1_11target_archE906ELNS1_3gpuE6ELNS1_3repE0EEENS1_30default_config_static_selectorELNS0_4arch9wavefront6targetE1EEEvT1_,@function
_ZN7rocprim17ROCPRIM_400000_NS6detail17trampoline_kernelINS0_14default_configENS1_35adjacent_difference_config_selectorILb1EfEEZNS1_24adjacent_difference_implIS3_Lb1ELb0EPfN6thrust23THRUST_200600_302600_NS16discard_iteratorINS9_11use_defaultEEENS9_5minusIfEEEE10hipError_tPvRmT2_T3_mT4_P12ihipStream_tbEUlT_E_NS1_11comp_targetILNS1_3genE2ELNS1_11target_archE906ELNS1_3gpuE6ELNS1_3repE0EEENS1_30default_config_static_selectorELNS0_4arch9wavefront6targetE1EEEvT1_: ; @_ZN7rocprim17ROCPRIM_400000_NS6detail17trampoline_kernelINS0_14default_configENS1_35adjacent_difference_config_selectorILb1EfEEZNS1_24adjacent_difference_implIS3_Lb1ELb0EPfN6thrust23THRUST_200600_302600_NS16discard_iteratorINS9_11use_defaultEEENS9_5minusIfEEEE10hipError_tPvRmT2_T3_mT4_P12ihipStream_tbEUlT_E_NS1_11comp_targetILNS1_3genE2ELNS1_11target_archE906ELNS1_3gpuE6ELNS1_3repE0EEENS1_30default_config_static_selectorELNS0_4arch9wavefront6targetE1EEEvT1_
; %bb.0:
	.section	.rodata,"a",@progbits
	.p2align	6, 0x0
	.amdhsa_kernel _ZN7rocprim17ROCPRIM_400000_NS6detail17trampoline_kernelINS0_14default_configENS1_35adjacent_difference_config_selectorILb1EfEEZNS1_24adjacent_difference_implIS3_Lb1ELb0EPfN6thrust23THRUST_200600_302600_NS16discard_iteratorINS9_11use_defaultEEENS9_5minusIfEEEE10hipError_tPvRmT2_T3_mT4_P12ihipStream_tbEUlT_E_NS1_11comp_targetILNS1_3genE2ELNS1_11target_archE906ELNS1_3gpuE6ELNS1_3repE0EEENS1_30default_config_static_selectorELNS0_4arch9wavefront6targetE1EEEvT1_
		.amdhsa_group_segment_fixed_size 0
		.amdhsa_private_segment_fixed_size 0
		.amdhsa_kernarg_size 64
		.amdhsa_user_sgpr_count 2
		.amdhsa_user_sgpr_dispatch_ptr 0
		.amdhsa_user_sgpr_queue_ptr 0
		.amdhsa_user_sgpr_kernarg_segment_ptr 1
		.amdhsa_user_sgpr_dispatch_id 0
		.amdhsa_user_sgpr_kernarg_preload_length 0
		.amdhsa_user_sgpr_kernarg_preload_offset 0
		.amdhsa_user_sgpr_private_segment_size 0
		.amdhsa_uses_dynamic_stack 0
		.amdhsa_enable_private_segment 0
		.amdhsa_system_sgpr_workgroup_id_x 1
		.amdhsa_system_sgpr_workgroup_id_y 0
		.amdhsa_system_sgpr_workgroup_id_z 0
		.amdhsa_system_sgpr_workgroup_info 0
		.amdhsa_system_vgpr_workitem_id 0
		.amdhsa_next_free_vgpr 1
		.amdhsa_next_free_sgpr 0
		.amdhsa_accum_offset 4
		.amdhsa_reserve_vcc 0
		.amdhsa_float_round_mode_32 0
		.amdhsa_float_round_mode_16_64 0
		.amdhsa_float_denorm_mode_32 3
		.amdhsa_float_denorm_mode_16_64 3
		.amdhsa_dx10_clamp 1
		.amdhsa_ieee_mode 1
		.amdhsa_fp16_overflow 0
		.amdhsa_tg_split 0
		.amdhsa_exception_fp_ieee_invalid_op 0
		.amdhsa_exception_fp_denorm_src 0
		.amdhsa_exception_fp_ieee_div_zero 0
		.amdhsa_exception_fp_ieee_overflow 0
		.amdhsa_exception_fp_ieee_underflow 0
		.amdhsa_exception_fp_ieee_inexact 0
		.amdhsa_exception_int_div_zero 0
	.end_amdhsa_kernel
	.section	.text._ZN7rocprim17ROCPRIM_400000_NS6detail17trampoline_kernelINS0_14default_configENS1_35adjacent_difference_config_selectorILb1EfEEZNS1_24adjacent_difference_implIS3_Lb1ELb0EPfN6thrust23THRUST_200600_302600_NS16discard_iteratorINS9_11use_defaultEEENS9_5minusIfEEEE10hipError_tPvRmT2_T3_mT4_P12ihipStream_tbEUlT_E_NS1_11comp_targetILNS1_3genE2ELNS1_11target_archE906ELNS1_3gpuE6ELNS1_3repE0EEENS1_30default_config_static_selectorELNS0_4arch9wavefront6targetE1EEEvT1_,"axG",@progbits,_ZN7rocprim17ROCPRIM_400000_NS6detail17trampoline_kernelINS0_14default_configENS1_35adjacent_difference_config_selectorILb1EfEEZNS1_24adjacent_difference_implIS3_Lb1ELb0EPfN6thrust23THRUST_200600_302600_NS16discard_iteratorINS9_11use_defaultEEENS9_5minusIfEEEE10hipError_tPvRmT2_T3_mT4_P12ihipStream_tbEUlT_E_NS1_11comp_targetILNS1_3genE2ELNS1_11target_archE906ELNS1_3gpuE6ELNS1_3repE0EEENS1_30default_config_static_selectorELNS0_4arch9wavefront6targetE1EEEvT1_,comdat
.Lfunc_end782:
	.size	_ZN7rocprim17ROCPRIM_400000_NS6detail17trampoline_kernelINS0_14default_configENS1_35adjacent_difference_config_selectorILb1EfEEZNS1_24adjacent_difference_implIS3_Lb1ELb0EPfN6thrust23THRUST_200600_302600_NS16discard_iteratorINS9_11use_defaultEEENS9_5minusIfEEEE10hipError_tPvRmT2_T3_mT4_P12ihipStream_tbEUlT_E_NS1_11comp_targetILNS1_3genE2ELNS1_11target_archE906ELNS1_3gpuE6ELNS1_3repE0EEENS1_30default_config_static_selectorELNS0_4arch9wavefront6targetE1EEEvT1_, .Lfunc_end782-_ZN7rocprim17ROCPRIM_400000_NS6detail17trampoline_kernelINS0_14default_configENS1_35adjacent_difference_config_selectorILb1EfEEZNS1_24adjacent_difference_implIS3_Lb1ELb0EPfN6thrust23THRUST_200600_302600_NS16discard_iteratorINS9_11use_defaultEEENS9_5minusIfEEEE10hipError_tPvRmT2_T3_mT4_P12ihipStream_tbEUlT_E_NS1_11comp_targetILNS1_3genE2ELNS1_11target_archE906ELNS1_3gpuE6ELNS1_3repE0EEENS1_30default_config_static_selectorELNS0_4arch9wavefront6targetE1EEEvT1_
                                        ; -- End function
	.section	.AMDGPU.csdata,"",@progbits
; Kernel info:
; codeLenInByte = 0
; NumSgprs: 6
; NumVgprs: 0
; NumAgprs: 0
; TotalNumVgprs: 0
; ScratchSize: 0
; MemoryBound: 0
; FloatMode: 240
; IeeeMode: 1
; LDSByteSize: 0 bytes/workgroup (compile time only)
; SGPRBlocks: 0
; VGPRBlocks: 0
; NumSGPRsForWavesPerEU: 6
; NumVGPRsForWavesPerEU: 1
; AccumOffset: 4
; Occupancy: 8
; WaveLimiterHint : 0
; COMPUTE_PGM_RSRC2:SCRATCH_EN: 0
; COMPUTE_PGM_RSRC2:USER_SGPR: 2
; COMPUTE_PGM_RSRC2:TRAP_HANDLER: 0
; COMPUTE_PGM_RSRC2:TGID_X_EN: 1
; COMPUTE_PGM_RSRC2:TGID_Y_EN: 0
; COMPUTE_PGM_RSRC2:TGID_Z_EN: 0
; COMPUTE_PGM_RSRC2:TIDIG_COMP_CNT: 0
; COMPUTE_PGM_RSRC3_GFX90A:ACCUM_OFFSET: 0
; COMPUTE_PGM_RSRC3_GFX90A:TG_SPLIT: 0
	.section	.text._ZN7rocprim17ROCPRIM_400000_NS6detail17trampoline_kernelINS0_14default_configENS1_35adjacent_difference_config_selectorILb1EfEEZNS1_24adjacent_difference_implIS3_Lb1ELb0EPfN6thrust23THRUST_200600_302600_NS16discard_iteratorINS9_11use_defaultEEENS9_5minusIfEEEE10hipError_tPvRmT2_T3_mT4_P12ihipStream_tbEUlT_E_NS1_11comp_targetILNS1_3genE9ELNS1_11target_archE1100ELNS1_3gpuE3ELNS1_3repE0EEENS1_30default_config_static_selectorELNS0_4arch9wavefront6targetE1EEEvT1_,"axG",@progbits,_ZN7rocprim17ROCPRIM_400000_NS6detail17trampoline_kernelINS0_14default_configENS1_35adjacent_difference_config_selectorILb1EfEEZNS1_24adjacent_difference_implIS3_Lb1ELb0EPfN6thrust23THRUST_200600_302600_NS16discard_iteratorINS9_11use_defaultEEENS9_5minusIfEEEE10hipError_tPvRmT2_T3_mT4_P12ihipStream_tbEUlT_E_NS1_11comp_targetILNS1_3genE9ELNS1_11target_archE1100ELNS1_3gpuE3ELNS1_3repE0EEENS1_30default_config_static_selectorELNS0_4arch9wavefront6targetE1EEEvT1_,comdat
	.protected	_ZN7rocprim17ROCPRIM_400000_NS6detail17trampoline_kernelINS0_14default_configENS1_35adjacent_difference_config_selectorILb1EfEEZNS1_24adjacent_difference_implIS3_Lb1ELb0EPfN6thrust23THRUST_200600_302600_NS16discard_iteratorINS9_11use_defaultEEENS9_5minusIfEEEE10hipError_tPvRmT2_T3_mT4_P12ihipStream_tbEUlT_E_NS1_11comp_targetILNS1_3genE9ELNS1_11target_archE1100ELNS1_3gpuE3ELNS1_3repE0EEENS1_30default_config_static_selectorELNS0_4arch9wavefront6targetE1EEEvT1_ ; -- Begin function _ZN7rocprim17ROCPRIM_400000_NS6detail17trampoline_kernelINS0_14default_configENS1_35adjacent_difference_config_selectorILb1EfEEZNS1_24adjacent_difference_implIS3_Lb1ELb0EPfN6thrust23THRUST_200600_302600_NS16discard_iteratorINS9_11use_defaultEEENS9_5minusIfEEEE10hipError_tPvRmT2_T3_mT4_P12ihipStream_tbEUlT_E_NS1_11comp_targetILNS1_3genE9ELNS1_11target_archE1100ELNS1_3gpuE3ELNS1_3repE0EEENS1_30default_config_static_selectorELNS0_4arch9wavefront6targetE1EEEvT1_
	.globl	_ZN7rocprim17ROCPRIM_400000_NS6detail17trampoline_kernelINS0_14default_configENS1_35adjacent_difference_config_selectorILb1EfEEZNS1_24adjacent_difference_implIS3_Lb1ELb0EPfN6thrust23THRUST_200600_302600_NS16discard_iteratorINS9_11use_defaultEEENS9_5minusIfEEEE10hipError_tPvRmT2_T3_mT4_P12ihipStream_tbEUlT_E_NS1_11comp_targetILNS1_3genE9ELNS1_11target_archE1100ELNS1_3gpuE3ELNS1_3repE0EEENS1_30default_config_static_selectorELNS0_4arch9wavefront6targetE1EEEvT1_
	.p2align	8
	.type	_ZN7rocprim17ROCPRIM_400000_NS6detail17trampoline_kernelINS0_14default_configENS1_35adjacent_difference_config_selectorILb1EfEEZNS1_24adjacent_difference_implIS3_Lb1ELb0EPfN6thrust23THRUST_200600_302600_NS16discard_iteratorINS9_11use_defaultEEENS9_5minusIfEEEE10hipError_tPvRmT2_T3_mT4_P12ihipStream_tbEUlT_E_NS1_11comp_targetILNS1_3genE9ELNS1_11target_archE1100ELNS1_3gpuE3ELNS1_3repE0EEENS1_30default_config_static_selectorELNS0_4arch9wavefront6targetE1EEEvT1_,@function
_ZN7rocprim17ROCPRIM_400000_NS6detail17trampoline_kernelINS0_14default_configENS1_35adjacent_difference_config_selectorILb1EfEEZNS1_24adjacent_difference_implIS3_Lb1ELb0EPfN6thrust23THRUST_200600_302600_NS16discard_iteratorINS9_11use_defaultEEENS9_5minusIfEEEE10hipError_tPvRmT2_T3_mT4_P12ihipStream_tbEUlT_E_NS1_11comp_targetILNS1_3genE9ELNS1_11target_archE1100ELNS1_3gpuE3ELNS1_3repE0EEENS1_30default_config_static_selectorELNS0_4arch9wavefront6targetE1EEEvT1_: ; @_ZN7rocprim17ROCPRIM_400000_NS6detail17trampoline_kernelINS0_14default_configENS1_35adjacent_difference_config_selectorILb1EfEEZNS1_24adjacent_difference_implIS3_Lb1ELb0EPfN6thrust23THRUST_200600_302600_NS16discard_iteratorINS9_11use_defaultEEENS9_5minusIfEEEE10hipError_tPvRmT2_T3_mT4_P12ihipStream_tbEUlT_E_NS1_11comp_targetILNS1_3genE9ELNS1_11target_archE1100ELNS1_3gpuE3ELNS1_3repE0EEENS1_30default_config_static_selectorELNS0_4arch9wavefront6targetE1EEEvT1_
; %bb.0:
	.section	.rodata,"a",@progbits
	.p2align	6, 0x0
	.amdhsa_kernel _ZN7rocprim17ROCPRIM_400000_NS6detail17trampoline_kernelINS0_14default_configENS1_35adjacent_difference_config_selectorILb1EfEEZNS1_24adjacent_difference_implIS3_Lb1ELb0EPfN6thrust23THRUST_200600_302600_NS16discard_iteratorINS9_11use_defaultEEENS9_5minusIfEEEE10hipError_tPvRmT2_T3_mT4_P12ihipStream_tbEUlT_E_NS1_11comp_targetILNS1_3genE9ELNS1_11target_archE1100ELNS1_3gpuE3ELNS1_3repE0EEENS1_30default_config_static_selectorELNS0_4arch9wavefront6targetE1EEEvT1_
		.amdhsa_group_segment_fixed_size 0
		.amdhsa_private_segment_fixed_size 0
		.amdhsa_kernarg_size 64
		.amdhsa_user_sgpr_count 2
		.amdhsa_user_sgpr_dispatch_ptr 0
		.amdhsa_user_sgpr_queue_ptr 0
		.amdhsa_user_sgpr_kernarg_segment_ptr 1
		.amdhsa_user_sgpr_dispatch_id 0
		.amdhsa_user_sgpr_kernarg_preload_length 0
		.amdhsa_user_sgpr_kernarg_preload_offset 0
		.amdhsa_user_sgpr_private_segment_size 0
		.amdhsa_uses_dynamic_stack 0
		.amdhsa_enable_private_segment 0
		.amdhsa_system_sgpr_workgroup_id_x 1
		.amdhsa_system_sgpr_workgroup_id_y 0
		.amdhsa_system_sgpr_workgroup_id_z 0
		.amdhsa_system_sgpr_workgroup_info 0
		.amdhsa_system_vgpr_workitem_id 0
		.amdhsa_next_free_vgpr 1
		.amdhsa_next_free_sgpr 0
		.amdhsa_accum_offset 4
		.amdhsa_reserve_vcc 0
		.amdhsa_float_round_mode_32 0
		.amdhsa_float_round_mode_16_64 0
		.amdhsa_float_denorm_mode_32 3
		.amdhsa_float_denorm_mode_16_64 3
		.amdhsa_dx10_clamp 1
		.amdhsa_ieee_mode 1
		.amdhsa_fp16_overflow 0
		.amdhsa_tg_split 0
		.amdhsa_exception_fp_ieee_invalid_op 0
		.amdhsa_exception_fp_denorm_src 0
		.amdhsa_exception_fp_ieee_div_zero 0
		.amdhsa_exception_fp_ieee_overflow 0
		.amdhsa_exception_fp_ieee_underflow 0
		.amdhsa_exception_fp_ieee_inexact 0
		.amdhsa_exception_int_div_zero 0
	.end_amdhsa_kernel
	.section	.text._ZN7rocprim17ROCPRIM_400000_NS6detail17trampoline_kernelINS0_14default_configENS1_35adjacent_difference_config_selectorILb1EfEEZNS1_24adjacent_difference_implIS3_Lb1ELb0EPfN6thrust23THRUST_200600_302600_NS16discard_iteratorINS9_11use_defaultEEENS9_5minusIfEEEE10hipError_tPvRmT2_T3_mT4_P12ihipStream_tbEUlT_E_NS1_11comp_targetILNS1_3genE9ELNS1_11target_archE1100ELNS1_3gpuE3ELNS1_3repE0EEENS1_30default_config_static_selectorELNS0_4arch9wavefront6targetE1EEEvT1_,"axG",@progbits,_ZN7rocprim17ROCPRIM_400000_NS6detail17trampoline_kernelINS0_14default_configENS1_35adjacent_difference_config_selectorILb1EfEEZNS1_24adjacent_difference_implIS3_Lb1ELb0EPfN6thrust23THRUST_200600_302600_NS16discard_iteratorINS9_11use_defaultEEENS9_5minusIfEEEE10hipError_tPvRmT2_T3_mT4_P12ihipStream_tbEUlT_E_NS1_11comp_targetILNS1_3genE9ELNS1_11target_archE1100ELNS1_3gpuE3ELNS1_3repE0EEENS1_30default_config_static_selectorELNS0_4arch9wavefront6targetE1EEEvT1_,comdat
.Lfunc_end783:
	.size	_ZN7rocprim17ROCPRIM_400000_NS6detail17trampoline_kernelINS0_14default_configENS1_35adjacent_difference_config_selectorILb1EfEEZNS1_24adjacent_difference_implIS3_Lb1ELb0EPfN6thrust23THRUST_200600_302600_NS16discard_iteratorINS9_11use_defaultEEENS9_5minusIfEEEE10hipError_tPvRmT2_T3_mT4_P12ihipStream_tbEUlT_E_NS1_11comp_targetILNS1_3genE9ELNS1_11target_archE1100ELNS1_3gpuE3ELNS1_3repE0EEENS1_30default_config_static_selectorELNS0_4arch9wavefront6targetE1EEEvT1_, .Lfunc_end783-_ZN7rocprim17ROCPRIM_400000_NS6detail17trampoline_kernelINS0_14default_configENS1_35adjacent_difference_config_selectorILb1EfEEZNS1_24adjacent_difference_implIS3_Lb1ELb0EPfN6thrust23THRUST_200600_302600_NS16discard_iteratorINS9_11use_defaultEEENS9_5minusIfEEEE10hipError_tPvRmT2_T3_mT4_P12ihipStream_tbEUlT_E_NS1_11comp_targetILNS1_3genE9ELNS1_11target_archE1100ELNS1_3gpuE3ELNS1_3repE0EEENS1_30default_config_static_selectorELNS0_4arch9wavefront6targetE1EEEvT1_
                                        ; -- End function
	.section	.AMDGPU.csdata,"",@progbits
; Kernel info:
; codeLenInByte = 0
; NumSgprs: 6
; NumVgprs: 0
; NumAgprs: 0
; TotalNumVgprs: 0
; ScratchSize: 0
; MemoryBound: 0
; FloatMode: 240
; IeeeMode: 1
; LDSByteSize: 0 bytes/workgroup (compile time only)
; SGPRBlocks: 0
; VGPRBlocks: 0
; NumSGPRsForWavesPerEU: 6
; NumVGPRsForWavesPerEU: 1
; AccumOffset: 4
; Occupancy: 8
; WaveLimiterHint : 0
; COMPUTE_PGM_RSRC2:SCRATCH_EN: 0
; COMPUTE_PGM_RSRC2:USER_SGPR: 2
; COMPUTE_PGM_RSRC2:TRAP_HANDLER: 0
; COMPUTE_PGM_RSRC2:TGID_X_EN: 1
; COMPUTE_PGM_RSRC2:TGID_Y_EN: 0
; COMPUTE_PGM_RSRC2:TGID_Z_EN: 0
; COMPUTE_PGM_RSRC2:TIDIG_COMP_CNT: 0
; COMPUTE_PGM_RSRC3_GFX90A:ACCUM_OFFSET: 0
; COMPUTE_PGM_RSRC3_GFX90A:TG_SPLIT: 0
	.section	.text._ZN7rocprim17ROCPRIM_400000_NS6detail17trampoline_kernelINS0_14default_configENS1_35adjacent_difference_config_selectorILb1EfEEZNS1_24adjacent_difference_implIS3_Lb1ELb0EPfN6thrust23THRUST_200600_302600_NS16discard_iteratorINS9_11use_defaultEEENS9_5minusIfEEEE10hipError_tPvRmT2_T3_mT4_P12ihipStream_tbEUlT_E_NS1_11comp_targetILNS1_3genE8ELNS1_11target_archE1030ELNS1_3gpuE2ELNS1_3repE0EEENS1_30default_config_static_selectorELNS0_4arch9wavefront6targetE1EEEvT1_,"axG",@progbits,_ZN7rocprim17ROCPRIM_400000_NS6detail17trampoline_kernelINS0_14default_configENS1_35adjacent_difference_config_selectorILb1EfEEZNS1_24adjacent_difference_implIS3_Lb1ELb0EPfN6thrust23THRUST_200600_302600_NS16discard_iteratorINS9_11use_defaultEEENS9_5minusIfEEEE10hipError_tPvRmT2_T3_mT4_P12ihipStream_tbEUlT_E_NS1_11comp_targetILNS1_3genE8ELNS1_11target_archE1030ELNS1_3gpuE2ELNS1_3repE0EEENS1_30default_config_static_selectorELNS0_4arch9wavefront6targetE1EEEvT1_,comdat
	.protected	_ZN7rocprim17ROCPRIM_400000_NS6detail17trampoline_kernelINS0_14default_configENS1_35adjacent_difference_config_selectorILb1EfEEZNS1_24adjacent_difference_implIS3_Lb1ELb0EPfN6thrust23THRUST_200600_302600_NS16discard_iteratorINS9_11use_defaultEEENS9_5minusIfEEEE10hipError_tPvRmT2_T3_mT4_P12ihipStream_tbEUlT_E_NS1_11comp_targetILNS1_3genE8ELNS1_11target_archE1030ELNS1_3gpuE2ELNS1_3repE0EEENS1_30default_config_static_selectorELNS0_4arch9wavefront6targetE1EEEvT1_ ; -- Begin function _ZN7rocprim17ROCPRIM_400000_NS6detail17trampoline_kernelINS0_14default_configENS1_35adjacent_difference_config_selectorILb1EfEEZNS1_24adjacent_difference_implIS3_Lb1ELb0EPfN6thrust23THRUST_200600_302600_NS16discard_iteratorINS9_11use_defaultEEENS9_5minusIfEEEE10hipError_tPvRmT2_T3_mT4_P12ihipStream_tbEUlT_E_NS1_11comp_targetILNS1_3genE8ELNS1_11target_archE1030ELNS1_3gpuE2ELNS1_3repE0EEENS1_30default_config_static_selectorELNS0_4arch9wavefront6targetE1EEEvT1_
	.globl	_ZN7rocprim17ROCPRIM_400000_NS6detail17trampoline_kernelINS0_14default_configENS1_35adjacent_difference_config_selectorILb1EfEEZNS1_24adjacent_difference_implIS3_Lb1ELb0EPfN6thrust23THRUST_200600_302600_NS16discard_iteratorINS9_11use_defaultEEENS9_5minusIfEEEE10hipError_tPvRmT2_T3_mT4_P12ihipStream_tbEUlT_E_NS1_11comp_targetILNS1_3genE8ELNS1_11target_archE1030ELNS1_3gpuE2ELNS1_3repE0EEENS1_30default_config_static_selectorELNS0_4arch9wavefront6targetE1EEEvT1_
	.p2align	8
	.type	_ZN7rocprim17ROCPRIM_400000_NS6detail17trampoline_kernelINS0_14default_configENS1_35adjacent_difference_config_selectorILb1EfEEZNS1_24adjacent_difference_implIS3_Lb1ELb0EPfN6thrust23THRUST_200600_302600_NS16discard_iteratorINS9_11use_defaultEEENS9_5minusIfEEEE10hipError_tPvRmT2_T3_mT4_P12ihipStream_tbEUlT_E_NS1_11comp_targetILNS1_3genE8ELNS1_11target_archE1030ELNS1_3gpuE2ELNS1_3repE0EEENS1_30default_config_static_selectorELNS0_4arch9wavefront6targetE1EEEvT1_,@function
_ZN7rocprim17ROCPRIM_400000_NS6detail17trampoline_kernelINS0_14default_configENS1_35adjacent_difference_config_selectorILb1EfEEZNS1_24adjacent_difference_implIS3_Lb1ELb0EPfN6thrust23THRUST_200600_302600_NS16discard_iteratorINS9_11use_defaultEEENS9_5minusIfEEEE10hipError_tPvRmT2_T3_mT4_P12ihipStream_tbEUlT_E_NS1_11comp_targetILNS1_3genE8ELNS1_11target_archE1030ELNS1_3gpuE2ELNS1_3repE0EEENS1_30default_config_static_selectorELNS0_4arch9wavefront6targetE1EEEvT1_: ; @_ZN7rocprim17ROCPRIM_400000_NS6detail17trampoline_kernelINS0_14default_configENS1_35adjacent_difference_config_selectorILb1EfEEZNS1_24adjacent_difference_implIS3_Lb1ELb0EPfN6thrust23THRUST_200600_302600_NS16discard_iteratorINS9_11use_defaultEEENS9_5minusIfEEEE10hipError_tPvRmT2_T3_mT4_P12ihipStream_tbEUlT_E_NS1_11comp_targetILNS1_3genE8ELNS1_11target_archE1030ELNS1_3gpuE2ELNS1_3repE0EEENS1_30default_config_static_selectorELNS0_4arch9wavefront6targetE1EEEvT1_
; %bb.0:
	.section	.rodata,"a",@progbits
	.p2align	6, 0x0
	.amdhsa_kernel _ZN7rocprim17ROCPRIM_400000_NS6detail17trampoline_kernelINS0_14default_configENS1_35adjacent_difference_config_selectorILb1EfEEZNS1_24adjacent_difference_implIS3_Lb1ELb0EPfN6thrust23THRUST_200600_302600_NS16discard_iteratorINS9_11use_defaultEEENS9_5minusIfEEEE10hipError_tPvRmT2_T3_mT4_P12ihipStream_tbEUlT_E_NS1_11comp_targetILNS1_3genE8ELNS1_11target_archE1030ELNS1_3gpuE2ELNS1_3repE0EEENS1_30default_config_static_selectorELNS0_4arch9wavefront6targetE1EEEvT1_
		.amdhsa_group_segment_fixed_size 0
		.amdhsa_private_segment_fixed_size 0
		.amdhsa_kernarg_size 64
		.amdhsa_user_sgpr_count 2
		.amdhsa_user_sgpr_dispatch_ptr 0
		.amdhsa_user_sgpr_queue_ptr 0
		.amdhsa_user_sgpr_kernarg_segment_ptr 1
		.amdhsa_user_sgpr_dispatch_id 0
		.amdhsa_user_sgpr_kernarg_preload_length 0
		.amdhsa_user_sgpr_kernarg_preload_offset 0
		.amdhsa_user_sgpr_private_segment_size 0
		.amdhsa_uses_dynamic_stack 0
		.amdhsa_enable_private_segment 0
		.amdhsa_system_sgpr_workgroup_id_x 1
		.amdhsa_system_sgpr_workgroup_id_y 0
		.amdhsa_system_sgpr_workgroup_id_z 0
		.amdhsa_system_sgpr_workgroup_info 0
		.amdhsa_system_vgpr_workitem_id 0
		.amdhsa_next_free_vgpr 1
		.amdhsa_next_free_sgpr 0
		.amdhsa_accum_offset 4
		.amdhsa_reserve_vcc 0
		.amdhsa_float_round_mode_32 0
		.amdhsa_float_round_mode_16_64 0
		.amdhsa_float_denorm_mode_32 3
		.amdhsa_float_denorm_mode_16_64 3
		.amdhsa_dx10_clamp 1
		.amdhsa_ieee_mode 1
		.amdhsa_fp16_overflow 0
		.amdhsa_tg_split 0
		.amdhsa_exception_fp_ieee_invalid_op 0
		.amdhsa_exception_fp_denorm_src 0
		.amdhsa_exception_fp_ieee_div_zero 0
		.amdhsa_exception_fp_ieee_overflow 0
		.amdhsa_exception_fp_ieee_underflow 0
		.amdhsa_exception_fp_ieee_inexact 0
		.amdhsa_exception_int_div_zero 0
	.end_amdhsa_kernel
	.section	.text._ZN7rocprim17ROCPRIM_400000_NS6detail17trampoline_kernelINS0_14default_configENS1_35adjacent_difference_config_selectorILb1EfEEZNS1_24adjacent_difference_implIS3_Lb1ELb0EPfN6thrust23THRUST_200600_302600_NS16discard_iteratorINS9_11use_defaultEEENS9_5minusIfEEEE10hipError_tPvRmT2_T3_mT4_P12ihipStream_tbEUlT_E_NS1_11comp_targetILNS1_3genE8ELNS1_11target_archE1030ELNS1_3gpuE2ELNS1_3repE0EEENS1_30default_config_static_selectorELNS0_4arch9wavefront6targetE1EEEvT1_,"axG",@progbits,_ZN7rocprim17ROCPRIM_400000_NS6detail17trampoline_kernelINS0_14default_configENS1_35adjacent_difference_config_selectorILb1EfEEZNS1_24adjacent_difference_implIS3_Lb1ELb0EPfN6thrust23THRUST_200600_302600_NS16discard_iteratorINS9_11use_defaultEEENS9_5minusIfEEEE10hipError_tPvRmT2_T3_mT4_P12ihipStream_tbEUlT_E_NS1_11comp_targetILNS1_3genE8ELNS1_11target_archE1030ELNS1_3gpuE2ELNS1_3repE0EEENS1_30default_config_static_selectorELNS0_4arch9wavefront6targetE1EEEvT1_,comdat
.Lfunc_end784:
	.size	_ZN7rocprim17ROCPRIM_400000_NS6detail17trampoline_kernelINS0_14default_configENS1_35adjacent_difference_config_selectorILb1EfEEZNS1_24adjacent_difference_implIS3_Lb1ELb0EPfN6thrust23THRUST_200600_302600_NS16discard_iteratorINS9_11use_defaultEEENS9_5minusIfEEEE10hipError_tPvRmT2_T3_mT4_P12ihipStream_tbEUlT_E_NS1_11comp_targetILNS1_3genE8ELNS1_11target_archE1030ELNS1_3gpuE2ELNS1_3repE0EEENS1_30default_config_static_selectorELNS0_4arch9wavefront6targetE1EEEvT1_, .Lfunc_end784-_ZN7rocprim17ROCPRIM_400000_NS6detail17trampoline_kernelINS0_14default_configENS1_35adjacent_difference_config_selectorILb1EfEEZNS1_24adjacent_difference_implIS3_Lb1ELb0EPfN6thrust23THRUST_200600_302600_NS16discard_iteratorINS9_11use_defaultEEENS9_5minusIfEEEE10hipError_tPvRmT2_T3_mT4_P12ihipStream_tbEUlT_E_NS1_11comp_targetILNS1_3genE8ELNS1_11target_archE1030ELNS1_3gpuE2ELNS1_3repE0EEENS1_30default_config_static_selectorELNS0_4arch9wavefront6targetE1EEEvT1_
                                        ; -- End function
	.section	.AMDGPU.csdata,"",@progbits
; Kernel info:
; codeLenInByte = 0
; NumSgprs: 6
; NumVgprs: 0
; NumAgprs: 0
; TotalNumVgprs: 0
; ScratchSize: 0
; MemoryBound: 0
; FloatMode: 240
; IeeeMode: 1
; LDSByteSize: 0 bytes/workgroup (compile time only)
; SGPRBlocks: 0
; VGPRBlocks: 0
; NumSGPRsForWavesPerEU: 6
; NumVGPRsForWavesPerEU: 1
; AccumOffset: 4
; Occupancy: 8
; WaveLimiterHint : 0
; COMPUTE_PGM_RSRC2:SCRATCH_EN: 0
; COMPUTE_PGM_RSRC2:USER_SGPR: 2
; COMPUTE_PGM_RSRC2:TRAP_HANDLER: 0
; COMPUTE_PGM_RSRC2:TGID_X_EN: 1
; COMPUTE_PGM_RSRC2:TGID_Y_EN: 0
; COMPUTE_PGM_RSRC2:TGID_Z_EN: 0
; COMPUTE_PGM_RSRC2:TIDIG_COMP_CNT: 0
; COMPUTE_PGM_RSRC3_GFX90A:ACCUM_OFFSET: 0
; COMPUTE_PGM_RSRC3_GFX90A:TG_SPLIT: 0
	.section	.text._ZN7rocprim17ROCPRIM_400000_NS6detail17trampoline_kernelINS0_14default_configENS1_25transform_config_selectorIdLb0EEEZNS1_14transform_implILb0ES3_S5_NS0_18transform_iteratorINS0_17counting_iteratorImlEEZNS1_24adjacent_difference_implIS3_Lb1ELb0EPdN6thrust23THRUST_200600_302600_NS16discard_iteratorINSD_11use_defaultEEENSD_5minusIdEEEE10hipError_tPvRmT2_T3_mT4_P12ihipStream_tbEUlmE_dEESB_NS0_8identityIvEEEESJ_SM_SN_mSO_SQ_bEUlT_E_NS1_11comp_targetILNS1_3genE0ELNS1_11target_archE4294967295ELNS1_3gpuE0ELNS1_3repE0EEENS1_30default_config_static_selectorELNS0_4arch9wavefront6targetE1EEEvT1_,"axG",@progbits,_ZN7rocprim17ROCPRIM_400000_NS6detail17trampoline_kernelINS0_14default_configENS1_25transform_config_selectorIdLb0EEEZNS1_14transform_implILb0ES3_S5_NS0_18transform_iteratorINS0_17counting_iteratorImlEEZNS1_24adjacent_difference_implIS3_Lb1ELb0EPdN6thrust23THRUST_200600_302600_NS16discard_iteratorINSD_11use_defaultEEENSD_5minusIdEEEE10hipError_tPvRmT2_T3_mT4_P12ihipStream_tbEUlmE_dEESB_NS0_8identityIvEEEESJ_SM_SN_mSO_SQ_bEUlT_E_NS1_11comp_targetILNS1_3genE0ELNS1_11target_archE4294967295ELNS1_3gpuE0ELNS1_3repE0EEENS1_30default_config_static_selectorELNS0_4arch9wavefront6targetE1EEEvT1_,comdat
	.protected	_ZN7rocprim17ROCPRIM_400000_NS6detail17trampoline_kernelINS0_14default_configENS1_25transform_config_selectorIdLb0EEEZNS1_14transform_implILb0ES3_S5_NS0_18transform_iteratorINS0_17counting_iteratorImlEEZNS1_24adjacent_difference_implIS3_Lb1ELb0EPdN6thrust23THRUST_200600_302600_NS16discard_iteratorINSD_11use_defaultEEENSD_5minusIdEEEE10hipError_tPvRmT2_T3_mT4_P12ihipStream_tbEUlmE_dEESB_NS0_8identityIvEEEESJ_SM_SN_mSO_SQ_bEUlT_E_NS1_11comp_targetILNS1_3genE0ELNS1_11target_archE4294967295ELNS1_3gpuE0ELNS1_3repE0EEENS1_30default_config_static_selectorELNS0_4arch9wavefront6targetE1EEEvT1_ ; -- Begin function _ZN7rocprim17ROCPRIM_400000_NS6detail17trampoline_kernelINS0_14default_configENS1_25transform_config_selectorIdLb0EEEZNS1_14transform_implILb0ES3_S5_NS0_18transform_iteratorINS0_17counting_iteratorImlEEZNS1_24adjacent_difference_implIS3_Lb1ELb0EPdN6thrust23THRUST_200600_302600_NS16discard_iteratorINSD_11use_defaultEEENSD_5minusIdEEEE10hipError_tPvRmT2_T3_mT4_P12ihipStream_tbEUlmE_dEESB_NS0_8identityIvEEEESJ_SM_SN_mSO_SQ_bEUlT_E_NS1_11comp_targetILNS1_3genE0ELNS1_11target_archE4294967295ELNS1_3gpuE0ELNS1_3repE0EEENS1_30default_config_static_selectorELNS0_4arch9wavefront6targetE1EEEvT1_
	.globl	_ZN7rocprim17ROCPRIM_400000_NS6detail17trampoline_kernelINS0_14default_configENS1_25transform_config_selectorIdLb0EEEZNS1_14transform_implILb0ES3_S5_NS0_18transform_iteratorINS0_17counting_iteratorImlEEZNS1_24adjacent_difference_implIS3_Lb1ELb0EPdN6thrust23THRUST_200600_302600_NS16discard_iteratorINSD_11use_defaultEEENSD_5minusIdEEEE10hipError_tPvRmT2_T3_mT4_P12ihipStream_tbEUlmE_dEESB_NS0_8identityIvEEEESJ_SM_SN_mSO_SQ_bEUlT_E_NS1_11comp_targetILNS1_3genE0ELNS1_11target_archE4294967295ELNS1_3gpuE0ELNS1_3repE0EEENS1_30default_config_static_selectorELNS0_4arch9wavefront6targetE1EEEvT1_
	.p2align	8
	.type	_ZN7rocprim17ROCPRIM_400000_NS6detail17trampoline_kernelINS0_14default_configENS1_25transform_config_selectorIdLb0EEEZNS1_14transform_implILb0ES3_S5_NS0_18transform_iteratorINS0_17counting_iteratorImlEEZNS1_24adjacent_difference_implIS3_Lb1ELb0EPdN6thrust23THRUST_200600_302600_NS16discard_iteratorINSD_11use_defaultEEENSD_5minusIdEEEE10hipError_tPvRmT2_T3_mT4_P12ihipStream_tbEUlmE_dEESB_NS0_8identityIvEEEESJ_SM_SN_mSO_SQ_bEUlT_E_NS1_11comp_targetILNS1_3genE0ELNS1_11target_archE4294967295ELNS1_3gpuE0ELNS1_3repE0EEENS1_30default_config_static_selectorELNS0_4arch9wavefront6targetE1EEEvT1_,@function
_ZN7rocprim17ROCPRIM_400000_NS6detail17trampoline_kernelINS0_14default_configENS1_25transform_config_selectorIdLb0EEEZNS1_14transform_implILb0ES3_S5_NS0_18transform_iteratorINS0_17counting_iteratorImlEEZNS1_24adjacent_difference_implIS3_Lb1ELb0EPdN6thrust23THRUST_200600_302600_NS16discard_iteratorINSD_11use_defaultEEENSD_5minusIdEEEE10hipError_tPvRmT2_T3_mT4_P12ihipStream_tbEUlmE_dEESB_NS0_8identityIvEEEESJ_SM_SN_mSO_SQ_bEUlT_E_NS1_11comp_targetILNS1_3genE0ELNS1_11target_archE4294967295ELNS1_3gpuE0ELNS1_3repE0EEENS1_30default_config_static_selectorELNS0_4arch9wavefront6targetE1EEEvT1_: ; @_ZN7rocprim17ROCPRIM_400000_NS6detail17trampoline_kernelINS0_14default_configENS1_25transform_config_selectorIdLb0EEEZNS1_14transform_implILb0ES3_S5_NS0_18transform_iteratorINS0_17counting_iteratorImlEEZNS1_24adjacent_difference_implIS3_Lb1ELb0EPdN6thrust23THRUST_200600_302600_NS16discard_iteratorINSD_11use_defaultEEENSD_5minusIdEEEE10hipError_tPvRmT2_T3_mT4_P12ihipStream_tbEUlmE_dEESB_NS0_8identityIvEEEESJ_SM_SN_mSO_SQ_bEUlT_E_NS1_11comp_targetILNS1_3genE0ELNS1_11target_archE4294967295ELNS1_3gpuE0ELNS1_3repE0EEENS1_30default_config_static_selectorELNS0_4arch9wavefront6targetE1EEEvT1_
; %bb.0:
	.section	.rodata,"a",@progbits
	.p2align	6, 0x0
	.amdhsa_kernel _ZN7rocprim17ROCPRIM_400000_NS6detail17trampoline_kernelINS0_14default_configENS1_25transform_config_selectorIdLb0EEEZNS1_14transform_implILb0ES3_S5_NS0_18transform_iteratorINS0_17counting_iteratorImlEEZNS1_24adjacent_difference_implIS3_Lb1ELb0EPdN6thrust23THRUST_200600_302600_NS16discard_iteratorINSD_11use_defaultEEENSD_5minusIdEEEE10hipError_tPvRmT2_T3_mT4_P12ihipStream_tbEUlmE_dEESB_NS0_8identityIvEEEESJ_SM_SN_mSO_SQ_bEUlT_E_NS1_11comp_targetILNS1_3genE0ELNS1_11target_archE4294967295ELNS1_3gpuE0ELNS1_3repE0EEENS1_30default_config_static_selectorELNS0_4arch9wavefront6targetE1EEEvT1_
		.amdhsa_group_segment_fixed_size 0
		.amdhsa_private_segment_fixed_size 0
		.amdhsa_kernarg_size 56
		.amdhsa_user_sgpr_count 2
		.amdhsa_user_sgpr_dispatch_ptr 0
		.amdhsa_user_sgpr_queue_ptr 0
		.amdhsa_user_sgpr_kernarg_segment_ptr 1
		.amdhsa_user_sgpr_dispatch_id 0
		.amdhsa_user_sgpr_kernarg_preload_length 0
		.amdhsa_user_sgpr_kernarg_preload_offset 0
		.amdhsa_user_sgpr_private_segment_size 0
		.amdhsa_uses_dynamic_stack 0
		.amdhsa_enable_private_segment 0
		.amdhsa_system_sgpr_workgroup_id_x 1
		.amdhsa_system_sgpr_workgroup_id_y 0
		.amdhsa_system_sgpr_workgroup_id_z 0
		.amdhsa_system_sgpr_workgroup_info 0
		.amdhsa_system_vgpr_workitem_id 0
		.amdhsa_next_free_vgpr 1
		.amdhsa_next_free_sgpr 0
		.amdhsa_accum_offset 4
		.amdhsa_reserve_vcc 0
		.amdhsa_float_round_mode_32 0
		.amdhsa_float_round_mode_16_64 0
		.amdhsa_float_denorm_mode_32 3
		.amdhsa_float_denorm_mode_16_64 3
		.amdhsa_dx10_clamp 1
		.amdhsa_ieee_mode 1
		.amdhsa_fp16_overflow 0
		.amdhsa_tg_split 0
		.amdhsa_exception_fp_ieee_invalid_op 0
		.amdhsa_exception_fp_denorm_src 0
		.amdhsa_exception_fp_ieee_div_zero 0
		.amdhsa_exception_fp_ieee_overflow 0
		.amdhsa_exception_fp_ieee_underflow 0
		.amdhsa_exception_fp_ieee_inexact 0
		.amdhsa_exception_int_div_zero 0
	.end_amdhsa_kernel
	.section	.text._ZN7rocprim17ROCPRIM_400000_NS6detail17trampoline_kernelINS0_14default_configENS1_25transform_config_selectorIdLb0EEEZNS1_14transform_implILb0ES3_S5_NS0_18transform_iteratorINS0_17counting_iteratorImlEEZNS1_24adjacent_difference_implIS3_Lb1ELb0EPdN6thrust23THRUST_200600_302600_NS16discard_iteratorINSD_11use_defaultEEENSD_5minusIdEEEE10hipError_tPvRmT2_T3_mT4_P12ihipStream_tbEUlmE_dEESB_NS0_8identityIvEEEESJ_SM_SN_mSO_SQ_bEUlT_E_NS1_11comp_targetILNS1_3genE0ELNS1_11target_archE4294967295ELNS1_3gpuE0ELNS1_3repE0EEENS1_30default_config_static_selectorELNS0_4arch9wavefront6targetE1EEEvT1_,"axG",@progbits,_ZN7rocprim17ROCPRIM_400000_NS6detail17trampoline_kernelINS0_14default_configENS1_25transform_config_selectorIdLb0EEEZNS1_14transform_implILb0ES3_S5_NS0_18transform_iteratorINS0_17counting_iteratorImlEEZNS1_24adjacent_difference_implIS3_Lb1ELb0EPdN6thrust23THRUST_200600_302600_NS16discard_iteratorINSD_11use_defaultEEENSD_5minusIdEEEE10hipError_tPvRmT2_T3_mT4_P12ihipStream_tbEUlmE_dEESB_NS0_8identityIvEEEESJ_SM_SN_mSO_SQ_bEUlT_E_NS1_11comp_targetILNS1_3genE0ELNS1_11target_archE4294967295ELNS1_3gpuE0ELNS1_3repE0EEENS1_30default_config_static_selectorELNS0_4arch9wavefront6targetE1EEEvT1_,comdat
.Lfunc_end785:
	.size	_ZN7rocprim17ROCPRIM_400000_NS6detail17trampoline_kernelINS0_14default_configENS1_25transform_config_selectorIdLb0EEEZNS1_14transform_implILb0ES3_S5_NS0_18transform_iteratorINS0_17counting_iteratorImlEEZNS1_24adjacent_difference_implIS3_Lb1ELb0EPdN6thrust23THRUST_200600_302600_NS16discard_iteratorINSD_11use_defaultEEENSD_5minusIdEEEE10hipError_tPvRmT2_T3_mT4_P12ihipStream_tbEUlmE_dEESB_NS0_8identityIvEEEESJ_SM_SN_mSO_SQ_bEUlT_E_NS1_11comp_targetILNS1_3genE0ELNS1_11target_archE4294967295ELNS1_3gpuE0ELNS1_3repE0EEENS1_30default_config_static_selectorELNS0_4arch9wavefront6targetE1EEEvT1_, .Lfunc_end785-_ZN7rocprim17ROCPRIM_400000_NS6detail17trampoline_kernelINS0_14default_configENS1_25transform_config_selectorIdLb0EEEZNS1_14transform_implILb0ES3_S5_NS0_18transform_iteratorINS0_17counting_iteratorImlEEZNS1_24adjacent_difference_implIS3_Lb1ELb0EPdN6thrust23THRUST_200600_302600_NS16discard_iteratorINSD_11use_defaultEEENSD_5minusIdEEEE10hipError_tPvRmT2_T3_mT4_P12ihipStream_tbEUlmE_dEESB_NS0_8identityIvEEEESJ_SM_SN_mSO_SQ_bEUlT_E_NS1_11comp_targetILNS1_3genE0ELNS1_11target_archE4294967295ELNS1_3gpuE0ELNS1_3repE0EEENS1_30default_config_static_selectorELNS0_4arch9wavefront6targetE1EEEvT1_
                                        ; -- End function
	.section	.AMDGPU.csdata,"",@progbits
; Kernel info:
; codeLenInByte = 0
; NumSgprs: 6
; NumVgprs: 0
; NumAgprs: 0
; TotalNumVgprs: 0
; ScratchSize: 0
; MemoryBound: 0
; FloatMode: 240
; IeeeMode: 1
; LDSByteSize: 0 bytes/workgroup (compile time only)
; SGPRBlocks: 0
; VGPRBlocks: 0
; NumSGPRsForWavesPerEU: 6
; NumVGPRsForWavesPerEU: 1
; AccumOffset: 4
; Occupancy: 8
; WaveLimiterHint : 0
; COMPUTE_PGM_RSRC2:SCRATCH_EN: 0
; COMPUTE_PGM_RSRC2:USER_SGPR: 2
; COMPUTE_PGM_RSRC2:TRAP_HANDLER: 0
; COMPUTE_PGM_RSRC2:TGID_X_EN: 1
; COMPUTE_PGM_RSRC2:TGID_Y_EN: 0
; COMPUTE_PGM_RSRC2:TGID_Z_EN: 0
; COMPUTE_PGM_RSRC2:TIDIG_COMP_CNT: 0
; COMPUTE_PGM_RSRC3_GFX90A:ACCUM_OFFSET: 0
; COMPUTE_PGM_RSRC3_GFX90A:TG_SPLIT: 0
	.section	.text._ZN7rocprim17ROCPRIM_400000_NS6detail17trampoline_kernelINS0_14default_configENS1_25transform_config_selectorIdLb0EEEZNS1_14transform_implILb0ES3_S5_NS0_18transform_iteratorINS0_17counting_iteratorImlEEZNS1_24adjacent_difference_implIS3_Lb1ELb0EPdN6thrust23THRUST_200600_302600_NS16discard_iteratorINSD_11use_defaultEEENSD_5minusIdEEEE10hipError_tPvRmT2_T3_mT4_P12ihipStream_tbEUlmE_dEESB_NS0_8identityIvEEEESJ_SM_SN_mSO_SQ_bEUlT_E_NS1_11comp_targetILNS1_3genE5ELNS1_11target_archE942ELNS1_3gpuE9ELNS1_3repE0EEENS1_30default_config_static_selectorELNS0_4arch9wavefront6targetE1EEEvT1_,"axG",@progbits,_ZN7rocprim17ROCPRIM_400000_NS6detail17trampoline_kernelINS0_14default_configENS1_25transform_config_selectorIdLb0EEEZNS1_14transform_implILb0ES3_S5_NS0_18transform_iteratorINS0_17counting_iteratorImlEEZNS1_24adjacent_difference_implIS3_Lb1ELb0EPdN6thrust23THRUST_200600_302600_NS16discard_iteratorINSD_11use_defaultEEENSD_5minusIdEEEE10hipError_tPvRmT2_T3_mT4_P12ihipStream_tbEUlmE_dEESB_NS0_8identityIvEEEESJ_SM_SN_mSO_SQ_bEUlT_E_NS1_11comp_targetILNS1_3genE5ELNS1_11target_archE942ELNS1_3gpuE9ELNS1_3repE0EEENS1_30default_config_static_selectorELNS0_4arch9wavefront6targetE1EEEvT1_,comdat
	.protected	_ZN7rocprim17ROCPRIM_400000_NS6detail17trampoline_kernelINS0_14default_configENS1_25transform_config_selectorIdLb0EEEZNS1_14transform_implILb0ES3_S5_NS0_18transform_iteratorINS0_17counting_iteratorImlEEZNS1_24adjacent_difference_implIS3_Lb1ELb0EPdN6thrust23THRUST_200600_302600_NS16discard_iteratorINSD_11use_defaultEEENSD_5minusIdEEEE10hipError_tPvRmT2_T3_mT4_P12ihipStream_tbEUlmE_dEESB_NS0_8identityIvEEEESJ_SM_SN_mSO_SQ_bEUlT_E_NS1_11comp_targetILNS1_3genE5ELNS1_11target_archE942ELNS1_3gpuE9ELNS1_3repE0EEENS1_30default_config_static_selectorELNS0_4arch9wavefront6targetE1EEEvT1_ ; -- Begin function _ZN7rocprim17ROCPRIM_400000_NS6detail17trampoline_kernelINS0_14default_configENS1_25transform_config_selectorIdLb0EEEZNS1_14transform_implILb0ES3_S5_NS0_18transform_iteratorINS0_17counting_iteratorImlEEZNS1_24adjacent_difference_implIS3_Lb1ELb0EPdN6thrust23THRUST_200600_302600_NS16discard_iteratorINSD_11use_defaultEEENSD_5minusIdEEEE10hipError_tPvRmT2_T3_mT4_P12ihipStream_tbEUlmE_dEESB_NS0_8identityIvEEEESJ_SM_SN_mSO_SQ_bEUlT_E_NS1_11comp_targetILNS1_3genE5ELNS1_11target_archE942ELNS1_3gpuE9ELNS1_3repE0EEENS1_30default_config_static_selectorELNS0_4arch9wavefront6targetE1EEEvT1_
	.globl	_ZN7rocprim17ROCPRIM_400000_NS6detail17trampoline_kernelINS0_14default_configENS1_25transform_config_selectorIdLb0EEEZNS1_14transform_implILb0ES3_S5_NS0_18transform_iteratorINS0_17counting_iteratorImlEEZNS1_24adjacent_difference_implIS3_Lb1ELb0EPdN6thrust23THRUST_200600_302600_NS16discard_iteratorINSD_11use_defaultEEENSD_5minusIdEEEE10hipError_tPvRmT2_T3_mT4_P12ihipStream_tbEUlmE_dEESB_NS0_8identityIvEEEESJ_SM_SN_mSO_SQ_bEUlT_E_NS1_11comp_targetILNS1_3genE5ELNS1_11target_archE942ELNS1_3gpuE9ELNS1_3repE0EEENS1_30default_config_static_selectorELNS0_4arch9wavefront6targetE1EEEvT1_
	.p2align	8
	.type	_ZN7rocprim17ROCPRIM_400000_NS6detail17trampoline_kernelINS0_14default_configENS1_25transform_config_selectorIdLb0EEEZNS1_14transform_implILb0ES3_S5_NS0_18transform_iteratorINS0_17counting_iteratorImlEEZNS1_24adjacent_difference_implIS3_Lb1ELb0EPdN6thrust23THRUST_200600_302600_NS16discard_iteratorINSD_11use_defaultEEENSD_5minusIdEEEE10hipError_tPvRmT2_T3_mT4_P12ihipStream_tbEUlmE_dEESB_NS0_8identityIvEEEESJ_SM_SN_mSO_SQ_bEUlT_E_NS1_11comp_targetILNS1_3genE5ELNS1_11target_archE942ELNS1_3gpuE9ELNS1_3repE0EEENS1_30default_config_static_selectorELNS0_4arch9wavefront6targetE1EEEvT1_,@function
_ZN7rocprim17ROCPRIM_400000_NS6detail17trampoline_kernelINS0_14default_configENS1_25transform_config_selectorIdLb0EEEZNS1_14transform_implILb0ES3_S5_NS0_18transform_iteratorINS0_17counting_iteratorImlEEZNS1_24adjacent_difference_implIS3_Lb1ELb0EPdN6thrust23THRUST_200600_302600_NS16discard_iteratorINSD_11use_defaultEEENSD_5minusIdEEEE10hipError_tPvRmT2_T3_mT4_P12ihipStream_tbEUlmE_dEESB_NS0_8identityIvEEEESJ_SM_SN_mSO_SQ_bEUlT_E_NS1_11comp_targetILNS1_3genE5ELNS1_11target_archE942ELNS1_3gpuE9ELNS1_3repE0EEENS1_30default_config_static_selectorELNS0_4arch9wavefront6targetE1EEEvT1_: ; @_ZN7rocprim17ROCPRIM_400000_NS6detail17trampoline_kernelINS0_14default_configENS1_25transform_config_selectorIdLb0EEEZNS1_14transform_implILb0ES3_S5_NS0_18transform_iteratorINS0_17counting_iteratorImlEEZNS1_24adjacent_difference_implIS3_Lb1ELb0EPdN6thrust23THRUST_200600_302600_NS16discard_iteratorINSD_11use_defaultEEENSD_5minusIdEEEE10hipError_tPvRmT2_T3_mT4_P12ihipStream_tbEUlmE_dEESB_NS0_8identityIvEEEESJ_SM_SN_mSO_SQ_bEUlT_E_NS1_11comp_targetILNS1_3genE5ELNS1_11target_archE942ELNS1_3gpuE9ELNS1_3repE0EEENS1_30default_config_static_selectorELNS0_4arch9wavefront6targetE1EEEvT1_
; %bb.0:
	s_load_dwordx4 s[8:11], s[0:1], 0x18
	s_load_dwordx2 s[14:15], s[0:1], 0x28
	s_load_dwordx4 s[4:7], s[0:1], 0x0
	s_load_dword s12, s[0:1], 0x10
	s_load_dword s3, s[0:1], 0x38
	s_waitcnt lgkmcnt(0)
	s_lshl_b64 s[0:1], s[8:9], 3
	s_add_u32 s16, s14, s0
	s_addc_u32 s17, s15, s1
	s_lshl_b32 s14, s2, 11
	s_add_i32 s3, s3, -1
	s_add_u32 s0, s4, s14
	s_addc_u32 s1, s5, 0
	s_add_u32 s4, s0, s8
	s_addc_u32 s5, s1, s9
	s_mov_b32 s15, 0
	s_cmp_lg_u32 s2, s3
	v_lshlrev_b32_e32 v10, 3, v0
	s_cbranch_scc0 .LBB786_2
; %bb.1:
	v_mov_b32_e32 v1, 0
	v_lshl_add_u64 v[2:3], s[4:5], 0, v[0:1]
	v_mad_u64_u32 v[4:5], s[0:1], v2, s12, 0
	v_mov_b32_e32 v2, v5
	v_mad_u64_u32 v[2:3], s[0:1], v3, s12, v[2:3]
	s_mov_b32 s13, s15
	v_mov_b32_e32 v5, v2
	v_lshl_add_u64 v[2:3], v[4:5], 3, s[6:7]
	s_lshl_b64 s[0:1], s[12:13], 12
	v_lshl_add_u64 v[4:5], v[2:3], 0, s[0:1]
	v_lshl_add_u64 v[6:7], v[4:5], 0, s[0:1]
	global_load_dwordx2 v[14:15], v[2:3], off
	global_load_dwordx2 v[16:17], v[4:5], off
	;; [unrolled: 1-line block ×3, first 2 shown]
	v_lshl_add_u64 v[2:3], v[6:7], 0, s[0:1]
	global_load_dwordx2 v[8:9], v[2:3], off
	s_lshl_b64 s[2:3], s[14:15], 3
	s_add_u32 s2, s16, s2
	v_mov_b32_e32 v11, v1
	s_addc_u32 s3, s17, s3
	v_lshl_add_u64 v[12:13], s[2:3], 0, v[10:11]
	v_add_co_u32_e32 v2, vcc, 0x1000, v12
	s_nop 1
	v_addc_co_u32_e32 v3, vcc, 0, v13, vcc
	v_add_co_u32_e32 v4, vcc, 0x2000, v12
	s_mov_b64 s[8:9], -1
	s_nop 0
	v_addc_co_u32_e32 v5, vcc, 0, v13, vcc
	s_waitcnt vmcnt(3)
	global_store_dwordx2 v10, v[14:15], s[2:3]
	s_waitcnt vmcnt(3)
	global_store_dwordx2 v[2:3], v[16:17], off
	s_waitcnt vmcnt(3)
	global_store_dwordx2 v[4:5], v[18:19], off
	s_cbranch_execz .LBB786_3
	s_branch .LBB786_16
.LBB786_2:
	s_mov_b64 s[8:9], 0
                                        ; implicit-def: $vgpr8_vgpr9
                                        ; implicit-def: $vgpr12_vgpr13
.LBB786_3:
	s_sub_i32 s10, s10, s14
	v_cmp_gt_u32_e32 vcc, s10, v0
                                        ; implicit-def: $vgpr2_vgpr3_vgpr4_vgpr5_vgpr6_vgpr7_vgpr8_vgpr9
	s_and_saveexec_b64 s[0:1], vcc
	s_cbranch_execz .LBB786_5
; %bb.4:
	v_mov_b32_e32 v1, 0
	v_lshl_add_u64 v[2:3], s[4:5], 0, v[0:1]
	v_mad_u64_u32 v[4:5], s[2:3], v2, s12, 0
	v_mov_b32_e32 v2, v5
	v_mad_u64_u32 v[2:3], s[2:3], v3, s12, v[2:3]
	v_mov_b32_e32 v5, v2
	v_lshl_add_u64 v[2:3], v[4:5], 3, s[6:7]
	global_load_dwordx2 v[2:3], v[2:3], off
.LBB786_5:
	s_or_b64 exec, exec, s[0:1]
	v_or_b32_e32 v12, 0x200, v0
	v_cmp_gt_u32_e64 s[0:1], s10, v12
	s_and_saveexec_b64 s[2:3], s[0:1]
	s_cbranch_execz .LBB786_7
; %bb.6:
	v_mov_b32_e32 v13, 0
	v_lshl_add_u64 v[4:5], s[4:5], 0, v[12:13]
	v_mad_u64_u32 v[12:13], s[8:9], v4, s12, 0
	v_mov_b32_e32 v4, v13
	v_mad_u64_u32 v[4:5], s[8:9], v5, s12, v[4:5]
	v_mov_b32_e32 v13, v4
	v_lshl_add_u64 v[4:5], v[12:13], 3, s[6:7]
	global_load_dwordx2 v[4:5], v[4:5], off
.LBB786_7:
	s_or_b64 exec, exec, s[2:3]
	v_or_b32_e32 v12, 0x400, v0
	v_cmp_gt_u32_e64 s[2:3], s10, v12
	s_and_saveexec_b64 s[8:9], s[2:3]
	;; [unrolled: 15-line block ×3, first 2 shown]
	s_cbranch_execz .LBB786_11
; %bb.10:
	v_mov_b32_e32 v1, 0
	v_lshl_add_u64 v[0:1], s[4:5], 0, v[0:1]
	s_waitcnt vmcnt(3)
	v_mad_u64_u32 v[8:9], s[4:5], v0, s12, 0
	v_mov_b32_e32 v0, v9
	v_mad_u64_u32 v[0:1], s[4:5], v1, s12, v[0:1]
	v_mov_b32_e32 v9, v0
	v_lshl_add_u64 v[0:1], v[8:9], 3, s[6:7]
	global_load_dwordx2 v[8:9], v[0:1], off
.LBB786_11:
	s_or_b64 exec, exec, s[10:11]
	s_lshl_b64 s[4:5], s[14:15], 3
	s_add_u32 s4, s16, s4
	s_addc_u32 s5, s17, s5
	v_mov_b32_e32 v11, 0
	v_lshl_add_u64 v[12:13], s[4:5], 0, v[10:11]
	s_and_saveexec_b64 s[4:5], vcc
	s_cbranch_execnz .LBB786_19
; %bb.12:
	s_or_b64 exec, exec, s[4:5]
	s_and_saveexec_b64 s[4:5], s[0:1]
	s_cbranch_execnz .LBB786_20
.LBB786_13:
	s_or_b64 exec, exec, s[4:5]
	s_and_saveexec_b64 s[0:1], s[2:3]
	s_cbranch_execz .LBB786_15
.LBB786_14:
	v_add_co_u32_e32 v0, vcc, 0x2000, v12
	s_nop 1
	v_addc_co_u32_e32 v1, vcc, 0, v13, vcc
	s_waitcnt vmcnt(0)
	global_store_dwordx2 v[0:1], v[6:7], off
.LBB786_15:
	s_or_b64 exec, exec, s[0:1]
.LBB786_16:
	s_and_saveexec_b64 s[0:1], s[8:9]
	s_cbranch_execnz .LBB786_18
; %bb.17:
	s_endpgm
.LBB786_18:
	v_add_co_u32_e32 v0, vcc, 0x3000, v12
	s_nop 1
	v_addc_co_u32_e32 v1, vcc, 0, v13, vcc
	s_waitcnt vmcnt(0)
	global_store_dwordx2 v[0:1], v[8:9], off
	s_endpgm
.LBB786_19:
	s_waitcnt vmcnt(0)
	global_store_dwordx2 v[12:13], v[2:3], off
	s_or_b64 exec, exec, s[4:5]
	s_and_saveexec_b64 s[4:5], s[0:1]
	s_cbranch_execz .LBB786_13
.LBB786_20:
	v_add_co_u32_e32 v0, vcc, 0x1000, v12
	s_nop 1
	v_addc_co_u32_e32 v1, vcc, 0, v13, vcc
	s_waitcnt vmcnt(0)
	global_store_dwordx2 v[0:1], v[4:5], off
	s_or_b64 exec, exec, s[4:5]
	s_and_saveexec_b64 s[0:1], s[2:3]
	s_cbranch_execnz .LBB786_14
	s_branch .LBB786_15
	.section	.rodata,"a",@progbits
	.p2align	6, 0x0
	.amdhsa_kernel _ZN7rocprim17ROCPRIM_400000_NS6detail17trampoline_kernelINS0_14default_configENS1_25transform_config_selectorIdLb0EEEZNS1_14transform_implILb0ES3_S5_NS0_18transform_iteratorINS0_17counting_iteratorImlEEZNS1_24adjacent_difference_implIS3_Lb1ELb0EPdN6thrust23THRUST_200600_302600_NS16discard_iteratorINSD_11use_defaultEEENSD_5minusIdEEEE10hipError_tPvRmT2_T3_mT4_P12ihipStream_tbEUlmE_dEESB_NS0_8identityIvEEEESJ_SM_SN_mSO_SQ_bEUlT_E_NS1_11comp_targetILNS1_3genE5ELNS1_11target_archE942ELNS1_3gpuE9ELNS1_3repE0EEENS1_30default_config_static_selectorELNS0_4arch9wavefront6targetE1EEEvT1_
		.amdhsa_group_segment_fixed_size 0
		.amdhsa_private_segment_fixed_size 0
		.amdhsa_kernarg_size 312
		.amdhsa_user_sgpr_count 2
		.amdhsa_user_sgpr_dispatch_ptr 0
		.amdhsa_user_sgpr_queue_ptr 0
		.amdhsa_user_sgpr_kernarg_segment_ptr 1
		.amdhsa_user_sgpr_dispatch_id 0
		.amdhsa_user_sgpr_kernarg_preload_length 0
		.amdhsa_user_sgpr_kernarg_preload_offset 0
		.amdhsa_user_sgpr_private_segment_size 0
		.amdhsa_uses_dynamic_stack 0
		.amdhsa_enable_private_segment 0
		.amdhsa_system_sgpr_workgroup_id_x 1
		.amdhsa_system_sgpr_workgroup_id_y 0
		.amdhsa_system_sgpr_workgroup_id_z 0
		.amdhsa_system_sgpr_workgroup_info 0
		.amdhsa_system_vgpr_workitem_id 0
		.amdhsa_next_free_vgpr 20
		.amdhsa_next_free_sgpr 20
		.amdhsa_accum_offset 20
		.amdhsa_reserve_vcc 1
		.amdhsa_float_round_mode_32 0
		.amdhsa_float_round_mode_16_64 0
		.amdhsa_float_denorm_mode_32 3
		.amdhsa_float_denorm_mode_16_64 3
		.amdhsa_dx10_clamp 1
		.amdhsa_ieee_mode 1
		.amdhsa_fp16_overflow 0
		.amdhsa_tg_split 0
		.amdhsa_exception_fp_ieee_invalid_op 0
		.amdhsa_exception_fp_denorm_src 0
		.amdhsa_exception_fp_ieee_div_zero 0
		.amdhsa_exception_fp_ieee_overflow 0
		.amdhsa_exception_fp_ieee_underflow 0
		.amdhsa_exception_fp_ieee_inexact 0
		.amdhsa_exception_int_div_zero 0
	.end_amdhsa_kernel
	.section	.text._ZN7rocprim17ROCPRIM_400000_NS6detail17trampoline_kernelINS0_14default_configENS1_25transform_config_selectorIdLb0EEEZNS1_14transform_implILb0ES3_S5_NS0_18transform_iteratorINS0_17counting_iteratorImlEEZNS1_24adjacent_difference_implIS3_Lb1ELb0EPdN6thrust23THRUST_200600_302600_NS16discard_iteratorINSD_11use_defaultEEENSD_5minusIdEEEE10hipError_tPvRmT2_T3_mT4_P12ihipStream_tbEUlmE_dEESB_NS0_8identityIvEEEESJ_SM_SN_mSO_SQ_bEUlT_E_NS1_11comp_targetILNS1_3genE5ELNS1_11target_archE942ELNS1_3gpuE9ELNS1_3repE0EEENS1_30default_config_static_selectorELNS0_4arch9wavefront6targetE1EEEvT1_,"axG",@progbits,_ZN7rocprim17ROCPRIM_400000_NS6detail17trampoline_kernelINS0_14default_configENS1_25transform_config_selectorIdLb0EEEZNS1_14transform_implILb0ES3_S5_NS0_18transform_iteratorINS0_17counting_iteratorImlEEZNS1_24adjacent_difference_implIS3_Lb1ELb0EPdN6thrust23THRUST_200600_302600_NS16discard_iteratorINSD_11use_defaultEEENSD_5minusIdEEEE10hipError_tPvRmT2_T3_mT4_P12ihipStream_tbEUlmE_dEESB_NS0_8identityIvEEEESJ_SM_SN_mSO_SQ_bEUlT_E_NS1_11comp_targetILNS1_3genE5ELNS1_11target_archE942ELNS1_3gpuE9ELNS1_3repE0EEENS1_30default_config_static_selectorELNS0_4arch9wavefront6targetE1EEEvT1_,comdat
.Lfunc_end786:
	.size	_ZN7rocprim17ROCPRIM_400000_NS6detail17trampoline_kernelINS0_14default_configENS1_25transform_config_selectorIdLb0EEEZNS1_14transform_implILb0ES3_S5_NS0_18transform_iteratorINS0_17counting_iteratorImlEEZNS1_24adjacent_difference_implIS3_Lb1ELb0EPdN6thrust23THRUST_200600_302600_NS16discard_iteratorINSD_11use_defaultEEENSD_5minusIdEEEE10hipError_tPvRmT2_T3_mT4_P12ihipStream_tbEUlmE_dEESB_NS0_8identityIvEEEESJ_SM_SN_mSO_SQ_bEUlT_E_NS1_11comp_targetILNS1_3genE5ELNS1_11target_archE942ELNS1_3gpuE9ELNS1_3repE0EEENS1_30default_config_static_selectorELNS0_4arch9wavefront6targetE1EEEvT1_, .Lfunc_end786-_ZN7rocprim17ROCPRIM_400000_NS6detail17trampoline_kernelINS0_14default_configENS1_25transform_config_selectorIdLb0EEEZNS1_14transform_implILb0ES3_S5_NS0_18transform_iteratorINS0_17counting_iteratorImlEEZNS1_24adjacent_difference_implIS3_Lb1ELb0EPdN6thrust23THRUST_200600_302600_NS16discard_iteratorINSD_11use_defaultEEENSD_5minusIdEEEE10hipError_tPvRmT2_T3_mT4_P12ihipStream_tbEUlmE_dEESB_NS0_8identityIvEEEESJ_SM_SN_mSO_SQ_bEUlT_E_NS1_11comp_targetILNS1_3genE5ELNS1_11target_archE942ELNS1_3gpuE9ELNS1_3repE0EEENS1_30default_config_static_selectorELNS0_4arch9wavefront6targetE1EEEvT1_
                                        ; -- End function
	.section	.AMDGPU.csdata,"",@progbits
; Kernel info:
; codeLenInByte = 828
; NumSgprs: 26
; NumVgprs: 20
; NumAgprs: 0
; TotalNumVgprs: 20
; ScratchSize: 0
; MemoryBound: 0
; FloatMode: 240
; IeeeMode: 1
; LDSByteSize: 0 bytes/workgroup (compile time only)
; SGPRBlocks: 3
; VGPRBlocks: 2
; NumSGPRsForWavesPerEU: 26
; NumVGPRsForWavesPerEU: 20
; AccumOffset: 20
; Occupancy: 8
; WaveLimiterHint : 1
; COMPUTE_PGM_RSRC2:SCRATCH_EN: 0
; COMPUTE_PGM_RSRC2:USER_SGPR: 2
; COMPUTE_PGM_RSRC2:TRAP_HANDLER: 0
; COMPUTE_PGM_RSRC2:TGID_X_EN: 1
; COMPUTE_PGM_RSRC2:TGID_Y_EN: 0
; COMPUTE_PGM_RSRC2:TGID_Z_EN: 0
; COMPUTE_PGM_RSRC2:TIDIG_COMP_CNT: 0
; COMPUTE_PGM_RSRC3_GFX90A:ACCUM_OFFSET: 4
; COMPUTE_PGM_RSRC3_GFX90A:TG_SPLIT: 0
	.section	.text._ZN7rocprim17ROCPRIM_400000_NS6detail17trampoline_kernelINS0_14default_configENS1_25transform_config_selectorIdLb0EEEZNS1_14transform_implILb0ES3_S5_NS0_18transform_iteratorINS0_17counting_iteratorImlEEZNS1_24adjacent_difference_implIS3_Lb1ELb0EPdN6thrust23THRUST_200600_302600_NS16discard_iteratorINSD_11use_defaultEEENSD_5minusIdEEEE10hipError_tPvRmT2_T3_mT4_P12ihipStream_tbEUlmE_dEESB_NS0_8identityIvEEEESJ_SM_SN_mSO_SQ_bEUlT_E_NS1_11comp_targetILNS1_3genE4ELNS1_11target_archE910ELNS1_3gpuE8ELNS1_3repE0EEENS1_30default_config_static_selectorELNS0_4arch9wavefront6targetE1EEEvT1_,"axG",@progbits,_ZN7rocprim17ROCPRIM_400000_NS6detail17trampoline_kernelINS0_14default_configENS1_25transform_config_selectorIdLb0EEEZNS1_14transform_implILb0ES3_S5_NS0_18transform_iteratorINS0_17counting_iteratorImlEEZNS1_24adjacent_difference_implIS3_Lb1ELb0EPdN6thrust23THRUST_200600_302600_NS16discard_iteratorINSD_11use_defaultEEENSD_5minusIdEEEE10hipError_tPvRmT2_T3_mT4_P12ihipStream_tbEUlmE_dEESB_NS0_8identityIvEEEESJ_SM_SN_mSO_SQ_bEUlT_E_NS1_11comp_targetILNS1_3genE4ELNS1_11target_archE910ELNS1_3gpuE8ELNS1_3repE0EEENS1_30default_config_static_selectorELNS0_4arch9wavefront6targetE1EEEvT1_,comdat
	.protected	_ZN7rocprim17ROCPRIM_400000_NS6detail17trampoline_kernelINS0_14default_configENS1_25transform_config_selectorIdLb0EEEZNS1_14transform_implILb0ES3_S5_NS0_18transform_iteratorINS0_17counting_iteratorImlEEZNS1_24adjacent_difference_implIS3_Lb1ELb0EPdN6thrust23THRUST_200600_302600_NS16discard_iteratorINSD_11use_defaultEEENSD_5minusIdEEEE10hipError_tPvRmT2_T3_mT4_P12ihipStream_tbEUlmE_dEESB_NS0_8identityIvEEEESJ_SM_SN_mSO_SQ_bEUlT_E_NS1_11comp_targetILNS1_3genE4ELNS1_11target_archE910ELNS1_3gpuE8ELNS1_3repE0EEENS1_30default_config_static_selectorELNS0_4arch9wavefront6targetE1EEEvT1_ ; -- Begin function _ZN7rocprim17ROCPRIM_400000_NS6detail17trampoline_kernelINS0_14default_configENS1_25transform_config_selectorIdLb0EEEZNS1_14transform_implILb0ES3_S5_NS0_18transform_iteratorINS0_17counting_iteratorImlEEZNS1_24adjacent_difference_implIS3_Lb1ELb0EPdN6thrust23THRUST_200600_302600_NS16discard_iteratorINSD_11use_defaultEEENSD_5minusIdEEEE10hipError_tPvRmT2_T3_mT4_P12ihipStream_tbEUlmE_dEESB_NS0_8identityIvEEEESJ_SM_SN_mSO_SQ_bEUlT_E_NS1_11comp_targetILNS1_3genE4ELNS1_11target_archE910ELNS1_3gpuE8ELNS1_3repE0EEENS1_30default_config_static_selectorELNS0_4arch9wavefront6targetE1EEEvT1_
	.globl	_ZN7rocprim17ROCPRIM_400000_NS6detail17trampoline_kernelINS0_14default_configENS1_25transform_config_selectorIdLb0EEEZNS1_14transform_implILb0ES3_S5_NS0_18transform_iteratorINS0_17counting_iteratorImlEEZNS1_24adjacent_difference_implIS3_Lb1ELb0EPdN6thrust23THRUST_200600_302600_NS16discard_iteratorINSD_11use_defaultEEENSD_5minusIdEEEE10hipError_tPvRmT2_T3_mT4_P12ihipStream_tbEUlmE_dEESB_NS0_8identityIvEEEESJ_SM_SN_mSO_SQ_bEUlT_E_NS1_11comp_targetILNS1_3genE4ELNS1_11target_archE910ELNS1_3gpuE8ELNS1_3repE0EEENS1_30default_config_static_selectorELNS0_4arch9wavefront6targetE1EEEvT1_
	.p2align	8
	.type	_ZN7rocprim17ROCPRIM_400000_NS6detail17trampoline_kernelINS0_14default_configENS1_25transform_config_selectorIdLb0EEEZNS1_14transform_implILb0ES3_S5_NS0_18transform_iteratorINS0_17counting_iteratorImlEEZNS1_24adjacent_difference_implIS3_Lb1ELb0EPdN6thrust23THRUST_200600_302600_NS16discard_iteratorINSD_11use_defaultEEENSD_5minusIdEEEE10hipError_tPvRmT2_T3_mT4_P12ihipStream_tbEUlmE_dEESB_NS0_8identityIvEEEESJ_SM_SN_mSO_SQ_bEUlT_E_NS1_11comp_targetILNS1_3genE4ELNS1_11target_archE910ELNS1_3gpuE8ELNS1_3repE0EEENS1_30default_config_static_selectorELNS0_4arch9wavefront6targetE1EEEvT1_,@function
_ZN7rocprim17ROCPRIM_400000_NS6detail17trampoline_kernelINS0_14default_configENS1_25transform_config_selectorIdLb0EEEZNS1_14transform_implILb0ES3_S5_NS0_18transform_iteratorINS0_17counting_iteratorImlEEZNS1_24adjacent_difference_implIS3_Lb1ELb0EPdN6thrust23THRUST_200600_302600_NS16discard_iteratorINSD_11use_defaultEEENSD_5minusIdEEEE10hipError_tPvRmT2_T3_mT4_P12ihipStream_tbEUlmE_dEESB_NS0_8identityIvEEEESJ_SM_SN_mSO_SQ_bEUlT_E_NS1_11comp_targetILNS1_3genE4ELNS1_11target_archE910ELNS1_3gpuE8ELNS1_3repE0EEENS1_30default_config_static_selectorELNS0_4arch9wavefront6targetE1EEEvT1_: ; @_ZN7rocprim17ROCPRIM_400000_NS6detail17trampoline_kernelINS0_14default_configENS1_25transform_config_selectorIdLb0EEEZNS1_14transform_implILb0ES3_S5_NS0_18transform_iteratorINS0_17counting_iteratorImlEEZNS1_24adjacent_difference_implIS3_Lb1ELb0EPdN6thrust23THRUST_200600_302600_NS16discard_iteratorINSD_11use_defaultEEENSD_5minusIdEEEE10hipError_tPvRmT2_T3_mT4_P12ihipStream_tbEUlmE_dEESB_NS0_8identityIvEEEESJ_SM_SN_mSO_SQ_bEUlT_E_NS1_11comp_targetILNS1_3genE4ELNS1_11target_archE910ELNS1_3gpuE8ELNS1_3repE0EEENS1_30default_config_static_selectorELNS0_4arch9wavefront6targetE1EEEvT1_
; %bb.0:
	.section	.rodata,"a",@progbits
	.p2align	6, 0x0
	.amdhsa_kernel _ZN7rocprim17ROCPRIM_400000_NS6detail17trampoline_kernelINS0_14default_configENS1_25transform_config_selectorIdLb0EEEZNS1_14transform_implILb0ES3_S5_NS0_18transform_iteratorINS0_17counting_iteratorImlEEZNS1_24adjacent_difference_implIS3_Lb1ELb0EPdN6thrust23THRUST_200600_302600_NS16discard_iteratorINSD_11use_defaultEEENSD_5minusIdEEEE10hipError_tPvRmT2_T3_mT4_P12ihipStream_tbEUlmE_dEESB_NS0_8identityIvEEEESJ_SM_SN_mSO_SQ_bEUlT_E_NS1_11comp_targetILNS1_3genE4ELNS1_11target_archE910ELNS1_3gpuE8ELNS1_3repE0EEENS1_30default_config_static_selectorELNS0_4arch9wavefront6targetE1EEEvT1_
		.amdhsa_group_segment_fixed_size 0
		.amdhsa_private_segment_fixed_size 0
		.amdhsa_kernarg_size 56
		.amdhsa_user_sgpr_count 2
		.amdhsa_user_sgpr_dispatch_ptr 0
		.amdhsa_user_sgpr_queue_ptr 0
		.amdhsa_user_sgpr_kernarg_segment_ptr 1
		.amdhsa_user_sgpr_dispatch_id 0
		.amdhsa_user_sgpr_kernarg_preload_length 0
		.amdhsa_user_sgpr_kernarg_preload_offset 0
		.amdhsa_user_sgpr_private_segment_size 0
		.amdhsa_uses_dynamic_stack 0
		.amdhsa_enable_private_segment 0
		.amdhsa_system_sgpr_workgroup_id_x 1
		.amdhsa_system_sgpr_workgroup_id_y 0
		.amdhsa_system_sgpr_workgroup_id_z 0
		.amdhsa_system_sgpr_workgroup_info 0
		.amdhsa_system_vgpr_workitem_id 0
		.amdhsa_next_free_vgpr 1
		.amdhsa_next_free_sgpr 0
		.amdhsa_accum_offset 4
		.amdhsa_reserve_vcc 0
		.amdhsa_float_round_mode_32 0
		.amdhsa_float_round_mode_16_64 0
		.amdhsa_float_denorm_mode_32 3
		.amdhsa_float_denorm_mode_16_64 3
		.amdhsa_dx10_clamp 1
		.amdhsa_ieee_mode 1
		.amdhsa_fp16_overflow 0
		.amdhsa_tg_split 0
		.amdhsa_exception_fp_ieee_invalid_op 0
		.amdhsa_exception_fp_denorm_src 0
		.amdhsa_exception_fp_ieee_div_zero 0
		.amdhsa_exception_fp_ieee_overflow 0
		.amdhsa_exception_fp_ieee_underflow 0
		.amdhsa_exception_fp_ieee_inexact 0
		.amdhsa_exception_int_div_zero 0
	.end_amdhsa_kernel
	.section	.text._ZN7rocprim17ROCPRIM_400000_NS6detail17trampoline_kernelINS0_14default_configENS1_25transform_config_selectorIdLb0EEEZNS1_14transform_implILb0ES3_S5_NS0_18transform_iteratorINS0_17counting_iteratorImlEEZNS1_24adjacent_difference_implIS3_Lb1ELb0EPdN6thrust23THRUST_200600_302600_NS16discard_iteratorINSD_11use_defaultEEENSD_5minusIdEEEE10hipError_tPvRmT2_T3_mT4_P12ihipStream_tbEUlmE_dEESB_NS0_8identityIvEEEESJ_SM_SN_mSO_SQ_bEUlT_E_NS1_11comp_targetILNS1_3genE4ELNS1_11target_archE910ELNS1_3gpuE8ELNS1_3repE0EEENS1_30default_config_static_selectorELNS0_4arch9wavefront6targetE1EEEvT1_,"axG",@progbits,_ZN7rocprim17ROCPRIM_400000_NS6detail17trampoline_kernelINS0_14default_configENS1_25transform_config_selectorIdLb0EEEZNS1_14transform_implILb0ES3_S5_NS0_18transform_iteratorINS0_17counting_iteratorImlEEZNS1_24adjacent_difference_implIS3_Lb1ELb0EPdN6thrust23THRUST_200600_302600_NS16discard_iteratorINSD_11use_defaultEEENSD_5minusIdEEEE10hipError_tPvRmT2_T3_mT4_P12ihipStream_tbEUlmE_dEESB_NS0_8identityIvEEEESJ_SM_SN_mSO_SQ_bEUlT_E_NS1_11comp_targetILNS1_3genE4ELNS1_11target_archE910ELNS1_3gpuE8ELNS1_3repE0EEENS1_30default_config_static_selectorELNS0_4arch9wavefront6targetE1EEEvT1_,comdat
.Lfunc_end787:
	.size	_ZN7rocprim17ROCPRIM_400000_NS6detail17trampoline_kernelINS0_14default_configENS1_25transform_config_selectorIdLb0EEEZNS1_14transform_implILb0ES3_S5_NS0_18transform_iteratorINS0_17counting_iteratorImlEEZNS1_24adjacent_difference_implIS3_Lb1ELb0EPdN6thrust23THRUST_200600_302600_NS16discard_iteratorINSD_11use_defaultEEENSD_5minusIdEEEE10hipError_tPvRmT2_T3_mT4_P12ihipStream_tbEUlmE_dEESB_NS0_8identityIvEEEESJ_SM_SN_mSO_SQ_bEUlT_E_NS1_11comp_targetILNS1_3genE4ELNS1_11target_archE910ELNS1_3gpuE8ELNS1_3repE0EEENS1_30default_config_static_selectorELNS0_4arch9wavefront6targetE1EEEvT1_, .Lfunc_end787-_ZN7rocprim17ROCPRIM_400000_NS6detail17trampoline_kernelINS0_14default_configENS1_25transform_config_selectorIdLb0EEEZNS1_14transform_implILb0ES3_S5_NS0_18transform_iteratorINS0_17counting_iteratorImlEEZNS1_24adjacent_difference_implIS3_Lb1ELb0EPdN6thrust23THRUST_200600_302600_NS16discard_iteratorINSD_11use_defaultEEENSD_5minusIdEEEE10hipError_tPvRmT2_T3_mT4_P12ihipStream_tbEUlmE_dEESB_NS0_8identityIvEEEESJ_SM_SN_mSO_SQ_bEUlT_E_NS1_11comp_targetILNS1_3genE4ELNS1_11target_archE910ELNS1_3gpuE8ELNS1_3repE0EEENS1_30default_config_static_selectorELNS0_4arch9wavefront6targetE1EEEvT1_
                                        ; -- End function
	.section	.AMDGPU.csdata,"",@progbits
; Kernel info:
; codeLenInByte = 0
; NumSgprs: 6
; NumVgprs: 0
; NumAgprs: 0
; TotalNumVgprs: 0
; ScratchSize: 0
; MemoryBound: 0
; FloatMode: 240
; IeeeMode: 1
; LDSByteSize: 0 bytes/workgroup (compile time only)
; SGPRBlocks: 0
; VGPRBlocks: 0
; NumSGPRsForWavesPerEU: 6
; NumVGPRsForWavesPerEU: 1
; AccumOffset: 4
; Occupancy: 8
; WaveLimiterHint : 0
; COMPUTE_PGM_RSRC2:SCRATCH_EN: 0
; COMPUTE_PGM_RSRC2:USER_SGPR: 2
; COMPUTE_PGM_RSRC2:TRAP_HANDLER: 0
; COMPUTE_PGM_RSRC2:TGID_X_EN: 1
; COMPUTE_PGM_RSRC2:TGID_Y_EN: 0
; COMPUTE_PGM_RSRC2:TGID_Z_EN: 0
; COMPUTE_PGM_RSRC2:TIDIG_COMP_CNT: 0
; COMPUTE_PGM_RSRC3_GFX90A:ACCUM_OFFSET: 0
; COMPUTE_PGM_RSRC3_GFX90A:TG_SPLIT: 0
	.section	.text._ZN7rocprim17ROCPRIM_400000_NS6detail17trampoline_kernelINS0_14default_configENS1_25transform_config_selectorIdLb0EEEZNS1_14transform_implILb0ES3_S5_NS0_18transform_iteratorINS0_17counting_iteratorImlEEZNS1_24adjacent_difference_implIS3_Lb1ELb0EPdN6thrust23THRUST_200600_302600_NS16discard_iteratorINSD_11use_defaultEEENSD_5minusIdEEEE10hipError_tPvRmT2_T3_mT4_P12ihipStream_tbEUlmE_dEESB_NS0_8identityIvEEEESJ_SM_SN_mSO_SQ_bEUlT_E_NS1_11comp_targetILNS1_3genE3ELNS1_11target_archE908ELNS1_3gpuE7ELNS1_3repE0EEENS1_30default_config_static_selectorELNS0_4arch9wavefront6targetE1EEEvT1_,"axG",@progbits,_ZN7rocprim17ROCPRIM_400000_NS6detail17trampoline_kernelINS0_14default_configENS1_25transform_config_selectorIdLb0EEEZNS1_14transform_implILb0ES3_S5_NS0_18transform_iteratorINS0_17counting_iteratorImlEEZNS1_24adjacent_difference_implIS3_Lb1ELb0EPdN6thrust23THRUST_200600_302600_NS16discard_iteratorINSD_11use_defaultEEENSD_5minusIdEEEE10hipError_tPvRmT2_T3_mT4_P12ihipStream_tbEUlmE_dEESB_NS0_8identityIvEEEESJ_SM_SN_mSO_SQ_bEUlT_E_NS1_11comp_targetILNS1_3genE3ELNS1_11target_archE908ELNS1_3gpuE7ELNS1_3repE0EEENS1_30default_config_static_selectorELNS0_4arch9wavefront6targetE1EEEvT1_,comdat
	.protected	_ZN7rocprim17ROCPRIM_400000_NS6detail17trampoline_kernelINS0_14default_configENS1_25transform_config_selectorIdLb0EEEZNS1_14transform_implILb0ES3_S5_NS0_18transform_iteratorINS0_17counting_iteratorImlEEZNS1_24adjacent_difference_implIS3_Lb1ELb0EPdN6thrust23THRUST_200600_302600_NS16discard_iteratorINSD_11use_defaultEEENSD_5minusIdEEEE10hipError_tPvRmT2_T3_mT4_P12ihipStream_tbEUlmE_dEESB_NS0_8identityIvEEEESJ_SM_SN_mSO_SQ_bEUlT_E_NS1_11comp_targetILNS1_3genE3ELNS1_11target_archE908ELNS1_3gpuE7ELNS1_3repE0EEENS1_30default_config_static_selectorELNS0_4arch9wavefront6targetE1EEEvT1_ ; -- Begin function _ZN7rocprim17ROCPRIM_400000_NS6detail17trampoline_kernelINS0_14default_configENS1_25transform_config_selectorIdLb0EEEZNS1_14transform_implILb0ES3_S5_NS0_18transform_iteratorINS0_17counting_iteratorImlEEZNS1_24adjacent_difference_implIS3_Lb1ELb0EPdN6thrust23THRUST_200600_302600_NS16discard_iteratorINSD_11use_defaultEEENSD_5minusIdEEEE10hipError_tPvRmT2_T3_mT4_P12ihipStream_tbEUlmE_dEESB_NS0_8identityIvEEEESJ_SM_SN_mSO_SQ_bEUlT_E_NS1_11comp_targetILNS1_3genE3ELNS1_11target_archE908ELNS1_3gpuE7ELNS1_3repE0EEENS1_30default_config_static_selectorELNS0_4arch9wavefront6targetE1EEEvT1_
	.globl	_ZN7rocprim17ROCPRIM_400000_NS6detail17trampoline_kernelINS0_14default_configENS1_25transform_config_selectorIdLb0EEEZNS1_14transform_implILb0ES3_S5_NS0_18transform_iteratorINS0_17counting_iteratorImlEEZNS1_24adjacent_difference_implIS3_Lb1ELb0EPdN6thrust23THRUST_200600_302600_NS16discard_iteratorINSD_11use_defaultEEENSD_5minusIdEEEE10hipError_tPvRmT2_T3_mT4_P12ihipStream_tbEUlmE_dEESB_NS0_8identityIvEEEESJ_SM_SN_mSO_SQ_bEUlT_E_NS1_11comp_targetILNS1_3genE3ELNS1_11target_archE908ELNS1_3gpuE7ELNS1_3repE0EEENS1_30default_config_static_selectorELNS0_4arch9wavefront6targetE1EEEvT1_
	.p2align	8
	.type	_ZN7rocprim17ROCPRIM_400000_NS6detail17trampoline_kernelINS0_14default_configENS1_25transform_config_selectorIdLb0EEEZNS1_14transform_implILb0ES3_S5_NS0_18transform_iteratorINS0_17counting_iteratorImlEEZNS1_24adjacent_difference_implIS3_Lb1ELb0EPdN6thrust23THRUST_200600_302600_NS16discard_iteratorINSD_11use_defaultEEENSD_5minusIdEEEE10hipError_tPvRmT2_T3_mT4_P12ihipStream_tbEUlmE_dEESB_NS0_8identityIvEEEESJ_SM_SN_mSO_SQ_bEUlT_E_NS1_11comp_targetILNS1_3genE3ELNS1_11target_archE908ELNS1_3gpuE7ELNS1_3repE0EEENS1_30default_config_static_selectorELNS0_4arch9wavefront6targetE1EEEvT1_,@function
_ZN7rocprim17ROCPRIM_400000_NS6detail17trampoline_kernelINS0_14default_configENS1_25transform_config_selectorIdLb0EEEZNS1_14transform_implILb0ES3_S5_NS0_18transform_iteratorINS0_17counting_iteratorImlEEZNS1_24adjacent_difference_implIS3_Lb1ELb0EPdN6thrust23THRUST_200600_302600_NS16discard_iteratorINSD_11use_defaultEEENSD_5minusIdEEEE10hipError_tPvRmT2_T3_mT4_P12ihipStream_tbEUlmE_dEESB_NS0_8identityIvEEEESJ_SM_SN_mSO_SQ_bEUlT_E_NS1_11comp_targetILNS1_3genE3ELNS1_11target_archE908ELNS1_3gpuE7ELNS1_3repE0EEENS1_30default_config_static_selectorELNS0_4arch9wavefront6targetE1EEEvT1_: ; @_ZN7rocprim17ROCPRIM_400000_NS6detail17trampoline_kernelINS0_14default_configENS1_25transform_config_selectorIdLb0EEEZNS1_14transform_implILb0ES3_S5_NS0_18transform_iteratorINS0_17counting_iteratorImlEEZNS1_24adjacent_difference_implIS3_Lb1ELb0EPdN6thrust23THRUST_200600_302600_NS16discard_iteratorINSD_11use_defaultEEENSD_5minusIdEEEE10hipError_tPvRmT2_T3_mT4_P12ihipStream_tbEUlmE_dEESB_NS0_8identityIvEEEESJ_SM_SN_mSO_SQ_bEUlT_E_NS1_11comp_targetILNS1_3genE3ELNS1_11target_archE908ELNS1_3gpuE7ELNS1_3repE0EEENS1_30default_config_static_selectorELNS0_4arch9wavefront6targetE1EEEvT1_
; %bb.0:
	.section	.rodata,"a",@progbits
	.p2align	6, 0x0
	.amdhsa_kernel _ZN7rocprim17ROCPRIM_400000_NS6detail17trampoline_kernelINS0_14default_configENS1_25transform_config_selectorIdLb0EEEZNS1_14transform_implILb0ES3_S5_NS0_18transform_iteratorINS0_17counting_iteratorImlEEZNS1_24adjacent_difference_implIS3_Lb1ELb0EPdN6thrust23THRUST_200600_302600_NS16discard_iteratorINSD_11use_defaultEEENSD_5minusIdEEEE10hipError_tPvRmT2_T3_mT4_P12ihipStream_tbEUlmE_dEESB_NS0_8identityIvEEEESJ_SM_SN_mSO_SQ_bEUlT_E_NS1_11comp_targetILNS1_3genE3ELNS1_11target_archE908ELNS1_3gpuE7ELNS1_3repE0EEENS1_30default_config_static_selectorELNS0_4arch9wavefront6targetE1EEEvT1_
		.amdhsa_group_segment_fixed_size 0
		.amdhsa_private_segment_fixed_size 0
		.amdhsa_kernarg_size 56
		.amdhsa_user_sgpr_count 2
		.amdhsa_user_sgpr_dispatch_ptr 0
		.amdhsa_user_sgpr_queue_ptr 0
		.amdhsa_user_sgpr_kernarg_segment_ptr 1
		.amdhsa_user_sgpr_dispatch_id 0
		.amdhsa_user_sgpr_kernarg_preload_length 0
		.amdhsa_user_sgpr_kernarg_preload_offset 0
		.amdhsa_user_sgpr_private_segment_size 0
		.amdhsa_uses_dynamic_stack 0
		.amdhsa_enable_private_segment 0
		.amdhsa_system_sgpr_workgroup_id_x 1
		.amdhsa_system_sgpr_workgroup_id_y 0
		.amdhsa_system_sgpr_workgroup_id_z 0
		.amdhsa_system_sgpr_workgroup_info 0
		.amdhsa_system_vgpr_workitem_id 0
		.amdhsa_next_free_vgpr 1
		.amdhsa_next_free_sgpr 0
		.amdhsa_accum_offset 4
		.amdhsa_reserve_vcc 0
		.amdhsa_float_round_mode_32 0
		.amdhsa_float_round_mode_16_64 0
		.amdhsa_float_denorm_mode_32 3
		.amdhsa_float_denorm_mode_16_64 3
		.amdhsa_dx10_clamp 1
		.amdhsa_ieee_mode 1
		.amdhsa_fp16_overflow 0
		.amdhsa_tg_split 0
		.amdhsa_exception_fp_ieee_invalid_op 0
		.amdhsa_exception_fp_denorm_src 0
		.amdhsa_exception_fp_ieee_div_zero 0
		.amdhsa_exception_fp_ieee_overflow 0
		.amdhsa_exception_fp_ieee_underflow 0
		.amdhsa_exception_fp_ieee_inexact 0
		.amdhsa_exception_int_div_zero 0
	.end_amdhsa_kernel
	.section	.text._ZN7rocprim17ROCPRIM_400000_NS6detail17trampoline_kernelINS0_14default_configENS1_25transform_config_selectorIdLb0EEEZNS1_14transform_implILb0ES3_S5_NS0_18transform_iteratorINS0_17counting_iteratorImlEEZNS1_24adjacent_difference_implIS3_Lb1ELb0EPdN6thrust23THRUST_200600_302600_NS16discard_iteratorINSD_11use_defaultEEENSD_5minusIdEEEE10hipError_tPvRmT2_T3_mT4_P12ihipStream_tbEUlmE_dEESB_NS0_8identityIvEEEESJ_SM_SN_mSO_SQ_bEUlT_E_NS1_11comp_targetILNS1_3genE3ELNS1_11target_archE908ELNS1_3gpuE7ELNS1_3repE0EEENS1_30default_config_static_selectorELNS0_4arch9wavefront6targetE1EEEvT1_,"axG",@progbits,_ZN7rocprim17ROCPRIM_400000_NS6detail17trampoline_kernelINS0_14default_configENS1_25transform_config_selectorIdLb0EEEZNS1_14transform_implILb0ES3_S5_NS0_18transform_iteratorINS0_17counting_iteratorImlEEZNS1_24adjacent_difference_implIS3_Lb1ELb0EPdN6thrust23THRUST_200600_302600_NS16discard_iteratorINSD_11use_defaultEEENSD_5minusIdEEEE10hipError_tPvRmT2_T3_mT4_P12ihipStream_tbEUlmE_dEESB_NS0_8identityIvEEEESJ_SM_SN_mSO_SQ_bEUlT_E_NS1_11comp_targetILNS1_3genE3ELNS1_11target_archE908ELNS1_3gpuE7ELNS1_3repE0EEENS1_30default_config_static_selectorELNS0_4arch9wavefront6targetE1EEEvT1_,comdat
.Lfunc_end788:
	.size	_ZN7rocprim17ROCPRIM_400000_NS6detail17trampoline_kernelINS0_14default_configENS1_25transform_config_selectorIdLb0EEEZNS1_14transform_implILb0ES3_S5_NS0_18transform_iteratorINS0_17counting_iteratorImlEEZNS1_24adjacent_difference_implIS3_Lb1ELb0EPdN6thrust23THRUST_200600_302600_NS16discard_iteratorINSD_11use_defaultEEENSD_5minusIdEEEE10hipError_tPvRmT2_T3_mT4_P12ihipStream_tbEUlmE_dEESB_NS0_8identityIvEEEESJ_SM_SN_mSO_SQ_bEUlT_E_NS1_11comp_targetILNS1_3genE3ELNS1_11target_archE908ELNS1_3gpuE7ELNS1_3repE0EEENS1_30default_config_static_selectorELNS0_4arch9wavefront6targetE1EEEvT1_, .Lfunc_end788-_ZN7rocprim17ROCPRIM_400000_NS6detail17trampoline_kernelINS0_14default_configENS1_25transform_config_selectorIdLb0EEEZNS1_14transform_implILb0ES3_S5_NS0_18transform_iteratorINS0_17counting_iteratorImlEEZNS1_24adjacent_difference_implIS3_Lb1ELb0EPdN6thrust23THRUST_200600_302600_NS16discard_iteratorINSD_11use_defaultEEENSD_5minusIdEEEE10hipError_tPvRmT2_T3_mT4_P12ihipStream_tbEUlmE_dEESB_NS0_8identityIvEEEESJ_SM_SN_mSO_SQ_bEUlT_E_NS1_11comp_targetILNS1_3genE3ELNS1_11target_archE908ELNS1_3gpuE7ELNS1_3repE0EEENS1_30default_config_static_selectorELNS0_4arch9wavefront6targetE1EEEvT1_
                                        ; -- End function
	.section	.AMDGPU.csdata,"",@progbits
; Kernel info:
; codeLenInByte = 0
; NumSgprs: 6
; NumVgprs: 0
; NumAgprs: 0
; TotalNumVgprs: 0
; ScratchSize: 0
; MemoryBound: 0
; FloatMode: 240
; IeeeMode: 1
; LDSByteSize: 0 bytes/workgroup (compile time only)
; SGPRBlocks: 0
; VGPRBlocks: 0
; NumSGPRsForWavesPerEU: 6
; NumVGPRsForWavesPerEU: 1
; AccumOffset: 4
; Occupancy: 8
; WaveLimiterHint : 0
; COMPUTE_PGM_RSRC2:SCRATCH_EN: 0
; COMPUTE_PGM_RSRC2:USER_SGPR: 2
; COMPUTE_PGM_RSRC2:TRAP_HANDLER: 0
; COMPUTE_PGM_RSRC2:TGID_X_EN: 1
; COMPUTE_PGM_RSRC2:TGID_Y_EN: 0
; COMPUTE_PGM_RSRC2:TGID_Z_EN: 0
; COMPUTE_PGM_RSRC2:TIDIG_COMP_CNT: 0
; COMPUTE_PGM_RSRC3_GFX90A:ACCUM_OFFSET: 0
; COMPUTE_PGM_RSRC3_GFX90A:TG_SPLIT: 0
	.section	.text._ZN7rocprim17ROCPRIM_400000_NS6detail17trampoline_kernelINS0_14default_configENS1_25transform_config_selectorIdLb0EEEZNS1_14transform_implILb0ES3_S5_NS0_18transform_iteratorINS0_17counting_iteratorImlEEZNS1_24adjacent_difference_implIS3_Lb1ELb0EPdN6thrust23THRUST_200600_302600_NS16discard_iteratorINSD_11use_defaultEEENSD_5minusIdEEEE10hipError_tPvRmT2_T3_mT4_P12ihipStream_tbEUlmE_dEESB_NS0_8identityIvEEEESJ_SM_SN_mSO_SQ_bEUlT_E_NS1_11comp_targetILNS1_3genE2ELNS1_11target_archE906ELNS1_3gpuE6ELNS1_3repE0EEENS1_30default_config_static_selectorELNS0_4arch9wavefront6targetE1EEEvT1_,"axG",@progbits,_ZN7rocprim17ROCPRIM_400000_NS6detail17trampoline_kernelINS0_14default_configENS1_25transform_config_selectorIdLb0EEEZNS1_14transform_implILb0ES3_S5_NS0_18transform_iteratorINS0_17counting_iteratorImlEEZNS1_24adjacent_difference_implIS3_Lb1ELb0EPdN6thrust23THRUST_200600_302600_NS16discard_iteratorINSD_11use_defaultEEENSD_5minusIdEEEE10hipError_tPvRmT2_T3_mT4_P12ihipStream_tbEUlmE_dEESB_NS0_8identityIvEEEESJ_SM_SN_mSO_SQ_bEUlT_E_NS1_11comp_targetILNS1_3genE2ELNS1_11target_archE906ELNS1_3gpuE6ELNS1_3repE0EEENS1_30default_config_static_selectorELNS0_4arch9wavefront6targetE1EEEvT1_,comdat
	.protected	_ZN7rocprim17ROCPRIM_400000_NS6detail17trampoline_kernelINS0_14default_configENS1_25transform_config_selectorIdLb0EEEZNS1_14transform_implILb0ES3_S5_NS0_18transform_iteratorINS0_17counting_iteratorImlEEZNS1_24adjacent_difference_implIS3_Lb1ELb0EPdN6thrust23THRUST_200600_302600_NS16discard_iteratorINSD_11use_defaultEEENSD_5minusIdEEEE10hipError_tPvRmT2_T3_mT4_P12ihipStream_tbEUlmE_dEESB_NS0_8identityIvEEEESJ_SM_SN_mSO_SQ_bEUlT_E_NS1_11comp_targetILNS1_3genE2ELNS1_11target_archE906ELNS1_3gpuE6ELNS1_3repE0EEENS1_30default_config_static_selectorELNS0_4arch9wavefront6targetE1EEEvT1_ ; -- Begin function _ZN7rocprim17ROCPRIM_400000_NS6detail17trampoline_kernelINS0_14default_configENS1_25transform_config_selectorIdLb0EEEZNS1_14transform_implILb0ES3_S5_NS0_18transform_iteratorINS0_17counting_iteratorImlEEZNS1_24adjacent_difference_implIS3_Lb1ELb0EPdN6thrust23THRUST_200600_302600_NS16discard_iteratorINSD_11use_defaultEEENSD_5minusIdEEEE10hipError_tPvRmT2_T3_mT4_P12ihipStream_tbEUlmE_dEESB_NS0_8identityIvEEEESJ_SM_SN_mSO_SQ_bEUlT_E_NS1_11comp_targetILNS1_3genE2ELNS1_11target_archE906ELNS1_3gpuE6ELNS1_3repE0EEENS1_30default_config_static_selectorELNS0_4arch9wavefront6targetE1EEEvT1_
	.globl	_ZN7rocprim17ROCPRIM_400000_NS6detail17trampoline_kernelINS0_14default_configENS1_25transform_config_selectorIdLb0EEEZNS1_14transform_implILb0ES3_S5_NS0_18transform_iteratorINS0_17counting_iteratorImlEEZNS1_24adjacent_difference_implIS3_Lb1ELb0EPdN6thrust23THRUST_200600_302600_NS16discard_iteratorINSD_11use_defaultEEENSD_5minusIdEEEE10hipError_tPvRmT2_T3_mT4_P12ihipStream_tbEUlmE_dEESB_NS0_8identityIvEEEESJ_SM_SN_mSO_SQ_bEUlT_E_NS1_11comp_targetILNS1_3genE2ELNS1_11target_archE906ELNS1_3gpuE6ELNS1_3repE0EEENS1_30default_config_static_selectorELNS0_4arch9wavefront6targetE1EEEvT1_
	.p2align	8
	.type	_ZN7rocprim17ROCPRIM_400000_NS6detail17trampoline_kernelINS0_14default_configENS1_25transform_config_selectorIdLb0EEEZNS1_14transform_implILb0ES3_S5_NS0_18transform_iteratorINS0_17counting_iteratorImlEEZNS1_24adjacent_difference_implIS3_Lb1ELb0EPdN6thrust23THRUST_200600_302600_NS16discard_iteratorINSD_11use_defaultEEENSD_5minusIdEEEE10hipError_tPvRmT2_T3_mT4_P12ihipStream_tbEUlmE_dEESB_NS0_8identityIvEEEESJ_SM_SN_mSO_SQ_bEUlT_E_NS1_11comp_targetILNS1_3genE2ELNS1_11target_archE906ELNS1_3gpuE6ELNS1_3repE0EEENS1_30default_config_static_selectorELNS0_4arch9wavefront6targetE1EEEvT1_,@function
_ZN7rocprim17ROCPRIM_400000_NS6detail17trampoline_kernelINS0_14default_configENS1_25transform_config_selectorIdLb0EEEZNS1_14transform_implILb0ES3_S5_NS0_18transform_iteratorINS0_17counting_iteratorImlEEZNS1_24adjacent_difference_implIS3_Lb1ELb0EPdN6thrust23THRUST_200600_302600_NS16discard_iteratorINSD_11use_defaultEEENSD_5minusIdEEEE10hipError_tPvRmT2_T3_mT4_P12ihipStream_tbEUlmE_dEESB_NS0_8identityIvEEEESJ_SM_SN_mSO_SQ_bEUlT_E_NS1_11comp_targetILNS1_3genE2ELNS1_11target_archE906ELNS1_3gpuE6ELNS1_3repE0EEENS1_30default_config_static_selectorELNS0_4arch9wavefront6targetE1EEEvT1_: ; @_ZN7rocprim17ROCPRIM_400000_NS6detail17trampoline_kernelINS0_14default_configENS1_25transform_config_selectorIdLb0EEEZNS1_14transform_implILb0ES3_S5_NS0_18transform_iteratorINS0_17counting_iteratorImlEEZNS1_24adjacent_difference_implIS3_Lb1ELb0EPdN6thrust23THRUST_200600_302600_NS16discard_iteratorINSD_11use_defaultEEENSD_5minusIdEEEE10hipError_tPvRmT2_T3_mT4_P12ihipStream_tbEUlmE_dEESB_NS0_8identityIvEEEESJ_SM_SN_mSO_SQ_bEUlT_E_NS1_11comp_targetILNS1_3genE2ELNS1_11target_archE906ELNS1_3gpuE6ELNS1_3repE0EEENS1_30default_config_static_selectorELNS0_4arch9wavefront6targetE1EEEvT1_
; %bb.0:
	.section	.rodata,"a",@progbits
	.p2align	6, 0x0
	.amdhsa_kernel _ZN7rocprim17ROCPRIM_400000_NS6detail17trampoline_kernelINS0_14default_configENS1_25transform_config_selectorIdLb0EEEZNS1_14transform_implILb0ES3_S5_NS0_18transform_iteratorINS0_17counting_iteratorImlEEZNS1_24adjacent_difference_implIS3_Lb1ELb0EPdN6thrust23THRUST_200600_302600_NS16discard_iteratorINSD_11use_defaultEEENSD_5minusIdEEEE10hipError_tPvRmT2_T3_mT4_P12ihipStream_tbEUlmE_dEESB_NS0_8identityIvEEEESJ_SM_SN_mSO_SQ_bEUlT_E_NS1_11comp_targetILNS1_3genE2ELNS1_11target_archE906ELNS1_3gpuE6ELNS1_3repE0EEENS1_30default_config_static_selectorELNS0_4arch9wavefront6targetE1EEEvT1_
		.amdhsa_group_segment_fixed_size 0
		.amdhsa_private_segment_fixed_size 0
		.amdhsa_kernarg_size 56
		.amdhsa_user_sgpr_count 2
		.amdhsa_user_sgpr_dispatch_ptr 0
		.amdhsa_user_sgpr_queue_ptr 0
		.amdhsa_user_sgpr_kernarg_segment_ptr 1
		.amdhsa_user_sgpr_dispatch_id 0
		.amdhsa_user_sgpr_kernarg_preload_length 0
		.amdhsa_user_sgpr_kernarg_preload_offset 0
		.amdhsa_user_sgpr_private_segment_size 0
		.amdhsa_uses_dynamic_stack 0
		.amdhsa_enable_private_segment 0
		.amdhsa_system_sgpr_workgroup_id_x 1
		.amdhsa_system_sgpr_workgroup_id_y 0
		.amdhsa_system_sgpr_workgroup_id_z 0
		.amdhsa_system_sgpr_workgroup_info 0
		.amdhsa_system_vgpr_workitem_id 0
		.amdhsa_next_free_vgpr 1
		.amdhsa_next_free_sgpr 0
		.amdhsa_accum_offset 4
		.amdhsa_reserve_vcc 0
		.amdhsa_float_round_mode_32 0
		.amdhsa_float_round_mode_16_64 0
		.amdhsa_float_denorm_mode_32 3
		.amdhsa_float_denorm_mode_16_64 3
		.amdhsa_dx10_clamp 1
		.amdhsa_ieee_mode 1
		.amdhsa_fp16_overflow 0
		.amdhsa_tg_split 0
		.amdhsa_exception_fp_ieee_invalid_op 0
		.amdhsa_exception_fp_denorm_src 0
		.amdhsa_exception_fp_ieee_div_zero 0
		.amdhsa_exception_fp_ieee_overflow 0
		.amdhsa_exception_fp_ieee_underflow 0
		.amdhsa_exception_fp_ieee_inexact 0
		.amdhsa_exception_int_div_zero 0
	.end_amdhsa_kernel
	.section	.text._ZN7rocprim17ROCPRIM_400000_NS6detail17trampoline_kernelINS0_14default_configENS1_25transform_config_selectorIdLb0EEEZNS1_14transform_implILb0ES3_S5_NS0_18transform_iteratorINS0_17counting_iteratorImlEEZNS1_24adjacent_difference_implIS3_Lb1ELb0EPdN6thrust23THRUST_200600_302600_NS16discard_iteratorINSD_11use_defaultEEENSD_5minusIdEEEE10hipError_tPvRmT2_T3_mT4_P12ihipStream_tbEUlmE_dEESB_NS0_8identityIvEEEESJ_SM_SN_mSO_SQ_bEUlT_E_NS1_11comp_targetILNS1_3genE2ELNS1_11target_archE906ELNS1_3gpuE6ELNS1_3repE0EEENS1_30default_config_static_selectorELNS0_4arch9wavefront6targetE1EEEvT1_,"axG",@progbits,_ZN7rocprim17ROCPRIM_400000_NS6detail17trampoline_kernelINS0_14default_configENS1_25transform_config_selectorIdLb0EEEZNS1_14transform_implILb0ES3_S5_NS0_18transform_iteratorINS0_17counting_iteratorImlEEZNS1_24adjacent_difference_implIS3_Lb1ELb0EPdN6thrust23THRUST_200600_302600_NS16discard_iteratorINSD_11use_defaultEEENSD_5minusIdEEEE10hipError_tPvRmT2_T3_mT4_P12ihipStream_tbEUlmE_dEESB_NS0_8identityIvEEEESJ_SM_SN_mSO_SQ_bEUlT_E_NS1_11comp_targetILNS1_3genE2ELNS1_11target_archE906ELNS1_3gpuE6ELNS1_3repE0EEENS1_30default_config_static_selectorELNS0_4arch9wavefront6targetE1EEEvT1_,comdat
.Lfunc_end789:
	.size	_ZN7rocprim17ROCPRIM_400000_NS6detail17trampoline_kernelINS0_14default_configENS1_25transform_config_selectorIdLb0EEEZNS1_14transform_implILb0ES3_S5_NS0_18transform_iteratorINS0_17counting_iteratorImlEEZNS1_24adjacent_difference_implIS3_Lb1ELb0EPdN6thrust23THRUST_200600_302600_NS16discard_iteratorINSD_11use_defaultEEENSD_5minusIdEEEE10hipError_tPvRmT2_T3_mT4_P12ihipStream_tbEUlmE_dEESB_NS0_8identityIvEEEESJ_SM_SN_mSO_SQ_bEUlT_E_NS1_11comp_targetILNS1_3genE2ELNS1_11target_archE906ELNS1_3gpuE6ELNS1_3repE0EEENS1_30default_config_static_selectorELNS0_4arch9wavefront6targetE1EEEvT1_, .Lfunc_end789-_ZN7rocprim17ROCPRIM_400000_NS6detail17trampoline_kernelINS0_14default_configENS1_25transform_config_selectorIdLb0EEEZNS1_14transform_implILb0ES3_S5_NS0_18transform_iteratorINS0_17counting_iteratorImlEEZNS1_24adjacent_difference_implIS3_Lb1ELb0EPdN6thrust23THRUST_200600_302600_NS16discard_iteratorINSD_11use_defaultEEENSD_5minusIdEEEE10hipError_tPvRmT2_T3_mT4_P12ihipStream_tbEUlmE_dEESB_NS0_8identityIvEEEESJ_SM_SN_mSO_SQ_bEUlT_E_NS1_11comp_targetILNS1_3genE2ELNS1_11target_archE906ELNS1_3gpuE6ELNS1_3repE0EEENS1_30default_config_static_selectorELNS0_4arch9wavefront6targetE1EEEvT1_
                                        ; -- End function
	.section	.AMDGPU.csdata,"",@progbits
; Kernel info:
; codeLenInByte = 0
; NumSgprs: 6
; NumVgprs: 0
; NumAgprs: 0
; TotalNumVgprs: 0
; ScratchSize: 0
; MemoryBound: 0
; FloatMode: 240
; IeeeMode: 1
; LDSByteSize: 0 bytes/workgroup (compile time only)
; SGPRBlocks: 0
; VGPRBlocks: 0
; NumSGPRsForWavesPerEU: 6
; NumVGPRsForWavesPerEU: 1
; AccumOffset: 4
; Occupancy: 8
; WaveLimiterHint : 0
; COMPUTE_PGM_RSRC2:SCRATCH_EN: 0
; COMPUTE_PGM_RSRC2:USER_SGPR: 2
; COMPUTE_PGM_RSRC2:TRAP_HANDLER: 0
; COMPUTE_PGM_RSRC2:TGID_X_EN: 1
; COMPUTE_PGM_RSRC2:TGID_Y_EN: 0
; COMPUTE_PGM_RSRC2:TGID_Z_EN: 0
; COMPUTE_PGM_RSRC2:TIDIG_COMP_CNT: 0
; COMPUTE_PGM_RSRC3_GFX90A:ACCUM_OFFSET: 0
; COMPUTE_PGM_RSRC3_GFX90A:TG_SPLIT: 0
	.section	.text._ZN7rocprim17ROCPRIM_400000_NS6detail17trampoline_kernelINS0_14default_configENS1_25transform_config_selectorIdLb0EEEZNS1_14transform_implILb0ES3_S5_NS0_18transform_iteratorINS0_17counting_iteratorImlEEZNS1_24adjacent_difference_implIS3_Lb1ELb0EPdN6thrust23THRUST_200600_302600_NS16discard_iteratorINSD_11use_defaultEEENSD_5minusIdEEEE10hipError_tPvRmT2_T3_mT4_P12ihipStream_tbEUlmE_dEESB_NS0_8identityIvEEEESJ_SM_SN_mSO_SQ_bEUlT_E_NS1_11comp_targetILNS1_3genE10ELNS1_11target_archE1201ELNS1_3gpuE5ELNS1_3repE0EEENS1_30default_config_static_selectorELNS0_4arch9wavefront6targetE1EEEvT1_,"axG",@progbits,_ZN7rocprim17ROCPRIM_400000_NS6detail17trampoline_kernelINS0_14default_configENS1_25transform_config_selectorIdLb0EEEZNS1_14transform_implILb0ES3_S5_NS0_18transform_iteratorINS0_17counting_iteratorImlEEZNS1_24adjacent_difference_implIS3_Lb1ELb0EPdN6thrust23THRUST_200600_302600_NS16discard_iteratorINSD_11use_defaultEEENSD_5minusIdEEEE10hipError_tPvRmT2_T3_mT4_P12ihipStream_tbEUlmE_dEESB_NS0_8identityIvEEEESJ_SM_SN_mSO_SQ_bEUlT_E_NS1_11comp_targetILNS1_3genE10ELNS1_11target_archE1201ELNS1_3gpuE5ELNS1_3repE0EEENS1_30default_config_static_selectorELNS0_4arch9wavefront6targetE1EEEvT1_,comdat
	.protected	_ZN7rocprim17ROCPRIM_400000_NS6detail17trampoline_kernelINS0_14default_configENS1_25transform_config_selectorIdLb0EEEZNS1_14transform_implILb0ES3_S5_NS0_18transform_iteratorINS0_17counting_iteratorImlEEZNS1_24adjacent_difference_implIS3_Lb1ELb0EPdN6thrust23THRUST_200600_302600_NS16discard_iteratorINSD_11use_defaultEEENSD_5minusIdEEEE10hipError_tPvRmT2_T3_mT4_P12ihipStream_tbEUlmE_dEESB_NS0_8identityIvEEEESJ_SM_SN_mSO_SQ_bEUlT_E_NS1_11comp_targetILNS1_3genE10ELNS1_11target_archE1201ELNS1_3gpuE5ELNS1_3repE0EEENS1_30default_config_static_selectorELNS0_4arch9wavefront6targetE1EEEvT1_ ; -- Begin function _ZN7rocprim17ROCPRIM_400000_NS6detail17trampoline_kernelINS0_14default_configENS1_25transform_config_selectorIdLb0EEEZNS1_14transform_implILb0ES3_S5_NS0_18transform_iteratorINS0_17counting_iteratorImlEEZNS1_24adjacent_difference_implIS3_Lb1ELb0EPdN6thrust23THRUST_200600_302600_NS16discard_iteratorINSD_11use_defaultEEENSD_5minusIdEEEE10hipError_tPvRmT2_T3_mT4_P12ihipStream_tbEUlmE_dEESB_NS0_8identityIvEEEESJ_SM_SN_mSO_SQ_bEUlT_E_NS1_11comp_targetILNS1_3genE10ELNS1_11target_archE1201ELNS1_3gpuE5ELNS1_3repE0EEENS1_30default_config_static_selectorELNS0_4arch9wavefront6targetE1EEEvT1_
	.globl	_ZN7rocprim17ROCPRIM_400000_NS6detail17trampoline_kernelINS0_14default_configENS1_25transform_config_selectorIdLb0EEEZNS1_14transform_implILb0ES3_S5_NS0_18transform_iteratorINS0_17counting_iteratorImlEEZNS1_24adjacent_difference_implIS3_Lb1ELb0EPdN6thrust23THRUST_200600_302600_NS16discard_iteratorINSD_11use_defaultEEENSD_5minusIdEEEE10hipError_tPvRmT2_T3_mT4_P12ihipStream_tbEUlmE_dEESB_NS0_8identityIvEEEESJ_SM_SN_mSO_SQ_bEUlT_E_NS1_11comp_targetILNS1_3genE10ELNS1_11target_archE1201ELNS1_3gpuE5ELNS1_3repE0EEENS1_30default_config_static_selectorELNS0_4arch9wavefront6targetE1EEEvT1_
	.p2align	8
	.type	_ZN7rocprim17ROCPRIM_400000_NS6detail17trampoline_kernelINS0_14default_configENS1_25transform_config_selectorIdLb0EEEZNS1_14transform_implILb0ES3_S5_NS0_18transform_iteratorINS0_17counting_iteratorImlEEZNS1_24adjacent_difference_implIS3_Lb1ELb0EPdN6thrust23THRUST_200600_302600_NS16discard_iteratorINSD_11use_defaultEEENSD_5minusIdEEEE10hipError_tPvRmT2_T3_mT4_P12ihipStream_tbEUlmE_dEESB_NS0_8identityIvEEEESJ_SM_SN_mSO_SQ_bEUlT_E_NS1_11comp_targetILNS1_3genE10ELNS1_11target_archE1201ELNS1_3gpuE5ELNS1_3repE0EEENS1_30default_config_static_selectorELNS0_4arch9wavefront6targetE1EEEvT1_,@function
_ZN7rocprim17ROCPRIM_400000_NS6detail17trampoline_kernelINS0_14default_configENS1_25transform_config_selectorIdLb0EEEZNS1_14transform_implILb0ES3_S5_NS0_18transform_iteratorINS0_17counting_iteratorImlEEZNS1_24adjacent_difference_implIS3_Lb1ELb0EPdN6thrust23THRUST_200600_302600_NS16discard_iteratorINSD_11use_defaultEEENSD_5minusIdEEEE10hipError_tPvRmT2_T3_mT4_P12ihipStream_tbEUlmE_dEESB_NS0_8identityIvEEEESJ_SM_SN_mSO_SQ_bEUlT_E_NS1_11comp_targetILNS1_3genE10ELNS1_11target_archE1201ELNS1_3gpuE5ELNS1_3repE0EEENS1_30default_config_static_selectorELNS0_4arch9wavefront6targetE1EEEvT1_: ; @_ZN7rocprim17ROCPRIM_400000_NS6detail17trampoline_kernelINS0_14default_configENS1_25transform_config_selectorIdLb0EEEZNS1_14transform_implILb0ES3_S5_NS0_18transform_iteratorINS0_17counting_iteratorImlEEZNS1_24adjacent_difference_implIS3_Lb1ELb0EPdN6thrust23THRUST_200600_302600_NS16discard_iteratorINSD_11use_defaultEEENSD_5minusIdEEEE10hipError_tPvRmT2_T3_mT4_P12ihipStream_tbEUlmE_dEESB_NS0_8identityIvEEEESJ_SM_SN_mSO_SQ_bEUlT_E_NS1_11comp_targetILNS1_3genE10ELNS1_11target_archE1201ELNS1_3gpuE5ELNS1_3repE0EEENS1_30default_config_static_selectorELNS0_4arch9wavefront6targetE1EEEvT1_
; %bb.0:
	.section	.rodata,"a",@progbits
	.p2align	6, 0x0
	.amdhsa_kernel _ZN7rocprim17ROCPRIM_400000_NS6detail17trampoline_kernelINS0_14default_configENS1_25transform_config_selectorIdLb0EEEZNS1_14transform_implILb0ES3_S5_NS0_18transform_iteratorINS0_17counting_iteratorImlEEZNS1_24adjacent_difference_implIS3_Lb1ELb0EPdN6thrust23THRUST_200600_302600_NS16discard_iteratorINSD_11use_defaultEEENSD_5minusIdEEEE10hipError_tPvRmT2_T3_mT4_P12ihipStream_tbEUlmE_dEESB_NS0_8identityIvEEEESJ_SM_SN_mSO_SQ_bEUlT_E_NS1_11comp_targetILNS1_3genE10ELNS1_11target_archE1201ELNS1_3gpuE5ELNS1_3repE0EEENS1_30default_config_static_selectorELNS0_4arch9wavefront6targetE1EEEvT1_
		.amdhsa_group_segment_fixed_size 0
		.amdhsa_private_segment_fixed_size 0
		.amdhsa_kernarg_size 56
		.amdhsa_user_sgpr_count 2
		.amdhsa_user_sgpr_dispatch_ptr 0
		.amdhsa_user_sgpr_queue_ptr 0
		.amdhsa_user_sgpr_kernarg_segment_ptr 1
		.amdhsa_user_sgpr_dispatch_id 0
		.amdhsa_user_sgpr_kernarg_preload_length 0
		.amdhsa_user_sgpr_kernarg_preload_offset 0
		.amdhsa_user_sgpr_private_segment_size 0
		.amdhsa_uses_dynamic_stack 0
		.amdhsa_enable_private_segment 0
		.amdhsa_system_sgpr_workgroup_id_x 1
		.amdhsa_system_sgpr_workgroup_id_y 0
		.amdhsa_system_sgpr_workgroup_id_z 0
		.amdhsa_system_sgpr_workgroup_info 0
		.amdhsa_system_vgpr_workitem_id 0
		.amdhsa_next_free_vgpr 1
		.amdhsa_next_free_sgpr 0
		.amdhsa_accum_offset 4
		.amdhsa_reserve_vcc 0
		.amdhsa_float_round_mode_32 0
		.amdhsa_float_round_mode_16_64 0
		.amdhsa_float_denorm_mode_32 3
		.amdhsa_float_denorm_mode_16_64 3
		.amdhsa_dx10_clamp 1
		.amdhsa_ieee_mode 1
		.amdhsa_fp16_overflow 0
		.amdhsa_tg_split 0
		.amdhsa_exception_fp_ieee_invalid_op 0
		.amdhsa_exception_fp_denorm_src 0
		.amdhsa_exception_fp_ieee_div_zero 0
		.amdhsa_exception_fp_ieee_overflow 0
		.amdhsa_exception_fp_ieee_underflow 0
		.amdhsa_exception_fp_ieee_inexact 0
		.amdhsa_exception_int_div_zero 0
	.end_amdhsa_kernel
	.section	.text._ZN7rocprim17ROCPRIM_400000_NS6detail17trampoline_kernelINS0_14default_configENS1_25transform_config_selectorIdLb0EEEZNS1_14transform_implILb0ES3_S5_NS0_18transform_iteratorINS0_17counting_iteratorImlEEZNS1_24adjacent_difference_implIS3_Lb1ELb0EPdN6thrust23THRUST_200600_302600_NS16discard_iteratorINSD_11use_defaultEEENSD_5minusIdEEEE10hipError_tPvRmT2_T3_mT4_P12ihipStream_tbEUlmE_dEESB_NS0_8identityIvEEEESJ_SM_SN_mSO_SQ_bEUlT_E_NS1_11comp_targetILNS1_3genE10ELNS1_11target_archE1201ELNS1_3gpuE5ELNS1_3repE0EEENS1_30default_config_static_selectorELNS0_4arch9wavefront6targetE1EEEvT1_,"axG",@progbits,_ZN7rocprim17ROCPRIM_400000_NS6detail17trampoline_kernelINS0_14default_configENS1_25transform_config_selectorIdLb0EEEZNS1_14transform_implILb0ES3_S5_NS0_18transform_iteratorINS0_17counting_iteratorImlEEZNS1_24adjacent_difference_implIS3_Lb1ELb0EPdN6thrust23THRUST_200600_302600_NS16discard_iteratorINSD_11use_defaultEEENSD_5minusIdEEEE10hipError_tPvRmT2_T3_mT4_P12ihipStream_tbEUlmE_dEESB_NS0_8identityIvEEEESJ_SM_SN_mSO_SQ_bEUlT_E_NS1_11comp_targetILNS1_3genE10ELNS1_11target_archE1201ELNS1_3gpuE5ELNS1_3repE0EEENS1_30default_config_static_selectorELNS0_4arch9wavefront6targetE1EEEvT1_,comdat
.Lfunc_end790:
	.size	_ZN7rocprim17ROCPRIM_400000_NS6detail17trampoline_kernelINS0_14default_configENS1_25transform_config_selectorIdLb0EEEZNS1_14transform_implILb0ES3_S5_NS0_18transform_iteratorINS0_17counting_iteratorImlEEZNS1_24adjacent_difference_implIS3_Lb1ELb0EPdN6thrust23THRUST_200600_302600_NS16discard_iteratorINSD_11use_defaultEEENSD_5minusIdEEEE10hipError_tPvRmT2_T3_mT4_P12ihipStream_tbEUlmE_dEESB_NS0_8identityIvEEEESJ_SM_SN_mSO_SQ_bEUlT_E_NS1_11comp_targetILNS1_3genE10ELNS1_11target_archE1201ELNS1_3gpuE5ELNS1_3repE0EEENS1_30default_config_static_selectorELNS0_4arch9wavefront6targetE1EEEvT1_, .Lfunc_end790-_ZN7rocprim17ROCPRIM_400000_NS6detail17trampoline_kernelINS0_14default_configENS1_25transform_config_selectorIdLb0EEEZNS1_14transform_implILb0ES3_S5_NS0_18transform_iteratorINS0_17counting_iteratorImlEEZNS1_24adjacent_difference_implIS3_Lb1ELb0EPdN6thrust23THRUST_200600_302600_NS16discard_iteratorINSD_11use_defaultEEENSD_5minusIdEEEE10hipError_tPvRmT2_T3_mT4_P12ihipStream_tbEUlmE_dEESB_NS0_8identityIvEEEESJ_SM_SN_mSO_SQ_bEUlT_E_NS1_11comp_targetILNS1_3genE10ELNS1_11target_archE1201ELNS1_3gpuE5ELNS1_3repE0EEENS1_30default_config_static_selectorELNS0_4arch9wavefront6targetE1EEEvT1_
                                        ; -- End function
	.section	.AMDGPU.csdata,"",@progbits
; Kernel info:
; codeLenInByte = 0
; NumSgprs: 6
; NumVgprs: 0
; NumAgprs: 0
; TotalNumVgprs: 0
; ScratchSize: 0
; MemoryBound: 0
; FloatMode: 240
; IeeeMode: 1
; LDSByteSize: 0 bytes/workgroup (compile time only)
; SGPRBlocks: 0
; VGPRBlocks: 0
; NumSGPRsForWavesPerEU: 6
; NumVGPRsForWavesPerEU: 1
; AccumOffset: 4
; Occupancy: 8
; WaveLimiterHint : 0
; COMPUTE_PGM_RSRC2:SCRATCH_EN: 0
; COMPUTE_PGM_RSRC2:USER_SGPR: 2
; COMPUTE_PGM_RSRC2:TRAP_HANDLER: 0
; COMPUTE_PGM_RSRC2:TGID_X_EN: 1
; COMPUTE_PGM_RSRC2:TGID_Y_EN: 0
; COMPUTE_PGM_RSRC2:TGID_Z_EN: 0
; COMPUTE_PGM_RSRC2:TIDIG_COMP_CNT: 0
; COMPUTE_PGM_RSRC3_GFX90A:ACCUM_OFFSET: 0
; COMPUTE_PGM_RSRC3_GFX90A:TG_SPLIT: 0
	.section	.text._ZN7rocprim17ROCPRIM_400000_NS6detail17trampoline_kernelINS0_14default_configENS1_25transform_config_selectorIdLb0EEEZNS1_14transform_implILb0ES3_S5_NS0_18transform_iteratorINS0_17counting_iteratorImlEEZNS1_24adjacent_difference_implIS3_Lb1ELb0EPdN6thrust23THRUST_200600_302600_NS16discard_iteratorINSD_11use_defaultEEENSD_5minusIdEEEE10hipError_tPvRmT2_T3_mT4_P12ihipStream_tbEUlmE_dEESB_NS0_8identityIvEEEESJ_SM_SN_mSO_SQ_bEUlT_E_NS1_11comp_targetILNS1_3genE10ELNS1_11target_archE1200ELNS1_3gpuE4ELNS1_3repE0EEENS1_30default_config_static_selectorELNS0_4arch9wavefront6targetE1EEEvT1_,"axG",@progbits,_ZN7rocprim17ROCPRIM_400000_NS6detail17trampoline_kernelINS0_14default_configENS1_25transform_config_selectorIdLb0EEEZNS1_14transform_implILb0ES3_S5_NS0_18transform_iteratorINS0_17counting_iteratorImlEEZNS1_24adjacent_difference_implIS3_Lb1ELb0EPdN6thrust23THRUST_200600_302600_NS16discard_iteratorINSD_11use_defaultEEENSD_5minusIdEEEE10hipError_tPvRmT2_T3_mT4_P12ihipStream_tbEUlmE_dEESB_NS0_8identityIvEEEESJ_SM_SN_mSO_SQ_bEUlT_E_NS1_11comp_targetILNS1_3genE10ELNS1_11target_archE1200ELNS1_3gpuE4ELNS1_3repE0EEENS1_30default_config_static_selectorELNS0_4arch9wavefront6targetE1EEEvT1_,comdat
	.protected	_ZN7rocprim17ROCPRIM_400000_NS6detail17trampoline_kernelINS0_14default_configENS1_25transform_config_selectorIdLb0EEEZNS1_14transform_implILb0ES3_S5_NS0_18transform_iteratorINS0_17counting_iteratorImlEEZNS1_24adjacent_difference_implIS3_Lb1ELb0EPdN6thrust23THRUST_200600_302600_NS16discard_iteratorINSD_11use_defaultEEENSD_5minusIdEEEE10hipError_tPvRmT2_T3_mT4_P12ihipStream_tbEUlmE_dEESB_NS0_8identityIvEEEESJ_SM_SN_mSO_SQ_bEUlT_E_NS1_11comp_targetILNS1_3genE10ELNS1_11target_archE1200ELNS1_3gpuE4ELNS1_3repE0EEENS1_30default_config_static_selectorELNS0_4arch9wavefront6targetE1EEEvT1_ ; -- Begin function _ZN7rocprim17ROCPRIM_400000_NS6detail17trampoline_kernelINS0_14default_configENS1_25transform_config_selectorIdLb0EEEZNS1_14transform_implILb0ES3_S5_NS0_18transform_iteratorINS0_17counting_iteratorImlEEZNS1_24adjacent_difference_implIS3_Lb1ELb0EPdN6thrust23THRUST_200600_302600_NS16discard_iteratorINSD_11use_defaultEEENSD_5minusIdEEEE10hipError_tPvRmT2_T3_mT4_P12ihipStream_tbEUlmE_dEESB_NS0_8identityIvEEEESJ_SM_SN_mSO_SQ_bEUlT_E_NS1_11comp_targetILNS1_3genE10ELNS1_11target_archE1200ELNS1_3gpuE4ELNS1_3repE0EEENS1_30default_config_static_selectorELNS0_4arch9wavefront6targetE1EEEvT1_
	.globl	_ZN7rocprim17ROCPRIM_400000_NS6detail17trampoline_kernelINS0_14default_configENS1_25transform_config_selectorIdLb0EEEZNS1_14transform_implILb0ES3_S5_NS0_18transform_iteratorINS0_17counting_iteratorImlEEZNS1_24adjacent_difference_implIS3_Lb1ELb0EPdN6thrust23THRUST_200600_302600_NS16discard_iteratorINSD_11use_defaultEEENSD_5minusIdEEEE10hipError_tPvRmT2_T3_mT4_P12ihipStream_tbEUlmE_dEESB_NS0_8identityIvEEEESJ_SM_SN_mSO_SQ_bEUlT_E_NS1_11comp_targetILNS1_3genE10ELNS1_11target_archE1200ELNS1_3gpuE4ELNS1_3repE0EEENS1_30default_config_static_selectorELNS0_4arch9wavefront6targetE1EEEvT1_
	.p2align	8
	.type	_ZN7rocprim17ROCPRIM_400000_NS6detail17trampoline_kernelINS0_14default_configENS1_25transform_config_selectorIdLb0EEEZNS1_14transform_implILb0ES3_S5_NS0_18transform_iteratorINS0_17counting_iteratorImlEEZNS1_24adjacent_difference_implIS3_Lb1ELb0EPdN6thrust23THRUST_200600_302600_NS16discard_iteratorINSD_11use_defaultEEENSD_5minusIdEEEE10hipError_tPvRmT2_T3_mT4_P12ihipStream_tbEUlmE_dEESB_NS0_8identityIvEEEESJ_SM_SN_mSO_SQ_bEUlT_E_NS1_11comp_targetILNS1_3genE10ELNS1_11target_archE1200ELNS1_3gpuE4ELNS1_3repE0EEENS1_30default_config_static_selectorELNS0_4arch9wavefront6targetE1EEEvT1_,@function
_ZN7rocprim17ROCPRIM_400000_NS6detail17trampoline_kernelINS0_14default_configENS1_25transform_config_selectorIdLb0EEEZNS1_14transform_implILb0ES3_S5_NS0_18transform_iteratorINS0_17counting_iteratorImlEEZNS1_24adjacent_difference_implIS3_Lb1ELb0EPdN6thrust23THRUST_200600_302600_NS16discard_iteratorINSD_11use_defaultEEENSD_5minusIdEEEE10hipError_tPvRmT2_T3_mT4_P12ihipStream_tbEUlmE_dEESB_NS0_8identityIvEEEESJ_SM_SN_mSO_SQ_bEUlT_E_NS1_11comp_targetILNS1_3genE10ELNS1_11target_archE1200ELNS1_3gpuE4ELNS1_3repE0EEENS1_30default_config_static_selectorELNS0_4arch9wavefront6targetE1EEEvT1_: ; @_ZN7rocprim17ROCPRIM_400000_NS6detail17trampoline_kernelINS0_14default_configENS1_25transform_config_selectorIdLb0EEEZNS1_14transform_implILb0ES3_S5_NS0_18transform_iteratorINS0_17counting_iteratorImlEEZNS1_24adjacent_difference_implIS3_Lb1ELb0EPdN6thrust23THRUST_200600_302600_NS16discard_iteratorINSD_11use_defaultEEENSD_5minusIdEEEE10hipError_tPvRmT2_T3_mT4_P12ihipStream_tbEUlmE_dEESB_NS0_8identityIvEEEESJ_SM_SN_mSO_SQ_bEUlT_E_NS1_11comp_targetILNS1_3genE10ELNS1_11target_archE1200ELNS1_3gpuE4ELNS1_3repE0EEENS1_30default_config_static_selectorELNS0_4arch9wavefront6targetE1EEEvT1_
; %bb.0:
	.section	.rodata,"a",@progbits
	.p2align	6, 0x0
	.amdhsa_kernel _ZN7rocprim17ROCPRIM_400000_NS6detail17trampoline_kernelINS0_14default_configENS1_25transform_config_selectorIdLb0EEEZNS1_14transform_implILb0ES3_S5_NS0_18transform_iteratorINS0_17counting_iteratorImlEEZNS1_24adjacent_difference_implIS3_Lb1ELb0EPdN6thrust23THRUST_200600_302600_NS16discard_iteratorINSD_11use_defaultEEENSD_5minusIdEEEE10hipError_tPvRmT2_T3_mT4_P12ihipStream_tbEUlmE_dEESB_NS0_8identityIvEEEESJ_SM_SN_mSO_SQ_bEUlT_E_NS1_11comp_targetILNS1_3genE10ELNS1_11target_archE1200ELNS1_3gpuE4ELNS1_3repE0EEENS1_30default_config_static_selectorELNS0_4arch9wavefront6targetE1EEEvT1_
		.amdhsa_group_segment_fixed_size 0
		.amdhsa_private_segment_fixed_size 0
		.amdhsa_kernarg_size 56
		.amdhsa_user_sgpr_count 2
		.amdhsa_user_sgpr_dispatch_ptr 0
		.amdhsa_user_sgpr_queue_ptr 0
		.amdhsa_user_sgpr_kernarg_segment_ptr 1
		.amdhsa_user_sgpr_dispatch_id 0
		.amdhsa_user_sgpr_kernarg_preload_length 0
		.amdhsa_user_sgpr_kernarg_preload_offset 0
		.amdhsa_user_sgpr_private_segment_size 0
		.amdhsa_uses_dynamic_stack 0
		.amdhsa_enable_private_segment 0
		.amdhsa_system_sgpr_workgroup_id_x 1
		.amdhsa_system_sgpr_workgroup_id_y 0
		.amdhsa_system_sgpr_workgroup_id_z 0
		.amdhsa_system_sgpr_workgroup_info 0
		.amdhsa_system_vgpr_workitem_id 0
		.amdhsa_next_free_vgpr 1
		.amdhsa_next_free_sgpr 0
		.amdhsa_accum_offset 4
		.amdhsa_reserve_vcc 0
		.amdhsa_float_round_mode_32 0
		.amdhsa_float_round_mode_16_64 0
		.amdhsa_float_denorm_mode_32 3
		.amdhsa_float_denorm_mode_16_64 3
		.amdhsa_dx10_clamp 1
		.amdhsa_ieee_mode 1
		.amdhsa_fp16_overflow 0
		.amdhsa_tg_split 0
		.amdhsa_exception_fp_ieee_invalid_op 0
		.amdhsa_exception_fp_denorm_src 0
		.amdhsa_exception_fp_ieee_div_zero 0
		.amdhsa_exception_fp_ieee_overflow 0
		.amdhsa_exception_fp_ieee_underflow 0
		.amdhsa_exception_fp_ieee_inexact 0
		.amdhsa_exception_int_div_zero 0
	.end_amdhsa_kernel
	.section	.text._ZN7rocprim17ROCPRIM_400000_NS6detail17trampoline_kernelINS0_14default_configENS1_25transform_config_selectorIdLb0EEEZNS1_14transform_implILb0ES3_S5_NS0_18transform_iteratorINS0_17counting_iteratorImlEEZNS1_24adjacent_difference_implIS3_Lb1ELb0EPdN6thrust23THRUST_200600_302600_NS16discard_iteratorINSD_11use_defaultEEENSD_5minusIdEEEE10hipError_tPvRmT2_T3_mT4_P12ihipStream_tbEUlmE_dEESB_NS0_8identityIvEEEESJ_SM_SN_mSO_SQ_bEUlT_E_NS1_11comp_targetILNS1_3genE10ELNS1_11target_archE1200ELNS1_3gpuE4ELNS1_3repE0EEENS1_30default_config_static_selectorELNS0_4arch9wavefront6targetE1EEEvT1_,"axG",@progbits,_ZN7rocprim17ROCPRIM_400000_NS6detail17trampoline_kernelINS0_14default_configENS1_25transform_config_selectorIdLb0EEEZNS1_14transform_implILb0ES3_S5_NS0_18transform_iteratorINS0_17counting_iteratorImlEEZNS1_24adjacent_difference_implIS3_Lb1ELb0EPdN6thrust23THRUST_200600_302600_NS16discard_iteratorINSD_11use_defaultEEENSD_5minusIdEEEE10hipError_tPvRmT2_T3_mT4_P12ihipStream_tbEUlmE_dEESB_NS0_8identityIvEEEESJ_SM_SN_mSO_SQ_bEUlT_E_NS1_11comp_targetILNS1_3genE10ELNS1_11target_archE1200ELNS1_3gpuE4ELNS1_3repE0EEENS1_30default_config_static_selectorELNS0_4arch9wavefront6targetE1EEEvT1_,comdat
.Lfunc_end791:
	.size	_ZN7rocprim17ROCPRIM_400000_NS6detail17trampoline_kernelINS0_14default_configENS1_25transform_config_selectorIdLb0EEEZNS1_14transform_implILb0ES3_S5_NS0_18transform_iteratorINS0_17counting_iteratorImlEEZNS1_24adjacent_difference_implIS3_Lb1ELb0EPdN6thrust23THRUST_200600_302600_NS16discard_iteratorINSD_11use_defaultEEENSD_5minusIdEEEE10hipError_tPvRmT2_T3_mT4_P12ihipStream_tbEUlmE_dEESB_NS0_8identityIvEEEESJ_SM_SN_mSO_SQ_bEUlT_E_NS1_11comp_targetILNS1_3genE10ELNS1_11target_archE1200ELNS1_3gpuE4ELNS1_3repE0EEENS1_30default_config_static_selectorELNS0_4arch9wavefront6targetE1EEEvT1_, .Lfunc_end791-_ZN7rocprim17ROCPRIM_400000_NS6detail17trampoline_kernelINS0_14default_configENS1_25transform_config_selectorIdLb0EEEZNS1_14transform_implILb0ES3_S5_NS0_18transform_iteratorINS0_17counting_iteratorImlEEZNS1_24adjacent_difference_implIS3_Lb1ELb0EPdN6thrust23THRUST_200600_302600_NS16discard_iteratorINSD_11use_defaultEEENSD_5minusIdEEEE10hipError_tPvRmT2_T3_mT4_P12ihipStream_tbEUlmE_dEESB_NS0_8identityIvEEEESJ_SM_SN_mSO_SQ_bEUlT_E_NS1_11comp_targetILNS1_3genE10ELNS1_11target_archE1200ELNS1_3gpuE4ELNS1_3repE0EEENS1_30default_config_static_selectorELNS0_4arch9wavefront6targetE1EEEvT1_
                                        ; -- End function
	.section	.AMDGPU.csdata,"",@progbits
; Kernel info:
; codeLenInByte = 0
; NumSgprs: 6
; NumVgprs: 0
; NumAgprs: 0
; TotalNumVgprs: 0
; ScratchSize: 0
; MemoryBound: 0
; FloatMode: 240
; IeeeMode: 1
; LDSByteSize: 0 bytes/workgroup (compile time only)
; SGPRBlocks: 0
; VGPRBlocks: 0
; NumSGPRsForWavesPerEU: 6
; NumVGPRsForWavesPerEU: 1
; AccumOffset: 4
; Occupancy: 8
; WaveLimiterHint : 0
; COMPUTE_PGM_RSRC2:SCRATCH_EN: 0
; COMPUTE_PGM_RSRC2:USER_SGPR: 2
; COMPUTE_PGM_RSRC2:TRAP_HANDLER: 0
; COMPUTE_PGM_RSRC2:TGID_X_EN: 1
; COMPUTE_PGM_RSRC2:TGID_Y_EN: 0
; COMPUTE_PGM_RSRC2:TGID_Z_EN: 0
; COMPUTE_PGM_RSRC2:TIDIG_COMP_CNT: 0
; COMPUTE_PGM_RSRC3_GFX90A:ACCUM_OFFSET: 0
; COMPUTE_PGM_RSRC3_GFX90A:TG_SPLIT: 0
	.section	.text._ZN7rocprim17ROCPRIM_400000_NS6detail17trampoline_kernelINS0_14default_configENS1_25transform_config_selectorIdLb0EEEZNS1_14transform_implILb0ES3_S5_NS0_18transform_iteratorINS0_17counting_iteratorImlEEZNS1_24adjacent_difference_implIS3_Lb1ELb0EPdN6thrust23THRUST_200600_302600_NS16discard_iteratorINSD_11use_defaultEEENSD_5minusIdEEEE10hipError_tPvRmT2_T3_mT4_P12ihipStream_tbEUlmE_dEESB_NS0_8identityIvEEEESJ_SM_SN_mSO_SQ_bEUlT_E_NS1_11comp_targetILNS1_3genE9ELNS1_11target_archE1100ELNS1_3gpuE3ELNS1_3repE0EEENS1_30default_config_static_selectorELNS0_4arch9wavefront6targetE1EEEvT1_,"axG",@progbits,_ZN7rocprim17ROCPRIM_400000_NS6detail17trampoline_kernelINS0_14default_configENS1_25transform_config_selectorIdLb0EEEZNS1_14transform_implILb0ES3_S5_NS0_18transform_iteratorINS0_17counting_iteratorImlEEZNS1_24adjacent_difference_implIS3_Lb1ELb0EPdN6thrust23THRUST_200600_302600_NS16discard_iteratorINSD_11use_defaultEEENSD_5minusIdEEEE10hipError_tPvRmT2_T3_mT4_P12ihipStream_tbEUlmE_dEESB_NS0_8identityIvEEEESJ_SM_SN_mSO_SQ_bEUlT_E_NS1_11comp_targetILNS1_3genE9ELNS1_11target_archE1100ELNS1_3gpuE3ELNS1_3repE0EEENS1_30default_config_static_selectorELNS0_4arch9wavefront6targetE1EEEvT1_,comdat
	.protected	_ZN7rocprim17ROCPRIM_400000_NS6detail17trampoline_kernelINS0_14default_configENS1_25transform_config_selectorIdLb0EEEZNS1_14transform_implILb0ES3_S5_NS0_18transform_iteratorINS0_17counting_iteratorImlEEZNS1_24adjacent_difference_implIS3_Lb1ELb0EPdN6thrust23THRUST_200600_302600_NS16discard_iteratorINSD_11use_defaultEEENSD_5minusIdEEEE10hipError_tPvRmT2_T3_mT4_P12ihipStream_tbEUlmE_dEESB_NS0_8identityIvEEEESJ_SM_SN_mSO_SQ_bEUlT_E_NS1_11comp_targetILNS1_3genE9ELNS1_11target_archE1100ELNS1_3gpuE3ELNS1_3repE0EEENS1_30default_config_static_selectorELNS0_4arch9wavefront6targetE1EEEvT1_ ; -- Begin function _ZN7rocprim17ROCPRIM_400000_NS6detail17trampoline_kernelINS0_14default_configENS1_25transform_config_selectorIdLb0EEEZNS1_14transform_implILb0ES3_S5_NS0_18transform_iteratorINS0_17counting_iteratorImlEEZNS1_24adjacent_difference_implIS3_Lb1ELb0EPdN6thrust23THRUST_200600_302600_NS16discard_iteratorINSD_11use_defaultEEENSD_5minusIdEEEE10hipError_tPvRmT2_T3_mT4_P12ihipStream_tbEUlmE_dEESB_NS0_8identityIvEEEESJ_SM_SN_mSO_SQ_bEUlT_E_NS1_11comp_targetILNS1_3genE9ELNS1_11target_archE1100ELNS1_3gpuE3ELNS1_3repE0EEENS1_30default_config_static_selectorELNS0_4arch9wavefront6targetE1EEEvT1_
	.globl	_ZN7rocprim17ROCPRIM_400000_NS6detail17trampoline_kernelINS0_14default_configENS1_25transform_config_selectorIdLb0EEEZNS1_14transform_implILb0ES3_S5_NS0_18transform_iteratorINS0_17counting_iteratorImlEEZNS1_24adjacent_difference_implIS3_Lb1ELb0EPdN6thrust23THRUST_200600_302600_NS16discard_iteratorINSD_11use_defaultEEENSD_5minusIdEEEE10hipError_tPvRmT2_T3_mT4_P12ihipStream_tbEUlmE_dEESB_NS0_8identityIvEEEESJ_SM_SN_mSO_SQ_bEUlT_E_NS1_11comp_targetILNS1_3genE9ELNS1_11target_archE1100ELNS1_3gpuE3ELNS1_3repE0EEENS1_30default_config_static_selectorELNS0_4arch9wavefront6targetE1EEEvT1_
	.p2align	8
	.type	_ZN7rocprim17ROCPRIM_400000_NS6detail17trampoline_kernelINS0_14default_configENS1_25transform_config_selectorIdLb0EEEZNS1_14transform_implILb0ES3_S5_NS0_18transform_iteratorINS0_17counting_iteratorImlEEZNS1_24adjacent_difference_implIS3_Lb1ELb0EPdN6thrust23THRUST_200600_302600_NS16discard_iteratorINSD_11use_defaultEEENSD_5minusIdEEEE10hipError_tPvRmT2_T3_mT4_P12ihipStream_tbEUlmE_dEESB_NS0_8identityIvEEEESJ_SM_SN_mSO_SQ_bEUlT_E_NS1_11comp_targetILNS1_3genE9ELNS1_11target_archE1100ELNS1_3gpuE3ELNS1_3repE0EEENS1_30default_config_static_selectorELNS0_4arch9wavefront6targetE1EEEvT1_,@function
_ZN7rocprim17ROCPRIM_400000_NS6detail17trampoline_kernelINS0_14default_configENS1_25transform_config_selectorIdLb0EEEZNS1_14transform_implILb0ES3_S5_NS0_18transform_iteratorINS0_17counting_iteratorImlEEZNS1_24adjacent_difference_implIS3_Lb1ELb0EPdN6thrust23THRUST_200600_302600_NS16discard_iteratorINSD_11use_defaultEEENSD_5minusIdEEEE10hipError_tPvRmT2_T3_mT4_P12ihipStream_tbEUlmE_dEESB_NS0_8identityIvEEEESJ_SM_SN_mSO_SQ_bEUlT_E_NS1_11comp_targetILNS1_3genE9ELNS1_11target_archE1100ELNS1_3gpuE3ELNS1_3repE0EEENS1_30default_config_static_selectorELNS0_4arch9wavefront6targetE1EEEvT1_: ; @_ZN7rocprim17ROCPRIM_400000_NS6detail17trampoline_kernelINS0_14default_configENS1_25transform_config_selectorIdLb0EEEZNS1_14transform_implILb0ES3_S5_NS0_18transform_iteratorINS0_17counting_iteratorImlEEZNS1_24adjacent_difference_implIS3_Lb1ELb0EPdN6thrust23THRUST_200600_302600_NS16discard_iteratorINSD_11use_defaultEEENSD_5minusIdEEEE10hipError_tPvRmT2_T3_mT4_P12ihipStream_tbEUlmE_dEESB_NS0_8identityIvEEEESJ_SM_SN_mSO_SQ_bEUlT_E_NS1_11comp_targetILNS1_3genE9ELNS1_11target_archE1100ELNS1_3gpuE3ELNS1_3repE0EEENS1_30default_config_static_selectorELNS0_4arch9wavefront6targetE1EEEvT1_
; %bb.0:
	.section	.rodata,"a",@progbits
	.p2align	6, 0x0
	.amdhsa_kernel _ZN7rocprim17ROCPRIM_400000_NS6detail17trampoline_kernelINS0_14default_configENS1_25transform_config_selectorIdLb0EEEZNS1_14transform_implILb0ES3_S5_NS0_18transform_iteratorINS0_17counting_iteratorImlEEZNS1_24adjacent_difference_implIS3_Lb1ELb0EPdN6thrust23THRUST_200600_302600_NS16discard_iteratorINSD_11use_defaultEEENSD_5minusIdEEEE10hipError_tPvRmT2_T3_mT4_P12ihipStream_tbEUlmE_dEESB_NS0_8identityIvEEEESJ_SM_SN_mSO_SQ_bEUlT_E_NS1_11comp_targetILNS1_3genE9ELNS1_11target_archE1100ELNS1_3gpuE3ELNS1_3repE0EEENS1_30default_config_static_selectorELNS0_4arch9wavefront6targetE1EEEvT1_
		.amdhsa_group_segment_fixed_size 0
		.amdhsa_private_segment_fixed_size 0
		.amdhsa_kernarg_size 56
		.amdhsa_user_sgpr_count 2
		.amdhsa_user_sgpr_dispatch_ptr 0
		.amdhsa_user_sgpr_queue_ptr 0
		.amdhsa_user_sgpr_kernarg_segment_ptr 1
		.amdhsa_user_sgpr_dispatch_id 0
		.amdhsa_user_sgpr_kernarg_preload_length 0
		.amdhsa_user_sgpr_kernarg_preload_offset 0
		.amdhsa_user_sgpr_private_segment_size 0
		.amdhsa_uses_dynamic_stack 0
		.amdhsa_enable_private_segment 0
		.amdhsa_system_sgpr_workgroup_id_x 1
		.amdhsa_system_sgpr_workgroup_id_y 0
		.amdhsa_system_sgpr_workgroup_id_z 0
		.amdhsa_system_sgpr_workgroup_info 0
		.amdhsa_system_vgpr_workitem_id 0
		.amdhsa_next_free_vgpr 1
		.amdhsa_next_free_sgpr 0
		.amdhsa_accum_offset 4
		.amdhsa_reserve_vcc 0
		.amdhsa_float_round_mode_32 0
		.amdhsa_float_round_mode_16_64 0
		.amdhsa_float_denorm_mode_32 3
		.amdhsa_float_denorm_mode_16_64 3
		.amdhsa_dx10_clamp 1
		.amdhsa_ieee_mode 1
		.amdhsa_fp16_overflow 0
		.amdhsa_tg_split 0
		.amdhsa_exception_fp_ieee_invalid_op 0
		.amdhsa_exception_fp_denorm_src 0
		.amdhsa_exception_fp_ieee_div_zero 0
		.amdhsa_exception_fp_ieee_overflow 0
		.amdhsa_exception_fp_ieee_underflow 0
		.amdhsa_exception_fp_ieee_inexact 0
		.amdhsa_exception_int_div_zero 0
	.end_amdhsa_kernel
	.section	.text._ZN7rocprim17ROCPRIM_400000_NS6detail17trampoline_kernelINS0_14default_configENS1_25transform_config_selectorIdLb0EEEZNS1_14transform_implILb0ES3_S5_NS0_18transform_iteratorINS0_17counting_iteratorImlEEZNS1_24adjacent_difference_implIS3_Lb1ELb0EPdN6thrust23THRUST_200600_302600_NS16discard_iteratorINSD_11use_defaultEEENSD_5minusIdEEEE10hipError_tPvRmT2_T3_mT4_P12ihipStream_tbEUlmE_dEESB_NS0_8identityIvEEEESJ_SM_SN_mSO_SQ_bEUlT_E_NS1_11comp_targetILNS1_3genE9ELNS1_11target_archE1100ELNS1_3gpuE3ELNS1_3repE0EEENS1_30default_config_static_selectorELNS0_4arch9wavefront6targetE1EEEvT1_,"axG",@progbits,_ZN7rocprim17ROCPRIM_400000_NS6detail17trampoline_kernelINS0_14default_configENS1_25transform_config_selectorIdLb0EEEZNS1_14transform_implILb0ES3_S5_NS0_18transform_iteratorINS0_17counting_iteratorImlEEZNS1_24adjacent_difference_implIS3_Lb1ELb0EPdN6thrust23THRUST_200600_302600_NS16discard_iteratorINSD_11use_defaultEEENSD_5minusIdEEEE10hipError_tPvRmT2_T3_mT4_P12ihipStream_tbEUlmE_dEESB_NS0_8identityIvEEEESJ_SM_SN_mSO_SQ_bEUlT_E_NS1_11comp_targetILNS1_3genE9ELNS1_11target_archE1100ELNS1_3gpuE3ELNS1_3repE0EEENS1_30default_config_static_selectorELNS0_4arch9wavefront6targetE1EEEvT1_,comdat
.Lfunc_end792:
	.size	_ZN7rocprim17ROCPRIM_400000_NS6detail17trampoline_kernelINS0_14default_configENS1_25transform_config_selectorIdLb0EEEZNS1_14transform_implILb0ES3_S5_NS0_18transform_iteratorINS0_17counting_iteratorImlEEZNS1_24adjacent_difference_implIS3_Lb1ELb0EPdN6thrust23THRUST_200600_302600_NS16discard_iteratorINSD_11use_defaultEEENSD_5minusIdEEEE10hipError_tPvRmT2_T3_mT4_P12ihipStream_tbEUlmE_dEESB_NS0_8identityIvEEEESJ_SM_SN_mSO_SQ_bEUlT_E_NS1_11comp_targetILNS1_3genE9ELNS1_11target_archE1100ELNS1_3gpuE3ELNS1_3repE0EEENS1_30default_config_static_selectorELNS0_4arch9wavefront6targetE1EEEvT1_, .Lfunc_end792-_ZN7rocprim17ROCPRIM_400000_NS6detail17trampoline_kernelINS0_14default_configENS1_25transform_config_selectorIdLb0EEEZNS1_14transform_implILb0ES3_S5_NS0_18transform_iteratorINS0_17counting_iteratorImlEEZNS1_24adjacent_difference_implIS3_Lb1ELb0EPdN6thrust23THRUST_200600_302600_NS16discard_iteratorINSD_11use_defaultEEENSD_5minusIdEEEE10hipError_tPvRmT2_T3_mT4_P12ihipStream_tbEUlmE_dEESB_NS0_8identityIvEEEESJ_SM_SN_mSO_SQ_bEUlT_E_NS1_11comp_targetILNS1_3genE9ELNS1_11target_archE1100ELNS1_3gpuE3ELNS1_3repE0EEENS1_30default_config_static_selectorELNS0_4arch9wavefront6targetE1EEEvT1_
                                        ; -- End function
	.section	.AMDGPU.csdata,"",@progbits
; Kernel info:
; codeLenInByte = 0
; NumSgprs: 6
; NumVgprs: 0
; NumAgprs: 0
; TotalNumVgprs: 0
; ScratchSize: 0
; MemoryBound: 0
; FloatMode: 240
; IeeeMode: 1
; LDSByteSize: 0 bytes/workgroup (compile time only)
; SGPRBlocks: 0
; VGPRBlocks: 0
; NumSGPRsForWavesPerEU: 6
; NumVGPRsForWavesPerEU: 1
; AccumOffset: 4
; Occupancy: 8
; WaveLimiterHint : 0
; COMPUTE_PGM_RSRC2:SCRATCH_EN: 0
; COMPUTE_PGM_RSRC2:USER_SGPR: 2
; COMPUTE_PGM_RSRC2:TRAP_HANDLER: 0
; COMPUTE_PGM_RSRC2:TGID_X_EN: 1
; COMPUTE_PGM_RSRC2:TGID_Y_EN: 0
; COMPUTE_PGM_RSRC2:TGID_Z_EN: 0
; COMPUTE_PGM_RSRC2:TIDIG_COMP_CNT: 0
; COMPUTE_PGM_RSRC3_GFX90A:ACCUM_OFFSET: 0
; COMPUTE_PGM_RSRC3_GFX90A:TG_SPLIT: 0
	.section	.text._ZN7rocprim17ROCPRIM_400000_NS6detail17trampoline_kernelINS0_14default_configENS1_25transform_config_selectorIdLb0EEEZNS1_14transform_implILb0ES3_S5_NS0_18transform_iteratorINS0_17counting_iteratorImlEEZNS1_24adjacent_difference_implIS3_Lb1ELb0EPdN6thrust23THRUST_200600_302600_NS16discard_iteratorINSD_11use_defaultEEENSD_5minusIdEEEE10hipError_tPvRmT2_T3_mT4_P12ihipStream_tbEUlmE_dEESB_NS0_8identityIvEEEESJ_SM_SN_mSO_SQ_bEUlT_E_NS1_11comp_targetILNS1_3genE8ELNS1_11target_archE1030ELNS1_3gpuE2ELNS1_3repE0EEENS1_30default_config_static_selectorELNS0_4arch9wavefront6targetE1EEEvT1_,"axG",@progbits,_ZN7rocprim17ROCPRIM_400000_NS6detail17trampoline_kernelINS0_14default_configENS1_25transform_config_selectorIdLb0EEEZNS1_14transform_implILb0ES3_S5_NS0_18transform_iteratorINS0_17counting_iteratorImlEEZNS1_24adjacent_difference_implIS3_Lb1ELb0EPdN6thrust23THRUST_200600_302600_NS16discard_iteratorINSD_11use_defaultEEENSD_5minusIdEEEE10hipError_tPvRmT2_T3_mT4_P12ihipStream_tbEUlmE_dEESB_NS0_8identityIvEEEESJ_SM_SN_mSO_SQ_bEUlT_E_NS1_11comp_targetILNS1_3genE8ELNS1_11target_archE1030ELNS1_3gpuE2ELNS1_3repE0EEENS1_30default_config_static_selectorELNS0_4arch9wavefront6targetE1EEEvT1_,comdat
	.protected	_ZN7rocprim17ROCPRIM_400000_NS6detail17trampoline_kernelINS0_14default_configENS1_25transform_config_selectorIdLb0EEEZNS1_14transform_implILb0ES3_S5_NS0_18transform_iteratorINS0_17counting_iteratorImlEEZNS1_24adjacent_difference_implIS3_Lb1ELb0EPdN6thrust23THRUST_200600_302600_NS16discard_iteratorINSD_11use_defaultEEENSD_5minusIdEEEE10hipError_tPvRmT2_T3_mT4_P12ihipStream_tbEUlmE_dEESB_NS0_8identityIvEEEESJ_SM_SN_mSO_SQ_bEUlT_E_NS1_11comp_targetILNS1_3genE8ELNS1_11target_archE1030ELNS1_3gpuE2ELNS1_3repE0EEENS1_30default_config_static_selectorELNS0_4arch9wavefront6targetE1EEEvT1_ ; -- Begin function _ZN7rocprim17ROCPRIM_400000_NS6detail17trampoline_kernelINS0_14default_configENS1_25transform_config_selectorIdLb0EEEZNS1_14transform_implILb0ES3_S5_NS0_18transform_iteratorINS0_17counting_iteratorImlEEZNS1_24adjacent_difference_implIS3_Lb1ELb0EPdN6thrust23THRUST_200600_302600_NS16discard_iteratorINSD_11use_defaultEEENSD_5minusIdEEEE10hipError_tPvRmT2_T3_mT4_P12ihipStream_tbEUlmE_dEESB_NS0_8identityIvEEEESJ_SM_SN_mSO_SQ_bEUlT_E_NS1_11comp_targetILNS1_3genE8ELNS1_11target_archE1030ELNS1_3gpuE2ELNS1_3repE0EEENS1_30default_config_static_selectorELNS0_4arch9wavefront6targetE1EEEvT1_
	.globl	_ZN7rocprim17ROCPRIM_400000_NS6detail17trampoline_kernelINS0_14default_configENS1_25transform_config_selectorIdLb0EEEZNS1_14transform_implILb0ES3_S5_NS0_18transform_iteratorINS0_17counting_iteratorImlEEZNS1_24adjacent_difference_implIS3_Lb1ELb0EPdN6thrust23THRUST_200600_302600_NS16discard_iteratorINSD_11use_defaultEEENSD_5minusIdEEEE10hipError_tPvRmT2_T3_mT4_P12ihipStream_tbEUlmE_dEESB_NS0_8identityIvEEEESJ_SM_SN_mSO_SQ_bEUlT_E_NS1_11comp_targetILNS1_3genE8ELNS1_11target_archE1030ELNS1_3gpuE2ELNS1_3repE0EEENS1_30default_config_static_selectorELNS0_4arch9wavefront6targetE1EEEvT1_
	.p2align	8
	.type	_ZN7rocprim17ROCPRIM_400000_NS6detail17trampoline_kernelINS0_14default_configENS1_25transform_config_selectorIdLb0EEEZNS1_14transform_implILb0ES3_S5_NS0_18transform_iteratorINS0_17counting_iteratorImlEEZNS1_24adjacent_difference_implIS3_Lb1ELb0EPdN6thrust23THRUST_200600_302600_NS16discard_iteratorINSD_11use_defaultEEENSD_5minusIdEEEE10hipError_tPvRmT2_T3_mT4_P12ihipStream_tbEUlmE_dEESB_NS0_8identityIvEEEESJ_SM_SN_mSO_SQ_bEUlT_E_NS1_11comp_targetILNS1_3genE8ELNS1_11target_archE1030ELNS1_3gpuE2ELNS1_3repE0EEENS1_30default_config_static_selectorELNS0_4arch9wavefront6targetE1EEEvT1_,@function
_ZN7rocprim17ROCPRIM_400000_NS6detail17trampoline_kernelINS0_14default_configENS1_25transform_config_selectorIdLb0EEEZNS1_14transform_implILb0ES3_S5_NS0_18transform_iteratorINS0_17counting_iteratorImlEEZNS1_24adjacent_difference_implIS3_Lb1ELb0EPdN6thrust23THRUST_200600_302600_NS16discard_iteratorINSD_11use_defaultEEENSD_5minusIdEEEE10hipError_tPvRmT2_T3_mT4_P12ihipStream_tbEUlmE_dEESB_NS0_8identityIvEEEESJ_SM_SN_mSO_SQ_bEUlT_E_NS1_11comp_targetILNS1_3genE8ELNS1_11target_archE1030ELNS1_3gpuE2ELNS1_3repE0EEENS1_30default_config_static_selectorELNS0_4arch9wavefront6targetE1EEEvT1_: ; @_ZN7rocprim17ROCPRIM_400000_NS6detail17trampoline_kernelINS0_14default_configENS1_25transform_config_selectorIdLb0EEEZNS1_14transform_implILb0ES3_S5_NS0_18transform_iteratorINS0_17counting_iteratorImlEEZNS1_24adjacent_difference_implIS3_Lb1ELb0EPdN6thrust23THRUST_200600_302600_NS16discard_iteratorINSD_11use_defaultEEENSD_5minusIdEEEE10hipError_tPvRmT2_T3_mT4_P12ihipStream_tbEUlmE_dEESB_NS0_8identityIvEEEESJ_SM_SN_mSO_SQ_bEUlT_E_NS1_11comp_targetILNS1_3genE8ELNS1_11target_archE1030ELNS1_3gpuE2ELNS1_3repE0EEENS1_30default_config_static_selectorELNS0_4arch9wavefront6targetE1EEEvT1_
; %bb.0:
	.section	.rodata,"a",@progbits
	.p2align	6, 0x0
	.amdhsa_kernel _ZN7rocprim17ROCPRIM_400000_NS6detail17trampoline_kernelINS0_14default_configENS1_25transform_config_selectorIdLb0EEEZNS1_14transform_implILb0ES3_S5_NS0_18transform_iteratorINS0_17counting_iteratorImlEEZNS1_24adjacent_difference_implIS3_Lb1ELb0EPdN6thrust23THRUST_200600_302600_NS16discard_iteratorINSD_11use_defaultEEENSD_5minusIdEEEE10hipError_tPvRmT2_T3_mT4_P12ihipStream_tbEUlmE_dEESB_NS0_8identityIvEEEESJ_SM_SN_mSO_SQ_bEUlT_E_NS1_11comp_targetILNS1_3genE8ELNS1_11target_archE1030ELNS1_3gpuE2ELNS1_3repE0EEENS1_30default_config_static_selectorELNS0_4arch9wavefront6targetE1EEEvT1_
		.amdhsa_group_segment_fixed_size 0
		.amdhsa_private_segment_fixed_size 0
		.amdhsa_kernarg_size 56
		.amdhsa_user_sgpr_count 2
		.amdhsa_user_sgpr_dispatch_ptr 0
		.amdhsa_user_sgpr_queue_ptr 0
		.amdhsa_user_sgpr_kernarg_segment_ptr 1
		.amdhsa_user_sgpr_dispatch_id 0
		.amdhsa_user_sgpr_kernarg_preload_length 0
		.amdhsa_user_sgpr_kernarg_preload_offset 0
		.amdhsa_user_sgpr_private_segment_size 0
		.amdhsa_uses_dynamic_stack 0
		.amdhsa_enable_private_segment 0
		.amdhsa_system_sgpr_workgroup_id_x 1
		.amdhsa_system_sgpr_workgroup_id_y 0
		.amdhsa_system_sgpr_workgroup_id_z 0
		.amdhsa_system_sgpr_workgroup_info 0
		.amdhsa_system_vgpr_workitem_id 0
		.amdhsa_next_free_vgpr 1
		.amdhsa_next_free_sgpr 0
		.amdhsa_accum_offset 4
		.amdhsa_reserve_vcc 0
		.amdhsa_float_round_mode_32 0
		.amdhsa_float_round_mode_16_64 0
		.amdhsa_float_denorm_mode_32 3
		.amdhsa_float_denorm_mode_16_64 3
		.amdhsa_dx10_clamp 1
		.amdhsa_ieee_mode 1
		.amdhsa_fp16_overflow 0
		.amdhsa_tg_split 0
		.amdhsa_exception_fp_ieee_invalid_op 0
		.amdhsa_exception_fp_denorm_src 0
		.amdhsa_exception_fp_ieee_div_zero 0
		.amdhsa_exception_fp_ieee_overflow 0
		.amdhsa_exception_fp_ieee_underflow 0
		.amdhsa_exception_fp_ieee_inexact 0
		.amdhsa_exception_int_div_zero 0
	.end_amdhsa_kernel
	.section	.text._ZN7rocprim17ROCPRIM_400000_NS6detail17trampoline_kernelINS0_14default_configENS1_25transform_config_selectorIdLb0EEEZNS1_14transform_implILb0ES3_S5_NS0_18transform_iteratorINS0_17counting_iteratorImlEEZNS1_24adjacent_difference_implIS3_Lb1ELb0EPdN6thrust23THRUST_200600_302600_NS16discard_iteratorINSD_11use_defaultEEENSD_5minusIdEEEE10hipError_tPvRmT2_T3_mT4_P12ihipStream_tbEUlmE_dEESB_NS0_8identityIvEEEESJ_SM_SN_mSO_SQ_bEUlT_E_NS1_11comp_targetILNS1_3genE8ELNS1_11target_archE1030ELNS1_3gpuE2ELNS1_3repE0EEENS1_30default_config_static_selectorELNS0_4arch9wavefront6targetE1EEEvT1_,"axG",@progbits,_ZN7rocprim17ROCPRIM_400000_NS6detail17trampoline_kernelINS0_14default_configENS1_25transform_config_selectorIdLb0EEEZNS1_14transform_implILb0ES3_S5_NS0_18transform_iteratorINS0_17counting_iteratorImlEEZNS1_24adjacent_difference_implIS3_Lb1ELb0EPdN6thrust23THRUST_200600_302600_NS16discard_iteratorINSD_11use_defaultEEENSD_5minusIdEEEE10hipError_tPvRmT2_T3_mT4_P12ihipStream_tbEUlmE_dEESB_NS0_8identityIvEEEESJ_SM_SN_mSO_SQ_bEUlT_E_NS1_11comp_targetILNS1_3genE8ELNS1_11target_archE1030ELNS1_3gpuE2ELNS1_3repE0EEENS1_30default_config_static_selectorELNS0_4arch9wavefront6targetE1EEEvT1_,comdat
.Lfunc_end793:
	.size	_ZN7rocprim17ROCPRIM_400000_NS6detail17trampoline_kernelINS0_14default_configENS1_25transform_config_selectorIdLb0EEEZNS1_14transform_implILb0ES3_S5_NS0_18transform_iteratorINS0_17counting_iteratorImlEEZNS1_24adjacent_difference_implIS3_Lb1ELb0EPdN6thrust23THRUST_200600_302600_NS16discard_iteratorINSD_11use_defaultEEENSD_5minusIdEEEE10hipError_tPvRmT2_T3_mT4_P12ihipStream_tbEUlmE_dEESB_NS0_8identityIvEEEESJ_SM_SN_mSO_SQ_bEUlT_E_NS1_11comp_targetILNS1_3genE8ELNS1_11target_archE1030ELNS1_3gpuE2ELNS1_3repE0EEENS1_30default_config_static_selectorELNS0_4arch9wavefront6targetE1EEEvT1_, .Lfunc_end793-_ZN7rocprim17ROCPRIM_400000_NS6detail17trampoline_kernelINS0_14default_configENS1_25transform_config_selectorIdLb0EEEZNS1_14transform_implILb0ES3_S5_NS0_18transform_iteratorINS0_17counting_iteratorImlEEZNS1_24adjacent_difference_implIS3_Lb1ELb0EPdN6thrust23THRUST_200600_302600_NS16discard_iteratorINSD_11use_defaultEEENSD_5minusIdEEEE10hipError_tPvRmT2_T3_mT4_P12ihipStream_tbEUlmE_dEESB_NS0_8identityIvEEEESJ_SM_SN_mSO_SQ_bEUlT_E_NS1_11comp_targetILNS1_3genE8ELNS1_11target_archE1030ELNS1_3gpuE2ELNS1_3repE0EEENS1_30default_config_static_selectorELNS0_4arch9wavefront6targetE1EEEvT1_
                                        ; -- End function
	.section	.AMDGPU.csdata,"",@progbits
; Kernel info:
; codeLenInByte = 0
; NumSgprs: 6
; NumVgprs: 0
; NumAgprs: 0
; TotalNumVgprs: 0
; ScratchSize: 0
; MemoryBound: 0
; FloatMode: 240
; IeeeMode: 1
; LDSByteSize: 0 bytes/workgroup (compile time only)
; SGPRBlocks: 0
; VGPRBlocks: 0
; NumSGPRsForWavesPerEU: 6
; NumVGPRsForWavesPerEU: 1
; AccumOffset: 4
; Occupancy: 8
; WaveLimiterHint : 0
; COMPUTE_PGM_RSRC2:SCRATCH_EN: 0
; COMPUTE_PGM_RSRC2:USER_SGPR: 2
; COMPUTE_PGM_RSRC2:TRAP_HANDLER: 0
; COMPUTE_PGM_RSRC2:TGID_X_EN: 1
; COMPUTE_PGM_RSRC2:TGID_Y_EN: 0
; COMPUTE_PGM_RSRC2:TGID_Z_EN: 0
; COMPUTE_PGM_RSRC2:TIDIG_COMP_CNT: 0
; COMPUTE_PGM_RSRC3_GFX90A:ACCUM_OFFSET: 0
; COMPUTE_PGM_RSRC3_GFX90A:TG_SPLIT: 0
	.section	.text._ZN7rocprim17ROCPRIM_400000_NS6detail17trampoline_kernelINS0_14default_configENS1_35adjacent_difference_config_selectorILb1EdEEZNS1_24adjacent_difference_implIS3_Lb1ELb0EPdN6thrust23THRUST_200600_302600_NS16discard_iteratorINS9_11use_defaultEEENS9_5minusIdEEEE10hipError_tPvRmT2_T3_mT4_P12ihipStream_tbEUlT_E_NS1_11comp_targetILNS1_3genE0ELNS1_11target_archE4294967295ELNS1_3gpuE0ELNS1_3repE0EEENS1_30default_config_static_selectorELNS0_4arch9wavefront6targetE1EEEvT1_,"axG",@progbits,_ZN7rocprim17ROCPRIM_400000_NS6detail17trampoline_kernelINS0_14default_configENS1_35adjacent_difference_config_selectorILb1EdEEZNS1_24adjacent_difference_implIS3_Lb1ELb0EPdN6thrust23THRUST_200600_302600_NS16discard_iteratorINS9_11use_defaultEEENS9_5minusIdEEEE10hipError_tPvRmT2_T3_mT4_P12ihipStream_tbEUlT_E_NS1_11comp_targetILNS1_3genE0ELNS1_11target_archE4294967295ELNS1_3gpuE0ELNS1_3repE0EEENS1_30default_config_static_selectorELNS0_4arch9wavefront6targetE1EEEvT1_,comdat
	.protected	_ZN7rocprim17ROCPRIM_400000_NS6detail17trampoline_kernelINS0_14default_configENS1_35adjacent_difference_config_selectorILb1EdEEZNS1_24adjacent_difference_implIS3_Lb1ELb0EPdN6thrust23THRUST_200600_302600_NS16discard_iteratorINS9_11use_defaultEEENS9_5minusIdEEEE10hipError_tPvRmT2_T3_mT4_P12ihipStream_tbEUlT_E_NS1_11comp_targetILNS1_3genE0ELNS1_11target_archE4294967295ELNS1_3gpuE0ELNS1_3repE0EEENS1_30default_config_static_selectorELNS0_4arch9wavefront6targetE1EEEvT1_ ; -- Begin function _ZN7rocprim17ROCPRIM_400000_NS6detail17trampoline_kernelINS0_14default_configENS1_35adjacent_difference_config_selectorILb1EdEEZNS1_24adjacent_difference_implIS3_Lb1ELb0EPdN6thrust23THRUST_200600_302600_NS16discard_iteratorINS9_11use_defaultEEENS9_5minusIdEEEE10hipError_tPvRmT2_T3_mT4_P12ihipStream_tbEUlT_E_NS1_11comp_targetILNS1_3genE0ELNS1_11target_archE4294967295ELNS1_3gpuE0ELNS1_3repE0EEENS1_30default_config_static_selectorELNS0_4arch9wavefront6targetE1EEEvT1_
	.globl	_ZN7rocprim17ROCPRIM_400000_NS6detail17trampoline_kernelINS0_14default_configENS1_35adjacent_difference_config_selectorILb1EdEEZNS1_24adjacent_difference_implIS3_Lb1ELb0EPdN6thrust23THRUST_200600_302600_NS16discard_iteratorINS9_11use_defaultEEENS9_5minusIdEEEE10hipError_tPvRmT2_T3_mT4_P12ihipStream_tbEUlT_E_NS1_11comp_targetILNS1_3genE0ELNS1_11target_archE4294967295ELNS1_3gpuE0ELNS1_3repE0EEENS1_30default_config_static_selectorELNS0_4arch9wavefront6targetE1EEEvT1_
	.p2align	8
	.type	_ZN7rocprim17ROCPRIM_400000_NS6detail17trampoline_kernelINS0_14default_configENS1_35adjacent_difference_config_selectorILb1EdEEZNS1_24adjacent_difference_implIS3_Lb1ELb0EPdN6thrust23THRUST_200600_302600_NS16discard_iteratorINS9_11use_defaultEEENS9_5minusIdEEEE10hipError_tPvRmT2_T3_mT4_P12ihipStream_tbEUlT_E_NS1_11comp_targetILNS1_3genE0ELNS1_11target_archE4294967295ELNS1_3gpuE0ELNS1_3repE0EEENS1_30default_config_static_selectorELNS0_4arch9wavefront6targetE1EEEvT1_,@function
_ZN7rocprim17ROCPRIM_400000_NS6detail17trampoline_kernelINS0_14default_configENS1_35adjacent_difference_config_selectorILb1EdEEZNS1_24adjacent_difference_implIS3_Lb1ELb0EPdN6thrust23THRUST_200600_302600_NS16discard_iteratorINS9_11use_defaultEEENS9_5minusIdEEEE10hipError_tPvRmT2_T3_mT4_P12ihipStream_tbEUlT_E_NS1_11comp_targetILNS1_3genE0ELNS1_11target_archE4294967295ELNS1_3gpuE0ELNS1_3repE0EEENS1_30default_config_static_selectorELNS0_4arch9wavefront6targetE1EEEvT1_: ; @_ZN7rocprim17ROCPRIM_400000_NS6detail17trampoline_kernelINS0_14default_configENS1_35adjacent_difference_config_selectorILb1EdEEZNS1_24adjacent_difference_implIS3_Lb1ELb0EPdN6thrust23THRUST_200600_302600_NS16discard_iteratorINS9_11use_defaultEEENS9_5minusIdEEEE10hipError_tPvRmT2_T3_mT4_P12ihipStream_tbEUlT_E_NS1_11comp_targetILNS1_3genE0ELNS1_11target_archE4294967295ELNS1_3gpuE0ELNS1_3repE0EEENS1_30default_config_static_selectorELNS0_4arch9wavefront6targetE1EEEvT1_
; %bb.0:
	.section	.rodata,"a",@progbits
	.p2align	6, 0x0
	.amdhsa_kernel _ZN7rocprim17ROCPRIM_400000_NS6detail17trampoline_kernelINS0_14default_configENS1_35adjacent_difference_config_selectorILb1EdEEZNS1_24adjacent_difference_implIS3_Lb1ELb0EPdN6thrust23THRUST_200600_302600_NS16discard_iteratorINS9_11use_defaultEEENS9_5minusIdEEEE10hipError_tPvRmT2_T3_mT4_P12ihipStream_tbEUlT_E_NS1_11comp_targetILNS1_3genE0ELNS1_11target_archE4294967295ELNS1_3gpuE0ELNS1_3repE0EEENS1_30default_config_static_selectorELNS0_4arch9wavefront6targetE1EEEvT1_
		.amdhsa_group_segment_fixed_size 0
		.amdhsa_private_segment_fixed_size 0
		.amdhsa_kernarg_size 64
		.amdhsa_user_sgpr_count 2
		.amdhsa_user_sgpr_dispatch_ptr 0
		.amdhsa_user_sgpr_queue_ptr 0
		.amdhsa_user_sgpr_kernarg_segment_ptr 1
		.amdhsa_user_sgpr_dispatch_id 0
		.amdhsa_user_sgpr_kernarg_preload_length 0
		.amdhsa_user_sgpr_kernarg_preload_offset 0
		.amdhsa_user_sgpr_private_segment_size 0
		.amdhsa_uses_dynamic_stack 0
		.amdhsa_enable_private_segment 0
		.amdhsa_system_sgpr_workgroup_id_x 1
		.amdhsa_system_sgpr_workgroup_id_y 0
		.amdhsa_system_sgpr_workgroup_id_z 0
		.amdhsa_system_sgpr_workgroup_info 0
		.amdhsa_system_vgpr_workitem_id 0
		.amdhsa_next_free_vgpr 1
		.amdhsa_next_free_sgpr 0
		.amdhsa_accum_offset 4
		.amdhsa_reserve_vcc 0
		.amdhsa_float_round_mode_32 0
		.amdhsa_float_round_mode_16_64 0
		.amdhsa_float_denorm_mode_32 3
		.amdhsa_float_denorm_mode_16_64 3
		.amdhsa_dx10_clamp 1
		.amdhsa_ieee_mode 1
		.amdhsa_fp16_overflow 0
		.amdhsa_tg_split 0
		.amdhsa_exception_fp_ieee_invalid_op 0
		.amdhsa_exception_fp_denorm_src 0
		.amdhsa_exception_fp_ieee_div_zero 0
		.amdhsa_exception_fp_ieee_overflow 0
		.amdhsa_exception_fp_ieee_underflow 0
		.amdhsa_exception_fp_ieee_inexact 0
		.amdhsa_exception_int_div_zero 0
	.end_amdhsa_kernel
	.section	.text._ZN7rocprim17ROCPRIM_400000_NS6detail17trampoline_kernelINS0_14default_configENS1_35adjacent_difference_config_selectorILb1EdEEZNS1_24adjacent_difference_implIS3_Lb1ELb0EPdN6thrust23THRUST_200600_302600_NS16discard_iteratorINS9_11use_defaultEEENS9_5minusIdEEEE10hipError_tPvRmT2_T3_mT4_P12ihipStream_tbEUlT_E_NS1_11comp_targetILNS1_3genE0ELNS1_11target_archE4294967295ELNS1_3gpuE0ELNS1_3repE0EEENS1_30default_config_static_selectorELNS0_4arch9wavefront6targetE1EEEvT1_,"axG",@progbits,_ZN7rocprim17ROCPRIM_400000_NS6detail17trampoline_kernelINS0_14default_configENS1_35adjacent_difference_config_selectorILb1EdEEZNS1_24adjacent_difference_implIS3_Lb1ELb0EPdN6thrust23THRUST_200600_302600_NS16discard_iteratorINS9_11use_defaultEEENS9_5minusIdEEEE10hipError_tPvRmT2_T3_mT4_P12ihipStream_tbEUlT_E_NS1_11comp_targetILNS1_3genE0ELNS1_11target_archE4294967295ELNS1_3gpuE0ELNS1_3repE0EEENS1_30default_config_static_selectorELNS0_4arch9wavefront6targetE1EEEvT1_,comdat
.Lfunc_end794:
	.size	_ZN7rocprim17ROCPRIM_400000_NS6detail17trampoline_kernelINS0_14default_configENS1_35adjacent_difference_config_selectorILb1EdEEZNS1_24adjacent_difference_implIS3_Lb1ELb0EPdN6thrust23THRUST_200600_302600_NS16discard_iteratorINS9_11use_defaultEEENS9_5minusIdEEEE10hipError_tPvRmT2_T3_mT4_P12ihipStream_tbEUlT_E_NS1_11comp_targetILNS1_3genE0ELNS1_11target_archE4294967295ELNS1_3gpuE0ELNS1_3repE0EEENS1_30default_config_static_selectorELNS0_4arch9wavefront6targetE1EEEvT1_, .Lfunc_end794-_ZN7rocprim17ROCPRIM_400000_NS6detail17trampoline_kernelINS0_14default_configENS1_35adjacent_difference_config_selectorILb1EdEEZNS1_24adjacent_difference_implIS3_Lb1ELb0EPdN6thrust23THRUST_200600_302600_NS16discard_iteratorINS9_11use_defaultEEENS9_5minusIdEEEE10hipError_tPvRmT2_T3_mT4_P12ihipStream_tbEUlT_E_NS1_11comp_targetILNS1_3genE0ELNS1_11target_archE4294967295ELNS1_3gpuE0ELNS1_3repE0EEENS1_30default_config_static_selectorELNS0_4arch9wavefront6targetE1EEEvT1_
                                        ; -- End function
	.section	.AMDGPU.csdata,"",@progbits
; Kernel info:
; codeLenInByte = 0
; NumSgprs: 6
; NumVgprs: 0
; NumAgprs: 0
; TotalNumVgprs: 0
; ScratchSize: 0
; MemoryBound: 0
; FloatMode: 240
; IeeeMode: 1
; LDSByteSize: 0 bytes/workgroup (compile time only)
; SGPRBlocks: 0
; VGPRBlocks: 0
; NumSGPRsForWavesPerEU: 6
; NumVGPRsForWavesPerEU: 1
; AccumOffset: 4
; Occupancy: 8
; WaveLimiterHint : 0
; COMPUTE_PGM_RSRC2:SCRATCH_EN: 0
; COMPUTE_PGM_RSRC2:USER_SGPR: 2
; COMPUTE_PGM_RSRC2:TRAP_HANDLER: 0
; COMPUTE_PGM_RSRC2:TGID_X_EN: 1
; COMPUTE_PGM_RSRC2:TGID_Y_EN: 0
; COMPUTE_PGM_RSRC2:TGID_Z_EN: 0
; COMPUTE_PGM_RSRC2:TIDIG_COMP_CNT: 0
; COMPUTE_PGM_RSRC3_GFX90A:ACCUM_OFFSET: 0
; COMPUTE_PGM_RSRC3_GFX90A:TG_SPLIT: 0
	.section	.text._ZN7rocprim17ROCPRIM_400000_NS6detail17trampoline_kernelINS0_14default_configENS1_35adjacent_difference_config_selectorILb1EdEEZNS1_24adjacent_difference_implIS3_Lb1ELb0EPdN6thrust23THRUST_200600_302600_NS16discard_iteratorINS9_11use_defaultEEENS9_5minusIdEEEE10hipError_tPvRmT2_T3_mT4_P12ihipStream_tbEUlT_E_NS1_11comp_targetILNS1_3genE10ELNS1_11target_archE1201ELNS1_3gpuE5ELNS1_3repE0EEENS1_30default_config_static_selectorELNS0_4arch9wavefront6targetE1EEEvT1_,"axG",@progbits,_ZN7rocprim17ROCPRIM_400000_NS6detail17trampoline_kernelINS0_14default_configENS1_35adjacent_difference_config_selectorILb1EdEEZNS1_24adjacent_difference_implIS3_Lb1ELb0EPdN6thrust23THRUST_200600_302600_NS16discard_iteratorINS9_11use_defaultEEENS9_5minusIdEEEE10hipError_tPvRmT2_T3_mT4_P12ihipStream_tbEUlT_E_NS1_11comp_targetILNS1_3genE10ELNS1_11target_archE1201ELNS1_3gpuE5ELNS1_3repE0EEENS1_30default_config_static_selectorELNS0_4arch9wavefront6targetE1EEEvT1_,comdat
	.protected	_ZN7rocprim17ROCPRIM_400000_NS6detail17trampoline_kernelINS0_14default_configENS1_35adjacent_difference_config_selectorILb1EdEEZNS1_24adjacent_difference_implIS3_Lb1ELb0EPdN6thrust23THRUST_200600_302600_NS16discard_iteratorINS9_11use_defaultEEENS9_5minusIdEEEE10hipError_tPvRmT2_T3_mT4_P12ihipStream_tbEUlT_E_NS1_11comp_targetILNS1_3genE10ELNS1_11target_archE1201ELNS1_3gpuE5ELNS1_3repE0EEENS1_30default_config_static_selectorELNS0_4arch9wavefront6targetE1EEEvT1_ ; -- Begin function _ZN7rocprim17ROCPRIM_400000_NS6detail17trampoline_kernelINS0_14default_configENS1_35adjacent_difference_config_selectorILb1EdEEZNS1_24adjacent_difference_implIS3_Lb1ELb0EPdN6thrust23THRUST_200600_302600_NS16discard_iteratorINS9_11use_defaultEEENS9_5minusIdEEEE10hipError_tPvRmT2_T3_mT4_P12ihipStream_tbEUlT_E_NS1_11comp_targetILNS1_3genE10ELNS1_11target_archE1201ELNS1_3gpuE5ELNS1_3repE0EEENS1_30default_config_static_selectorELNS0_4arch9wavefront6targetE1EEEvT1_
	.globl	_ZN7rocprim17ROCPRIM_400000_NS6detail17trampoline_kernelINS0_14default_configENS1_35adjacent_difference_config_selectorILb1EdEEZNS1_24adjacent_difference_implIS3_Lb1ELb0EPdN6thrust23THRUST_200600_302600_NS16discard_iteratorINS9_11use_defaultEEENS9_5minusIdEEEE10hipError_tPvRmT2_T3_mT4_P12ihipStream_tbEUlT_E_NS1_11comp_targetILNS1_3genE10ELNS1_11target_archE1201ELNS1_3gpuE5ELNS1_3repE0EEENS1_30default_config_static_selectorELNS0_4arch9wavefront6targetE1EEEvT1_
	.p2align	8
	.type	_ZN7rocprim17ROCPRIM_400000_NS6detail17trampoline_kernelINS0_14default_configENS1_35adjacent_difference_config_selectorILb1EdEEZNS1_24adjacent_difference_implIS3_Lb1ELb0EPdN6thrust23THRUST_200600_302600_NS16discard_iteratorINS9_11use_defaultEEENS9_5minusIdEEEE10hipError_tPvRmT2_T3_mT4_P12ihipStream_tbEUlT_E_NS1_11comp_targetILNS1_3genE10ELNS1_11target_archE1201ELNS1_3gpuE5ELNS1_3repE0EEENS1_30default_config_static_selectorELNS0_4arch9wavefront6targetE1EEEvT1_,@function
_ZN7rocprim17ROCPRIM_400000_NS6detail17trampoline_kernelINS0_14default_configENS1_35adjacent_difference_config_selectorILb1EdEEZNS1_24adjacent_difference_implIS3_Lb1ELb0EPdN6thrust23THRUST_200600_302600_NS16discard_iteratorINS9_11use_defaultEEENS9_5minusIdEEEE10hipError_tPvRmT2_T3_mT4_P12ihipStream_tbEUlT_E_NS1_11comp_targetILNS1_3genE10ELNS1_11target_archE1201ELNS1_3gpuE5ELNS1_3repE0EEENS1_30default_config_static_selectorELNS0_4arch9wavefront6targetE1EEEvT1_: ; @_ZN7rocprim17ROCPRIM_400000_NS6detail17trampoline_kernelINS0_14default_configENS1_35adjacent_difference_config_selectorILb1EdEEZNS1_24adjacent_difference_implIS3_Lb1ELb0EPdN6thrust23THRUST_200600_302600_NS16discard_iteratorINS9_11use_defaultEEENS9_5minusIdEEEE10hipError_tPvRmT2_T3_mT4_P12ihipStream_tbEUlT_E_NS1_11comp_targetILNS1_3genE10ELNS1_11target_archE1201ELNS1_3gpuE5ELNS1_3repE0EEENS1_30default_config_static_selectorELNS0_4arch9wavefront6targetE1EEEvT1_
; %bb.0:
	.section	.rodata,"a",@progbits
	.p2align	6, 0x0
	.amdhsa_kernel _ZN7rocprim17ROCPRIM_400000_NS6detail17trampoline_kernelINS0_14default_configENS1_35adjacent_difference_config_selectorILb1EdEEZNS1_24adjacent_difference_implIS3_Lb1ELb0EPdN6thrust23THRUST_200600_302600_NS16discard_iteratorINS9_11use_defaultEEENS9_5minusIdEEEE10hipError_tPvRmT2_T3_mT4_P12ihipStream_tbEUlT_E_NS1_11comp_targetILNS1_3genE10ELNS1_11target_archE1201ELNS1_3gpuE5ELNS1_3repE0EEENS1_30default_config_static_selectorELNS0_4arch9wavefront6targetE1EEEvT1_
		.amdhsa_group_segment_fixed_size 0
		.amdhsa_private_segment_fixed_size 0
		.amdhsa_kernarg_size 64
		.amdhsa_user_sgpr_count 2
		.amdhsa_user_sgpr_dispatch_ptr 0
		.amdhsa_user_sgpr_queue_ptr 0
		.amdhsa_user_sgpr_kernarg_segment_ptr 1
		.amdhsa_user_sgpr_dispatch_id 0
		.amdhsa_user_sgpr_kernarg_preload_length 0
		.amdhsa_user_sgpr_kernarg_preload_offset 0
		.amdhsa_user_sgpr_private_segment_size 0
		.amdhsa_uses_dynamic_stack 0
		.amdhsa_enable_private_segment 0
		.amdhsa_system_sgpr_workgroup_id_x 1
		.amdhsa_system_sgpr_workgroup_id_y 0
		.amdhsa_system_sgpr_workgroup_id_z 0
		.amdhsa_system_sgpr_workgroup_info 0
		.amdhsa_system_vgpr_workitem_id 0
		.amdhsa_next_free_vgpr 1
		.amdhsa_next_free_sgpr 0
		.amdhsa_accum_offset 4
		.amdhsa_reserve_vcc 0
		.amdhsa_float_round_mode_32 0
		.amdhsa_float_round_mode_16_64 0
		.amdhsa_float_denorm_mode_32 3
		.amdhsa_float_denorm_mode_16_64 3
		.amdhsa_dx10_clamp 1
		.amdhsa_ieee_mode 1
		.amdhsa_fp16_overflow 0
		.amdhsa_tg_split 0
		.amdhsa_exception_fp_ieee_invalid_op 0
		.amdhsa_exception_fp_denorm_src 0
		.amdhsa_exception_fp_ieee_div_zero 0
		.amdhsa_exception_fp_ieee_overflow 0
		.amdhsa_exception_fp_ieee_underflow 0
		.amdhsa_exception_fp_ieee_inexact 0
		.amdhsa_exception_int_div_zero 0
	.end_amdhsa_kernel
	.section	.text._ZN7rocprim17ROCPRIM_400000_NS6detail17trampoline_kernelINS0_14default_configENS1_35adjacent_difference_config_selectorILb1EdEEZNS1_24adjacent_difference_implIS3_Lb1ELb0EPdN6thrust23THRUST_200600_302600_NS16discard_iteratorINS9_11use_defaultEEENS9_5minusIdEEEE10hipError_tPvRmT2_T3_mT4_P12ihipStream_tbEUlT_E_NS1_11comp_targetILNS1_3genE10ELNS1_11target_archE1201ELNS1_3gpuE5ELNS1_3repE0EEENS1_30default_config_static_selectorELNS0_4arch9wavefront6targetE1EEEvT1_,"axG",@progbits,_ZN7rocprim17ROCPRIM_400000_NS6detail17trampoline_kernelINS0_14default_configENS1_35adjacent_difference_config_selectorILb1EdEEZNS1_24adjacent_difference_implIS3_Lb1ELb0EPdN6thrust23THRUST_200600_302600_NS16discard_iteratorINS9_11use_defaultEEENS9_5minusIdEEEE10hipError_tPvRmT2_T3_mT4_P12ihipStream_tbEUlT_E_NS1_11comp_targetILNS1_3genE10ELNS1_11target_archE1201ELNS1_3gpuE5ELNS1_3repE0EEENS1_30default_config_static_selectorELNS0_4arch9wavefront6targetE1EEEvT1_,comdat
.Lfunc_end795:
	.size	_ZN7rocprim17ROCPRIM_400000_NS6detail17trampoline_kernelINS0_14default_configENS1_35adjacent_difference_config_selectorILb1EdEEZNS1_24adjacent_difference_implIS3_Lb1ELb0EPdN6thrust23THRUST_200600_302600_NS16discard_iteratorINS9_11use_defaultEEENS9_5minusIdEEEE10hipError_tPvRmT2_T3_mT4_P12ihipStream_tbEUlT_E_NS1_11comp_targetILNS1_3genE10ELNS1_11target_archE1201ELNS1_3gpuE5ELNS1_3repE0EEENS1_30default_config_static_selectorELNS0_4arch9wavefront6targetE1EEEvT1_, .Lfunc_end795-_ZN7rocprim17ROCPRIM_400000_NS6detail17trampoline_kernelINS0_14default_configENS1_35adjacent_difference_config_selectorILb1EdEEZNS1_24adjacent_difference_implIS3_Lb1ELb0EPdN6thrust23THRUST_200600_302600_NS16discard_iteratorINS9_11use_defaultEEENS9_5minusIdEEEE10hipError_tPvRmT2_T3_mT4_P12ihipStream_tbEUlT_E_NS1_11comp_targetILNS1_3genE10ELNS1_11target_archE1201ELNS1_3gpuE5ELNS1_3repE0EEENS1_30default_config_static_selectorELNS0_4arch9wavefront6targetE1EEEvT1_
                                        ; -- End function
	.section	.AMDGPU.csdata,"",@progbits
; Kernel info:
; codeLenInByte = 0
; NumSgprs: 6
; NumVgprs: 0
; NumAgprs: 0
; TotalNumVgprs: 0
; ScratchSize: 0
; MemoryBound: 0
; FloatMode: 240
; IeeeMode: 1
; LDSByteSize: 0 bytes/workgroup (compile time only)
; SGPRBlocks: 0
; VGPRBlocks: 0
; NumSGPRsForWavesPerEU: 6
; NumVGPRsForWavesPerEU: 1
; AccumOffset: 4
; Occupancy: 8
; WaveLimiterHint : 0
; COMPUTE_PGM_RSRC2:SCRATCH_EN: 0
; COMPUTE_PGM_RSRC2:USER_SGPR: 2
; COMPUTE_PGM_RSRC2:TRAP_HANDLER: 0
; COMPUTE_PGM_RSRC2:TGID_X_EN: 1
; COMPUTE_PGM_RSRC2:TGID_Y_EN: 0
; COMPUTE_PGM_RSRC2:TGID_Z_EN: 0
; COMPUTE_PGM_RSRC2:TIDIG_COMP_CNT: 0
; COMPUTE_PGM_RSRC3_GFX90A:ACCUM_OFFSET: 0
; COMPUTE_PGM_RSRC3_GFX90A:TG_SPLIT: 0
	.section	.text._ZN7rocprim17ROCPRIM_400000_NS6detail17trampoline_kernelINS0_14default_configENS1_35adjacent_difference_config_selectorILb1EdEEZNS1_24adjacent_difference_implIS3_Lb1ELb0EPdN6thrust23THRUST_200600_302600_NS16discard_iteratorINS9_11use_defaultEEENS9_5minusIdEEEE10hipError_tPvRmT2_T3_mT4_P12ihipStream_tbEUlT_E_NS1_11comp_targetILNS1_3genE5ELNS1_11target_archE942ELNS1_3gpuE9ELNS1_3repE0EEENS1_30default_config_static_selectorELNS0_4arch9wavefront6targetE1EEEvT1_,"axG",@progbits,_ZN7rocprim17ROCPRIM_400000_NS6detail17trampoline_kernelINS0_14default_configENS1_35adjacent_difference_config_selectorILb1EdEEZNS1_24adjacent_difference_implIS3_Lb1ELb0EPdN6thrust23THRUST_200600_302600_NS16discard_iteratorINS9_11use_defaultEEENS9_5minusIdEEEE10hipError_tPvRmT2_T3_mT4_P12ihipStream_tbEUlT_E_NS1_11comp_targetILNS1_3genE5ELNS1_11target_archE942ELNS1_3gpuE9ELNS1_3repE0EEENS1_30default_config_static_selectorELNS0_4arch9wavefront6targetE1EEEvT1_,comdat
	.protected	_ZN7rocprim17ROCPRIM_400000_NS6detail17trampoline_kernelINS0_14default_configENS1_35adjacent_difference_config_selectorILb1EdEEZNS1_24adjacent_difference_implIS3_Lb1ELb0EPdN6thrust23THRUST_200600_302600_NS16discard_iteratorINS9_11use_defaultEEENS9_5minusIdEEEE10hipError_tPvRmT2_T3_mT4_P12ihipStream_tbEUlT_E_NS1_11comp_targetILNS1_3genE5ELNS1_11target_archE942ELNS1_3gpuE9ELNS1_3repE0EEENS1_30default_config_static_selectorELNS0_4arch9wavefront6targetE1EEEvT1_ ; -- Begin function _ZN7rocprim17ROCPRIM_400000_NS6detail17trampoline_kernelINS0_14default_configENS1_35adjacent_difference_config_selectorILb1EdEEZNS1_24adjacent_difference_implIS3_Lb1ELb0EPdN6thrust23THRUST_200600_302600_NS16discard_iteratorINS9_11use_defaultEEENS9_5minusIdEEEE10hipError_tPvRmT2_T3_mT4_P12ihipStream_tbEUlT_E_NS1_11comp_targetILNS1_3genE5ELNS1_11target_archE942ELNS1_3gpuE9ELNS1_3repE0EEENS1_30default_config_static_selectorELNS0_4arch9wavefront6targetE1EEEvT1_
	.globl	_ZN7rocprim17ROCPRIM_400000_NS6detail17trampoline_kernelINS0_14default_configENS1_35adjacent_difference_config_selectorILb1EdEEZNS1_24adjacent_difference_implIS3_Lb1ELb0EPdN6thrust23THRUST_200600_302600_NS16discard_iteratorINS9_11use_defaultEEENS9_5minusIdEEEE10hipError_tPvRmT2_T3_mT4_P12ihipStream_tbEUlT_E_NS1_11comp_targetILNS1_3genE5ELNS1_11target_archE942ELNS1_3gpuE9ELNS1_3repE0EEENS1_30default_config_static_selectorELNS0_4arch9wavefront6targetE1EEEvT1_
	.p2align	8
	.type	_ZN7rocprim17ROCPRIM_400000_NS6detail17trampoline_kernelINS0_14default_configENS1_35adjacent_difference_config_selectorILb1EdEEZNS1_24adjacent_difference_implIS3_Lb1ELb0EPdN6thrust23THRUST_200600_302600_NS16discard_iteratorINS9_11use_defaultEEENS9_5minusIdEEEE10hipError_tPvRmT2_T3_mT4_P12ihipStream_tbEUlT_E_NS1_11comp_targetILNS1_3genE5ELNS1_11target_archE942ELNS1_3gpuE9ELNS1_3repE0EEENS1_30default_config_static_selectorELNS0_4arch9wavefront6targetE1EEEvT1_,@function
_ZN7rocprim17ROCPRIM_400000_NS6detail17trampoline_kernelINS0_14default_configENS1_35adjacent_difference_config_selectorILb1EdEEZNS1_24adjacent_difference_implIS3_Lb1ELb0EPdN6thrust23THRUST_200600_302600_NS16discard_iteratorINS9_11use_defaultEEENS9_5minusIdEEEE10hipError_tPvRmT2_T3_mT4_P12ihipStream_tbEUlT_E_NS1_11comp_targetILNS1_3genE5ELNS1_11target_archE942ELNS1_3gpuE9ELNS1_3repE0EEENS1_30default_config_static_selectorELNS0_4arch9wavefront6targetE1EEEvT1_: ; @_ZN7rocprim17ROCPRIM_400000_NS6detail17trampoline_kernelINS0_14default_configENS1_35adjacent_difference_config_selectorILb1EdEEZNS1_24adjacent_difference_implIS3_Lb1ELb0EPdN6thrust23THRUST_200600_302600_NS16discard_iteratorINS9_11use_defaultEEENS9_5minusIdEEEE10hipError_tPvRmT2_T3_mT4_P12ihipStream_tbEUlT_E_NS1_11comp_targetILNS1_3genE5ELNS1_11target_archE942ELNS1_3gpuE9ELNS1_3repE0EEENS1_30default_config_static_selectorELNS0_4arch9wavefront6targetE1EEEvT1_
; %bb.0:
	s_load_dwordx4 s[12:15], s[0:1], 0x0
	s_load_dwordx2 s[8:9], s[0:1], 0x20
	s_load_dwordx4 s[4:7], s[0:1], 0x30
	s_mov_b64 s[18:19], -1
	s_waitcnt lgkmcnt(0)
	s_lshl_b64 s[0:1], s[14:15], 3
	s_add_u32 s22, s12, s0
	s_addc_u32 s23, s13, s1
	s_lshl_b32 s16, s2, 8
	s_lshr_b64 s[0:1], s[8:9], 8
	s_and_b32 s12, s8, 0xff
	s_mov_b32 s13, 0
	s_cmp_lg_u64 s[12:13], 0
	s_cselect_b64 s[10:11], -1, 0
	v_cndmask_b32_e64 v1, 0, 1, s[10:11]
	s_mov_b32 s12, s2
	v_readfirstlane_b32 s3, v1
	s_add_u32 s10, s0, s3
	s_addc_u32 s11, s1, 0
	s_add_u32 s2, s6, s2
	s_addc_u32 s3, s7, 0
	s_add_u32 s14, s10, -1
	s_addc_u32 s15, s11, -1
	v_mov_b64_e32 v[2:3], s[14:15]
	v_cmp_ge_u64_e64 s[0:1], s[2:3], v[2:3]
	s_and_b64 vcc, exec, s[0:1]
	s_cbranch_vccz .LBB796_6
; %bb.1:
	s_lshl_b32 s9, s14, 8
	s_mov_b32 s17, s13
	s_sub_i32 s9, s8, s9
	s_lshl_b64 s[18:19], s[16:17], 3
	s_add_u32 s18, s22, s18
	s_addc_u32 s19, s23, s19
	v_cmp_gt_u32_e32 vcc, s9, v0
                                        ; implicit-def: $vgpr2_vgpr3_vgpr4_vgpr5
	s_and_saveexec_b64 s[20:21], vcc
	s_cbranch_execz .LBB796_3
; %bb.2:
	v_lshlrev_b32_e32 v1, 3, v0
	global_load_dwordx2 v[2:3], v1, s[18:19]
.LBB796_3:
	s_or_b64 exec, exec, s[20:21]
	v_or_b32_e32 v1, 0x80, v0
	v_cmp_gt_u32_e32 vcc, s9, v1
	s_and_saveexec_b64 s[20:21], vcc
	s_cbranch_execz .LBB796_5
; %bb.4:
	v_lshlrev_b32_e32 v4, 3, v0
	global_load_dwordx2 v[4:5], v4, s[18:19] offset:1024
.LBB796_5:
	s_or_b64 exec, exec, s[20:21]
	v_lshrrev_b32_e32 v6, 2, v0
	v_lshrrev_b32_e32 v1, 2, v1
	v_and_b32_e32 v6, 24, v6
	v_lshlrev_b32_e32 v7, 3, v0
	v_and_b32_e32 v1, 56, v1
	v_add_u32_e32 v6, v6, v7
	v_add_u32_e32 v1, v1, v7
	s_mov_b64 s[18:19], 0
	s_waitcnt vmcnt(0)
	ds_write_b64 v6, v[2:3]
	ds_write_b64 v1, v[4:5] offset:1024
	s_waitcnt lgkmcnt(0)
	s_barrier
.LBB796_6:
	s_and_b64 vcc, exec, s[18:19]
	v_lshlrev_b32_e32 v1, 3, v0
	s_cbranch_vccz .LBB796_8
; %bb.7:
	s_mov_b32 s17, 0
	s_lshl_b64 s[16:17], s[16:17], 3
	s_add_u32 s16, s22, s16
	s_addc_u32 s17, s23, s17
	global_load_dwordx2 v[2:3], v1, s[16:17]
	global_load_dwordx2 v[4:5], v1, s[16:17] offset:1024
	v_lshrrev_b32_e32 v6, 2, v0
	v_or_b32_e32 v7, 0x80, v0
	v_and_b32_e32 v6, 24, v6
	v_lshrrev_b32_e32 v7, 2, v7
	v_add_u32_e32 v6, v6, v1
	v_and_b32_e32 v7, 56, v7
	v_add_u32_e32 v7, v7, v1
	s_waitcnt vmcnt(1)
	ds_write_b64 v6, v[2:3]
	s_waitcnt vmcnt(0)
	ds_write_b64 v7, v[4:5] offset:1024
	s_waitcnt lgkmcnt(0)
	s_barrier
.LBB796_8:
	v_lshlrev_b32_e32 v2, 1, v0
	v_lshrrev_b32_e32 v3, 4, v0
	v_add_lshl_u32 v2, v3, v2, 3
	ds_read2_b64 v[2:5], v2 offset1:1
	s_cmp_eq_u64 s[2:3], 0
	s_waitcnt lgkmcnt(0)
	s_barrier
	s_cbranch_scc1 .LBB796_13
; %bb.9:
	s_lshl_b64 s[6:7], s[6:7], 3
	s_add_u32 s6, s4, s6
	s_addc_u32 s7, s5, s7
	s_lshl_b64 s[4:5], s[12:13], 3
	s_add_u32 s4, s6, s4
	s_addc_u32 s5, s7, s5
	s_add_u32 s4, s4, -8
	s_addc_u32 s5, s5, -1
	s_load_dwordx2 s[4:5], s[4:5], 0x0
	s_cmp_eq_u64 s[2:3], s[14:15]
	s_cbranch_scc1 .LBB796_14
; %bb.10:
	v_cmp_ne_u32_e32 vcc, 0, v0
	s_waitcnt lgkmcnt(0)
	v_mov_b64_e32 v[6:7], s[4:5]
	ds_write_b64 v1, v[4:5]
	s_waitcnt lgkmcnt(0)
	s_barrier
	s_and_saveexec_b64 s[6:7], vcc
	s_cbranch_execz .LBB796_12
; %bb.11:
	v_add_u32_e32 v6, -8, v1
	ds_read_b64 v[6:7], v6
.LBB796_12:
	s_or_b64 exec, exec, s[6:7]
	v_add_f64 v[10:11], v[4:5], -v[2:3]
	s_waitcnt lgkmcnt(0)
	v_add_f64 v[6:7], v[2:3], -v[6:7]
	s_branch .LBB796_18
.LBB796_13:
                                        ; implicit-def: $vgpr10_vgpr11
                                        ; implicit-def: $vgpr6_vgpr7_vgpr8_vgpr9
	s_branch .LBB796_19
.LBB796_14:
                                        ; implicit-def: $vgpr10_vgpr11
                                        ; implicit-def: $vgpr6_vgpr7_vgpr8_vgpr9
	s_cbranch_execz .LBB796_18
; %bb.15:
	v_cmp_ne_u32_e32 vcc, 0, v0
	s_waitcnt lgkmcnt(0)
	v_mov_b64_e32 v[6:7], s[4:5]
	ds_write_b64 v1, v[4:5]
	s_waitcnt lgkmcnt(0)
	s_barrier
	s_and_saveexec_b64 s[4:5], vcc
	s_cbranch_execz .LBB796_17
; %bb.16:
	v_add_u32_e32 v6, -8, v1
	ds_read_b64 v[6:7], v6
.LBB796_17:
	s_or_b64 exec, exec, s[4:5]
	s_lshl_b32 s2, s2, 8
	v_lshlrev_b32_e32 v12, 1, v0
	s_sub_i32 s2, s8, s2
	v_or_b32_e32 v10, 1, v12
	v_add_f64 v[8:9], v[4:5], -v[2:3]
	v_cmp_gt_u32_e32 vcc, s2, v10
	s_waitcnt lgkmcnt(0)
	v_add_f64 v[6:7], v[2:3], -v[6:7]
	v_cndmask_b32_e32 v11, v5, v9, vcc
	v_cndmask_b32_e32 v10, v4, v8, vcc
	v_cmp_gt_u32_e32 vcc, s2, v12
	s_nop 1
	v_cndmask_b32_e32 v7, v3, v7, vcc
	v_cndmask_b32_e32 v6, v2, v6, vcc
.LBB796_18:
	s_cbranch_execnz .LBB796_28
.LBB796_19:
	s_cmp_eq_u64 s[10:11], 1
	v_add_f64 v[10:11], v[4:5], -v[2:3]
	v_cmp_ne_u32_e32 vcc, 0, v0
	s_cbranch_scc1 .LBB796_23
; %bb.20:
	v_mov_b32_e32 v12, 0
	v_mov_b64_e32 v[6:7], v[2:3]
	ds_write_b64 v1, v[4:5]
	s_waitcnt lgkmcnt(0)
	s_barrier
	s_and_saveexec_b64 s[2:3], vcc
	s_cbranch_execz .LBB796_22
; %bb.21:
	v_add_u32_e32 v6, -8, v1
	ds_read_b64 v[6:7], v6
	v_mov_b32_e32 v12, v0
	s_waitcnt lgkmcnt(0)
	v_add_f64 v[6:7], v[2:3], -v[6:7]
.LBB796_22:
	s_or_b64 exec, exec, s[2:3]
	s_cbranch_execz .LBB796_24
	s_branch .LBB796_27
.LBB796_23:
                                        ; implicit-def: $vgpr12
                                        ; implicit-def: $vgpr6_vgpr7_vgpr8_vgpr9
.LBB796_24:
	v_lshlrev_b32_e32 v6, 1, v0
	v_or_b32_e32 v7, 1, v6
	v_cmp_gt_u32_e32 vcc, s8, v7
	v_cmp_gt_u32_e64 s[2:3], s8, v6
	ds_write_b64 v1, v[4:5]
	v_cndmask_b32_e32 v11, v5, v11, vcc
	v_cndmask_b32_e32 v10, v4, v10, vcc
	v_cmp_ne_u32_e32 vcc, 0, v0
	s_waitcnt lgkmcnt(0)
	s_and_b64 s[4:5], vcc, s[2:3]
	s_barrier
	s_and_saveexec_b64 s[2:3], s[4:5]
	s_cbranch_execz .LBB796_26
; %bb.25:
	v_add_u32_e32 v1, -8, v1
	ds_read_b64 v[4:5], v1
	s_waitcnt lgkmcnt(0)
	v_add_f64 v[2:3], v[2:3], -v[4:5]
.LBB796_26:
	s_or_b64 exec, exec, s[2:3]
	v_mov_b64_e32 v[6:7], v[2:3]
	v_mov_b32_e32 v12, v0
.LBB796_27:
	v_mov_b32_e32 v0, v12
.LBB796_28:
	v_lshrrev_b32_e32 v1, 1, v0
	v_and_b32_e32 v1, 0x7ffffff8, v1
	v_lshl_add_u32 v0, v0, 4, v1
	s_mov_b64 s[2:3], -1
	s_and_b64 vcc, exec, s[0:1]
	s_waitcnt lgkmcnt(0)
	s_barrier
	ds_write2_b64 v0, v[6:7], v[10:11] offset1:1
	s_waitcnt lgkmcnt(0)
	s_cbranch_vccnz .LBB796_31
; %bb.29:
	s_andn2_b64 vcc, exec, s[2:3]
	s_cbranch_vccz .LBB796_32
.LBB796_30:
	s_endpgm
.LBB796_31:
	s_barrier
	s_cbranch_execnz .LBB796_30
.LBB796_32:
	s_barrier
	s_endpgm
	.section	.rodata,"a",@progbits
	.p2align	6, 0x0
	.amdhsa_kernel _ZN7rocprim17ROCPRIM_400000_NS6detail17trampoline_kernelINS0_14default_configENS1_35adjacent_difference_config_selectorILb1EdEEZNS1_24adjacent_difference_implIS3_Lb1ELb0EPdN6thrust23THRUST_200600_302600_NS16discard_iteratorINS9_11use_defaultEEENS9_5minusIdEEEE10hipError_tPvRmT2_T3_mT4_P12ihipStream_tbEUlT_E_NS1_11comp_targetILNS1_3genE5ELNS1_11target_archE942ELNS1_3gpuE9ELNS1_3repE0EEENS1_30default_config_static_selectorELNS0_4arch9wavefront6targetE1EEEvT1_
		.amdhsa_group_segment_fixed_size 2112
		.amdhsa_private_segment_fixed_size 0
		.amdhsa_kernarg_size 64
		.amdhsa_user_sgpr_count 2
		.amdhsa_user_sgpr_dispatch_ptr 0
		.amdhsa_user_sgpr_queue_ptr 0
		.amdhsa_user_sgpr_kernarg_segment_ptr 1
		.amdhsa_user_sgpr_dispatch_id 0
		.amdhsa_user_sgpr_kernarg_preload_length 0
		.amdhsa_user_sgpr_kernarg_preload_offset 0
		.amdhsa_user_sgpr_private_segment_size 0
		.amdhsa_uses_dynamic_stack 0
		.amdhsa_enable_private_segment 0
		.amdhsa_system_sgpr_workgroup_id_x 1
		.amdhsa_system_sgpr_workgroup_id_y 0
		.amdhsa_system_sgpr_workgroup_id_z 0
		.amdhsa_system_sgpr_workgroup_info 0
		.amdhsa_system_vgpr_workitem_id 0
		.amdhsa_next_free_vgpr 13
		.amdhsa_next_free_sgpr 24
		.amdhsa_accum_offset 16
		.amdhsa_reserve_vcc 1
		.amdhsa_float_round_mode_32 0
		.amdhsa_float_round_mode_16_64 0
		.amdhsa_float_denorm_mode_32 3
		.amdhsa_float_denorm_mode_16_64 3
		.amdhsa_dx10_clamp 1
		.amdhsa_ieee_mode 1
		.amdhsa_fp16_overflow 0
		.amdhsa_tg_split 0
		.amdhsa_exception_fp_ieee_invalid_op 0
		.amdhsa_exception_fp_denorm_src 0
		.amdhsa_exception_fp_ieee_div_zero 0
		.amdhsa_exception_fp_ieee_overflow 0
		.amdhsa_exception_fp_ieee_underflow 0
		.amdhsa_exception_fp_ieee_inexact 0
		.amdhsa_exception_int_div_zero 0
	.end_amdhsa_kernel
	.section	.text._ZN7rocprim17ROCPRIM_400000_NS6detail17trampoline_kernelINS0_14default_configENS1_35adjacent_difference_config_selectorILb1EdEEZNS1_24adjacent_difference_implIS3_Lb1ELb0EPdN6thrust23THRUST_200600_302600_NS16discard_iteratorINS9_11use_defaultEEENS9_5minusIdEEEE10hipError_tPvRmT2_T3_mT4_P12ihipStream_tbEUlT_E_NS1_11comp_targetILNS1_3genE5ELNS1_11target_archE942ELNS1_3gpuE9ELNS1_3repE0EEENS1_30default_config_static_selectorELNS0_4arch9wavefront6targetE1EEEvT1_,"axG",@progbits,_ZN7rocprim17ROCPRIM_400000_NS6detail17trampoline_kernelINS0_14default_configENS1_35adjacent_difference_config_selectorILb1EdEEZNS1_24adjacent_difference_implIS3_Lb1ELb0EPdN6thrust23THRUST_200600_302600_NS16discard_iteratorINS9_11use_defaultEEENS9_5minusIdEEEE10hipError_tPvRmT2_T3_mT4_P12ihipStream_tbEUlT_E_NS1_11comp_targetILNS1_3genE5ELNS1_11target_archE942ELNS1_3gpuE9ELNS1_3repE0EEENS1_30default_config_static_selectorELNS0_4arch9wavefront6targetE1EEEvT1_,comdat
.Lfunc_end796:
	.size	_ZN7rocprim17ROCPRIM_400000_NS6detail17trampoline_kernelINS0_14default_configENS1_35adjacent_difference_config_selectorILb1EdEEZNS1_24adjacent_difference_implIS3_Lb1ELb0EPdN6thrust23THRUST_200600_302600_NS16discard_iteratorINS9_11use_defaultEEENS9_5minusIdEEEE10hipError_tPvRmT2_T3_mT4_P12ihipStream_tbEUlT_E_NS1_11comp_targetILNS1_3genE5ELNS1_11target_archE942ELNS1_3gpuE9ELNS1_3repE0EEENS1_30default_config_static_selectorELNS0_4arch9wavefront6targetE1EEEvT1_, .Lfunc_end796-_ZN7rocprim17ROCPRIM_400000_NS6detail17trampoline_kernelINS0_14default_configENS1_35adjacent_difference_config_selectorILb1EdEEZNS1_24adjacent_difference_implIS3_Lb1ELb0EPdN6thrust23THRUST_200600_302600_NS16discard_iteratorINS9_11use_defaultEEENS9_5minusIdEEEE10hipError_tPvRmT2_T3_mT4_P12ihipStream_tbEUlT_E_NS1_11comp_targetILNS1_3genE5ELNS1_11target_archE942ELNS1_3gpuE9ELNS1_3repE0EEENS1_30default_config_static_selectorELNS0_4arch9wavefront6targetE1EEEvT1_
                                        ; -- End function
	.section	.AMDGPU.csdata,"",@progbits
; Kernel info:
; codeLenInByte = 952
; NumSgprs: 30
; NumVgprs: 13
; NumAgprs: 0
; TotalNumVgprs: 13
; ScratchSize: 0
; MemoryBound: 0
; FloatMode: 240
; IeeeMode: 1
; LDSByteSize: 2112 bytes/workgroup (compile time only)
; SGPRBlocks: 3
; VGPRBlocks: 1
; NumSGPRsForWavesPerEU: 30
; NumVGPRsForWavesPerEU: 13
; AccumOffset: 16
; Occupancy: 8
; WaveLimiterHint : 1
; COMPUTE_PGM_RSRC2:SCRATCH_EN: 0
; COMPUTE_PGM_RSRC2:USER_SGPR: 2
; COMPUTE_PGM_RSRC2:TRAP_HANDLER: 0
; COMPUTE_PGM_RSRC2:TGID_X_EN: 1
; COMPUTE_PGM_RSRC2:TGID_Y_EN: 0
; COMPUTE_PGM_RSRC2:TGID_Z_EN: 0
; COMPUTE_PGM_RSRC2:TIDIG_COMP_CNT: 0
; COMPUTE_PGM_RSRC3_GFX90A:ACCUM_OFFSET: 3
; COMPUTE_PGM_RSRC3_GFX90A:TG_SPLIT: 0
	.section	.text._ZN7rocprim17ROCPRIM_400000_NS6detail17trampoline_kernelINS0_14default_configENS1_35adjacent_difference_config_selectorILb1EdEEZNS1_24adjacent_difference_implIS3_Lb1ELb0EPdN6thrust23THRUST_200600_302600_NS16discard_iteratorINS9_11use_defaultEEENS9_5minusIdEEEE10hipError_tPvRmT2_T3_mT4_P12ihipStream_tbEUlT_E_NS1_11comp_targetILNS1_3genE4ELNS1_11target_archE910ELNS1_3gpuE8ELNS1_3repE0EEENS1_30default_config_static_selectorELNS0_4arch9wavefront6targetE1EEEvT1_,"axG",@progbits,_ZN7rocprim17ROCPRIM_400000_NS6detail17trampoline_kernelINS0_14default_configENS1_35adjacent_difference_config_selectorILb1EdEEZNS1_24adjacent_difference_implIS3_Lb1ELb0EPdN6thrust23THRUST_200600_302600_NS16discard_iteratorINS9_11use_defaultEEENS9_5minusIdEEEE10hipError_tPvRmT2_T3_mT4_P12ihipStream_tbEUlT_E_NS1_11comp_targetILNS1_3genE4ELNS1_11target_archE910ELNS1_3gpuE8ELNS1_3repE0EEENS1_30default_config_static_selectorELNS0_4arch9wavefront6targetE1EEEvT1_,comdat
	.protected	_ZN7rocprim17ROCPRIM_400000_NS6detail17trampoline_kernelINS0_14default_configENS1_35adjacent_difference_config_selectorILb1EdEEZNS1_24adjacent_difference_implIS3_Lb1ELb0EPdN6thrust23THRUST_200600_302600_NS16discard_iteratorINS9_11use_defaultEEENS9_5minusIdEEEE10hipError_tPvRmT2_T3_mT4_P12ihipStream_tbEUlT_E_NS1_11comp_targetILNS1_3genE4ELNS1_11target_archE910ELNS1_3gpuE8ELNS1_3repE0EEENS1_30default_config_static_selectorELNS0_4arch9wavefront6targetE1EEEvT1_ ; -- Begin function _ZN7rocprim17ROCPRIM_400000_NS6detail17trampoline_kernelINS0_14default_configENS1_35adjacent_difference_config_selectorILb1EdEEZNS1_24adjacent_difference_implIS3_Lb1ELb0EPdN6thrust23THRUST_200600_302600_NS16discard_iteratorINS9_11use_defaultEEENS9_5minusIdEEEE10hipError_tPvRmT2_T3_mT4_P12ihipStream_tbEUlT_E_NS1_11comp_targetILNS1_3genE4ELNS1_11target_archE910ELNS1_3gpuE8ELNS1_3repE0EEENS1_30default_config_static_selectorELNS0_4arch9wavefront6targetE1EEEvT1_
	.globl	_ZN7rocprim17ROCPRIM_400000_NS6detail17trampoline_kernelINS0_14default_configENS1_35adjacent_difference_config_selectorILb1EdEEZNS1_24adjacent_difference_implIS3_Lb1ELb0EPdN6thrust23THRUST_200600_302600_NS16discard_iteratorINS9_11use_defaultEEENS9_5minusIdEEEE10hipError_tPvRmT2_T3_mT4_P12ihipStream_tbEUlT_E_NS1_11comp_targetILNS1_3genE4ELNS1_11target_archE910ELNS1_3gpuE8ELNS1_3repE0EEENS1_30default_config_static_selectorELNS0_4arch9wavefront6targetE1EEEvT1_
	.p2align	8
	.type	_ZN7rocprim17ROCPRIM_400000_NS6detail17trampoline_kernelINS0_14default_configENS1_35adjacent_difference_config_selectorILb1EdEEZNS1_24adjacent_difference_implIS3_Lb1ELb0EPdN6thrust23THRUST_200600_302600_NS16discard_iteratorINS9_11use_defaultEEENS9_5minusIdEEEE10hipError_tPvRmT2_T3_mT4_P12ihipStream_tbEUlT_E_NS1_11comp_targetILNS1_3genE4ELNS1_11target_archE910ELNS1_3gpuE8ELNS1_3repE0EEENS1_30default_config_static_selectorELNS0_4arch9wavefront6targetE1EEEvT1_,@function
_ZN7rocprim17ROCPRIM_400000_NS6detail17trampoline_kernelINS0_14default_configENS1_35adjacent_difference_config_selectorILb1EdEEZNS1_24adjacent_difference_implIS3_Lb1ELb0EPdN6thrust23THRUST_200600_302600_NS16discard_iteratorINS9_11use_defaultEEENS9_5minusIdEEEE10hipError_tPvRmT2_T3_mT4_P12ihipStream_tbEUlT_E_NS1_11comp_targetILNS1_3genE4ELNS1_11target_archE910ELNS1_3gpuE8ELNS1_3repE0EEENS1_30default_config_static_selectorELNS0_4arch9wavefront6targetE1EEEvT1_: ; @_ZN7rocprim17ROCPRIM_400000_NS6detail17trampoline_kernelINS0_14default_configENS1_35adjacent_difference_config_selectorILb1EdEEZNS1_24adjacent_difference_implIS3_Lb1ELb0EPdN6thrust23THRUST_200600_302600_NS16discard_iteratorINS9_11use_defaultEEENS9_5minusIdEEEE10hipError_tPvRmT2_T3_mT4_P12ihipStream_tbEUlT_E_NS1_11comp_targetILNS1_3genE4ELNS1_11target_archE910ELNS1_3gpuE8ELNS1_3repE0EEENS1_30default_config_static_selectorELNS0_4arch9wavefront6targetE1EEEvT1_
; %bb.0:
	.section	.rodata,"a",@progbits
	.p2align	6, 0x0
	.amdhsa_kernel _ZN7rocprim17ROCPRIM_400000_NS6detail17trampoline_kernelINS0_14default_configENS1_35adjacent_difference_config_selectorILb1EdEEZNS1_24adjacent_difference_implIS3_Lb1ELb0EPdN6thrust23THRUST_200600_302600_NS16discard_iteratorINS9_11use_defaultEEENS9_5minusIdEEEE10hipError_tPvRmT2_T3_mT4_P12ihipStream_tbEUlT_E_NS1_11comp_targetILNS1_3genE4ELNS1_11target_archE910ELNS1_3gpuE8ELNS1_3repE0EEENS1_30default_config_static_selectorELNS0_4arch9wavefront6targetE1EEEvT1_
		.amdhsa_group_segment_fixed_size 0
		.amdhsa_private_segment_fixed_size 0
		.amdhsa_kernarg_size 64
		.amdhsa_user_sgpr_count 2
		.amdhsa_user_sgpr_dispatch_ptr 0
		.amdhsa_user_sgpr_queue_ptr 0
		.amdhsa_user_sgpr_kernarg_segment_ptr 1
		.amdhsa_user_sgpr_dispatch_id 0
		.amdhsa_user_sgpr_kernarg_preload_length 0
		.amdhsa_user_sgpr_kernarg_preload_offset 0
		.amdhsa_user_sgpr_private_segment_size 0
		.amdhsa_uses_dynamic_stack 0
		.amdhsa_enable_private_segment 0
		.amdhsa_system_sgpr_workgroup_id_x 1
		.amdhsa_system_sgpr_workgroup_id_y 0
		.amdhsa_system_sgpr_workgroup_id_z 0
		.amdhsa_system_sgpr_workgroup_info 0
		.amdhsa_system_vgpr_workitem_id 0
		.amdhsa_next_free_vgpr 1
		.amdhsa_next_free_sgpr 0
		.amdhsa_accum_offset 4
		.amdhsa_reserve_vcc 0
		.amdhsa_float_round_mode_32 0
		.amdhsa_float_round_mode_16_64 0
		.amdhsa_float_denorm_mode_32 3
		.amdhsa_float_denorm_mode_16_64 3
		.amdhsa_dx10_clamp 1
		.amdhsa_ieee_mode 1
		.amdhsa_fp16_overflow 0
		.amdhsa_tg_split 0
		.amdhsa_exception_fp_ieee_invalid_op 0
		.amdhsa_exception_fp_denorm_src 0
		.amdhsa_exception_fp_ieee_div_zero 0
		.amdhsa_exception_fp_ieee_overflow 0
		.amdhsa_exception_fp_ieee_underflow 0
		.amdhsa_exception_fp_ieee_inexact 0
		.amdhsa_exception_int_div_zero 0
	.end_amdhsa_kernel
	.section	.text._ZN7rocprim17ROCPRIM_400000_NS6detail17trampoline_kernelINS0_14default_configENS1_35adjacent_difference_config_selectorILb1EdEEZNS1_24adjacent_difference_implIS3_Lb1ELb0EPdN6thrust23THRUST_200600_302600_NS16discard_iteratorINS9_11use_defaultEEENS9_5minusIdEEEE10hipError_tPvRmT2_T3_mT4_P12ihipStream_tbEUlT_E_NS1_11comp_targetILNS1_3genE4ELNS1_11target_archE910ELNS1_3gpuE8ELNS1_3repE0EEENS1_30default_config_static_selectorELNS0_4arch9wavefront6targetE1EEEvT1_,"axG",@progbits,_ZN7rocprim17ROCPRIM_400000_NS6detail17trampoline_kernelINS0_14default_configENS1_35adjacent_difference_config_selectorILb1EdEEZNS1_24adjacent_difference_implIS3_Lb1ELb0EPdN6thrust23THRUST_200600_302600_NS16discard_iteratorINS9_11use_defaultEEENS9_5minusIdEEEE10hipError_tPvRmT2_T3_mT4_P12ihipStream_tbEUlT_E_NS1_11comp_targetILNS1_3genE4ELNS1_11target_archE910ELNS1_3gpuE8ELNS1_3repE0EEENS1_30default_config_static_selectorELNS0_4arch9wavefront6targetE1EEEvT1_,comdat
.Lfunc_end797:
	.size	_ZN7rocprim17ROCPRIM_400000_NS6detail17trampoline_kernelINS0_14default_configENS1_35adjacent_difference_config_selectorILb1EdEEZNS1_24adjacent_difference_implIS3_Lb1ELb0EPdN6thrust23THRUST_200600_302600_NS16discard_iteratorINS9_11use_defaultEEENS9_5minusIdEEEE10hipError_tPvRmT2_T3_mT4_P12ihipStream_tbEUlT_E_NS1_11comp_targetILNS1_3genE4ELNS1_11target_archE910ELNS1_3gpuE8ELNS1_3repE0EEENS1_30default_config_static_selectorELNS0_4arch9wavefront6targetE1EEEvT1_, .Lfunc_end797-_ZN7rocprim17ROCPRIM_400000_NS6detail17trampoline_kernelINS0_14default_configENS1_35adjacent_difference_config_selectorILb1EdEEZNS1_24adjacent_difference_implIS3_Lb1ELb0EPdN6thrust23THRUST_200600_302600_NS16discard_iteratorINS9_11use_defaultEEENS9_5minusIdEEEE10hipError_tPvRmT2_T3_mT4_P12ihipStream_tbEUlT_E_NS1_11comp_targetILNS1_3genE4ELNS1_11target_archE910ELNS1_3gpuE8ELNS1_3repE0EEENS1_30default_config_static_selectorELNS0_4arch9wavefront6targetE1EEEvT1_
                                        ; -- End function
	.section	.AMDGPU.csdata,"",@progbits
; Kernel info:
; codeLenInByte = 0
; NumSgprs: 6
; NumVgprs: 0
; NumAgprs: 0
; TotalNumVgprs: 0
; ScratchSize: 0
; MemoryBound: 0
; FloatMode: 240
; IeeeMode: 1
; LDSByteSize: 0 bytes/workgroup (compile time only)
; SGPRBlocks: 0
; VGPRBlocks: 0
; NumSGPRsForWavesPerEU: 6
; NumVGPRsForWavesPerEU: 1
; AccumOffset: 4
; Occupancy: 8
; WaveLimiterHint : 0
; COMPUTE_PGM_RSRC2:SCRATCH_EN: 0
; COMPUTE_PGM_RSRC2:USER_SGPR: 2
; COMPUTE_PGM_RSRC2:TRAP_HANDLER: 0
; COMPUTE_PGM_RSRC2:TGID_X_EN: 1
; COMPUTE_PGM_RSRC2:TGID_Y_EN: 0
; COMPUTE_PGM_RSRC2:TGID_Z_EN: 0
; COMPUTE_PGM_RSRC2:TIDIG_COMP_CNT: 0
; COMPUTE_PGM_RSRC3_GFX90A:ACCUM_OFFSET: 0
; COMPUTE_PGM_RSRC3_GFX90A:TG_SPLIT: 0
	.section	.text._ZN7rocprim17ROCPRIM_400000_NS6detail17trampoline_kernelINS0_14default_configENS1_35adjacent_difference_config_selectorILb1EdEEZNS1_24adjacent_difference_implIS3_Lb1ELb0EPdN6thrust23THRUST_200600_302600_NS16discard_iteratorINS9_11use_defaultEEENS9_5minusIdEEEE10hipError_tPvRmT2_T3_mT4_P12ihipStream_tbEUlT_E_NS1_11comp_targetILNS1_3genE3ELNS1_11target_archE908ELNS1_3gpuE7ELNS1_3repE0EEENS1_30default_config_static_selectorELNS0_4arch9wavefront6targetE1EEEvT1_,"axG",@progbits,_ZN7rocprim17ROCPRIM_400000_NS6detail17trampoline_kernelINS0_14default_configENS1_35adjacent_difference_config_selectorILb1EdEEZNS1_24adjacent_difference_implIS3_Lb1ELb0EPdN6thrust23THRUST_200600_302600_NS16discard_iteratorINS9_11use_defaultEEENS9_5minusIdEEEE10hipError_tPvRmT2_T3_mT4_P12ihipStream_tbEUlT_E_NS1_11comp_targetILNS1_3genE3ELNS1_11target_archE908ELNS1_3gpuE7ELNS1_3repE0EEENS1_30default_config_static_selectorELNS0_4arch9wavefront6targetE1EEEvT1_,comdat
	.protected	_ZN7rocprim17ROCPRIM_400000_NS6detail17trampoline_kernelINS0_14default_configENS1_35adjacent_difference_config_selectorILb1EdEEZNS1_24adjacent_difference_implIS3_Lb1ELb0EPdN6thrust23THRUST_200600_302600_NS16discard_iteratorINS9_11use_defaultEEENS9_5minusIdEEEE10hipError_tPvRmT2_T3_mT4_P12ihipStream_tbEUlT_E_NS1_11comp_targetILNS1_3genE3ELNS1_11target_archE908ELNS1_3gpuE7ELNS1_3repE0EEENS1_30default_config_static_selectorELNS0_4arch9wavefront6targetE1EEEvT1_ ; -- Begin function _ZN7rocprim17ROCPRIM_400000_NS6detail17trampoline_kernelINS0_14default_configENS1_35adjacent_difference_config_selectorILb1EdEEZNS1_24adjacent_difference_implIS3_Lb1ELb0EPdN6thrust23THRUST_200600_302600_NS16discard_iteratorINS9_11use_defaultEEENS9_5minusIdEEEE10hipError_tPvRmT2_T3_mT4_P12ihipStream_tbEUlT_E_NS1_11comp_targetILNS1_3genE3ELNS1_11target_archE908ELNS1_3gpuE7ELNS1_3repE0EEENS1_30default_config_static_selectorELNS0_4arch9wavefront6targetE1EEEvT1_
	.globl	_ZN7rocprim17ROCPRIM_400000_NS6detail17trampoline_kernelINS0_14default_configENS1_35adjacent_difference_config_selectorILb1EdEEZNS1_24adjacent_difference_implIS3_Lb1ELb0EPdN6thrust23THRUST_200600_302600_NS16discard_iteratorINS9_11use_defaultEEENS9_5minusIdEEEE10hipError_tPvRmT2_T3_mT4_P12ihipStream_tbEUlT_E_NS1_11comp_targetILNS1_3genE3ELNS1_11target_archE908ELNS1_3gpuE7ELNS1_3repE0EEENS1_30default_config_static_selectorELNS0_4arch9wavefront6targetE1EEEvT1_
	.p2align	8
	.type	_ZN7rocprim17ROCPRIM_400000_NS6detail17trampoline_kernelINS0_14default_configENS1_35adjacent_difference_config_selectorILb1EdEEZNS1_24adjacent_difference_implIS3_Lb1ELb0EPdN6thrust23THRUST_200600_302600_NS16discard_iteratorINS9_11use_defaultEEENS9_5minusIdEEEE10hipError_tPvRmT2_T3_mT4_P12ihipStream_tbEUlT_E_NS1_11comp_targetILNS1_3genE3ELNS1_11target_archE908ELNS1_3gpuE7ELNS1_3repE0EEENS1_30default_config_static_selectorELNS0_4arch9wavefront6targetE1EEEvT1_,@function
_ZN7rocprim17ROCPRIM_400000_NS6detail17trampoline_kernelINS0_14default_configENS1_35adjacent_difference_config_selectorILb1EdEEZNS1_24adjacent_difference_implIS3_Lb1ELb0EPdN6thrust23THRUST_200600_302600_NS16discard_iteratorINS9_11use_defaultEEENS9_5minusIdEEEE10hipError_tPvRmT2_T3_mT4_P12ihipStream_tbEUlT_E_NS1_11comp_targetILNS1_3genE3ELNS1_11target_archE908ELNS1_3gpuE7ELNS1_3repE0EEENS1_30default_config_static_selectorELNS0_4arch9wavefront6targetE1EEEvT1_: ; @_ZN7rocprim17ROCPRIM_400000_NS6detail17trampoline_kernelINS0_14default_configENS1_35adjacent_difference_config_selectorILb1EdEEZNS1_24adjacent_difference_implIS3_Lb1ELb0EPdN6thrust23THRUST_200600_302600_NS16discard_iteratorINS9_11use_defaultEEENS9_5minusIdEEEE10hipError_tPvRmT2_T3_mT4_P12ihipStream_tbEUlT_E_NS1_11comp_targetILNS1_3genE3ELNS1_11target_archE908ELNS1_3gpuE7ELNS1_3repE0EEENS1_30default_config_static_selectorELNS0_4arch9wavefront6targetE1EEEvT1_
; %bb.0:
	.section	.rodata,"a",@progbits
	.p2align	6, 0x0
	.amdhsa_kernel _ZN7rocprim17ROCPRIM_400000_NS6detail17trampoline_kernelINS0_14default_configENS1_35adjacent_difference_config_selectorILb1EdEEZNS1_24adjacent_difference_implIS3_Lb1ELb0EPdN6thrust23THRUST_200600_302600_NS16discard_iteratorINS9_11use_defaultEEENS9_5minusIdEEEE10hipError_tPvRmT2_T3_mT4_P12ihipStream_tbEUlT_E_NS1_11comp_targetILNS1_3genE3ELNS1_11target_archE908ELNS1_3gpuE7ELNS1_3repE0EEENS1_30default_config_static_selectorELNS0_4arch9wavefront6targetE1EEEvT1_
		.amdhsa_group_segment_fixed_size 0
		.amdhsa_private_segment_fixed_size 0
		.amdhsa_kernarg_size 64
		.amdhsa_user_sgpr_count 2
		.amdhsa_user_sgpr_dispatch_ptr 0
		.amdhsa_user_sgpr_queue_ptr 0
		.amdhsa_user_sgpr_kernarg_segment_ptr 1
		.amdhsa_user_sgpr_dispatch_id 0
		.amdhsa_user_sgpr_kernarg_preload_length 0
		.amdhsa_user_sgpr_kernarg_preload_offset 0
		.amdhsa_user_sgpr_private_segment_size 0
		.amdhsa_uses_dynamic_stack 0
		.amdhsa_enable_private_segment 0
		.amdhsa_system_sgpr_workgroup_id_x 1
		.amdhsa_system_sgpr_workgroup_id_y 0
		.amdhsa_system_sgpr_workgroup_id_z 0
		.amdhsa_system_sgpr_workgroup_info 0
		.amdhsa_system_vgpr_workitem_id 0
		.amdhsa_next_free_vgpr 1
		.amdhsa_next_free_sgpr 0
		.amdhsa_accum_offset 4
		.amdhsa_reserve_vcc 0
		.amdhsa_float_round_mode_32 0
		.amdhsa_float_round_mode_16_64 0
		.amdhsa_float_denorm_mode_32 3
		.amdhsa_float_denorm_mode_16_64 3
		.amdhsa_dx10_clamp 1
		.amdhsa_ieee_mode 1
		.amdhsa_fp16_overflow 0
		.amdhsa_tg_split 0
		.amdhsa_exception_fp_ieee_invalid_op 0
		.amdhsa_exception_fp_denorm_src 0
		.amdhsa_exception_fp_ieee_div_zero 0
		.amdhsa_exception_fp_ieee_overflow 0
		.amdhsa_exception_fp_ieee_underflow 0
		.amdhsa_exception_fp_ieee_inexact 0
		.amdhsa_exception_int_div_zero 0
	.end_amdhsa_kernel
	.section	.text._ZN7rocprim17ROCPRIM_400000_NS6detail17trampoline_kernelINS0_14default_configENS1_35adjacent_difference_config_selectorILb1EdEEZNS1_24adjacent_difference_implIS3_Lb1ELb0EPdN6thrust23THRUST_200600_302600_NS16discard_iteratorINS9_11use_defaultEEENS9_5minusIdEEEE10hipError_tPvRmT2_T3_mT4_P12ihipStream_tbEUlT_E_NS1_11comp_targetILNS1_3genE3ELNS1_11target_archE908ELNS1_3gpuE7ELNS1_3repE0EEENS1_30default_config_static_selectorELNS0_4arch9wavefront6targetE1EEEvT1_,"axG",@progbits,_ZN7rocprim17ROCPRIM_400000_NS6detail17trampoline_kernelINS0_14default_configENS1_35adjacent_difference_config_selectorILb1EdEEZNS1_24adjacent_difference_implIS3_Lb1ELb0EPdN6thrust23THRUST_200600_302600_NS16discard_iteratorINS9_11use_defaultEEENS9_5minusIdEEEE10hipError_tPvRmT2_T3_mT4_P12ihipStream_tbEUlT_E_NS1_11comp_targetILNS1_3genE3ELNS1_11target_archE908ELNS1_3gpuE7ELNS1_3repE0EEENS1_30default_config_static_selectorELNS0_4arch9wavefront6targetE1EEEvT1_,comdat
.Lfunc_end798:
	.size	_ZN7rocprim17ROCPRIM_400000_NS6detail17trampoline_kernelINS0_14default_configENS1_35adjacent_difference_config_selectorILb1EdEEZNS1_24adjacent_difference_implIS3_Lb1ELb0EPdN6thrust23THRUST_200600_302600_NS16discard_iteratorINS9_11use_defaultEEENS9_5minusIdEEEE10hipError_tPvRmT2_T3_mT4_P12ihipStream_tbEUlT_E_NS1_11comp_targetILNS1_3genE3ELNS1_11target_archE908ELNS1_3gpuE7ELNS1_3repE0EEENS1_30default_config_static_selectorELNS0_4arch9wavefront6targetE1EEEvT1_, .Lfunc_end798-_ZN7rocprim17ROCPRIM_400000_NS6detail17trampoline_kernelINS0_14default_configENS1_35adjacent_difference_config_selectorILb1EdEEZNS1_24adjacent_difference_implIS3_Lb1ELb0EPdN6thrust23THRUST_200600_302600_NS16discard_iteratorINS9_11use_defaultEEENS9_5minusIdEEEE10hipError_tPvRmT2_T3_mT4_P12ihipStream_tbEUlT_E_NS1_11comp_targetILNS1_3genE3ELNS1_11target_archE908ELNS1_3gpuE7ELNS1_3repE0EEENS1_30default_config_static_selectorELNS0_4arch9wavefront6targetE1EEEvT1_
                                        ; -- End function
	.section	.AMDGPU.csdata,"",@progbits
; Kernel info:
; codeLenInByte = 0
; NumSgprs: 6
; NumVgprs: 0
; NumAgprs: 0
; TotalNumVgprs: 0
; ScratchSize: 0
; MemoryBound: 0
; FloatMode: 240
; IeeeMode: 1
; LDSByteSize: 0 bytes/workgroup (compile time only)
; SGPRBlocks: 0
; VGPRBlocks: 0
; NumSGPRsForWavesPerEU: 6
; NumVGPRsForWavesPerEU: 1
; AccumOffset: 4
; Occupancy: 8
; WaveLimiterHint : 0
; COMPUTE_PGM_RSRC2:SCRATCH_EN: 0
; COMPUTE_PGM_RSRC2:USER_SGPR: 2
; COMPUTE_PGM_RSRC2:TRAP_HANDLER: 0
; COMPUTE_PGM_RSRC2:TGID_X_EN: 1
; COMPUTE_PGM_RSRC2:TGID_Y_EN: 0
; COMPUTE_PGM_RSRC2:TGID_Z_EN: 0
; COMPUTE_PGM_RSRC2:TIDIG_COMP_CNT: 0
; COMPUTE_PGM_RSRC3_GFX90A:ACCUM_OFFSET: 0
; COMPUTE_PGM_RSRC3_GFX90A:TG_SPLIT: 0
	.section	.text._ZN7rocprim17ROCPRIM_400000_NS6detail17trampoline_kernelINS0_14default_configENS1_35adjacent_difference_config_selectorILb1EdEEZNS1_24adjacent_difference_implIS3_Lb1ELb0EPdN6thrust23THRUST_200600_302600_NS16discard_iteratorINS9_11use_defaultEEENS9_5minusIdEEEE10hipError_tPvRmT2_T3_mT4_P12ihipStream_tbEUlT_E_NS1_11comp_targetILNS1_3genE2ELNS1_11target_archE906ELNS1_3gpuE6ELNS1_3repE0EEENS1_30default_config_static_selectorELNS0_4arch9wavefront6targetE1EEEvT1_,"axG",@progbits,_ZN7rocprim17ROCPRIM_400000_NS6detail17trampoline_kernelINS0_14default_configENS1_35adjacent_difference_config_selectorILb1EdEEZNS1_24adjacent_difference_implIS3_Lb1ELb0EPdN6thrust23THRUST_200600_302600_NS16discard_iteratorINS9_11use_defaultEEENS9_5minusIdEEEE10hipError_tPvRmT2_T3_mT4_P12ihipStream_tbEUlT_E_NS1_11comp_targetILNS1_3genE2ELNS1_11target_archE906ELNS1_3gpuE6ELNS1_3repE0EEENS1_30default_config_static_selectorELNS0_4arch9wavefront6targetE1EEEvT1_,comdat
	.protected	_ZN7rocprim17ROCPRIM_400000_NS6detail17trampoline_kernelINS0_14default_configENS1_35adjacent_difference_config_selectorILb1EdEEZNS1_24adjacent_difference_implIS3_Lb1ELb0EPdN6thrust23THRUST_200600_302600_NS16discard_iteratorINS9_11use_defaultEEENS9_5minusIdEEEE10hipError_tPvRmT2_T3_mT4_P12ihipStream_tbEUlT_E_NS1_11comp_targetILNS1_3genE2ELNS1_11target_archE906ELNS1_3gpuE6ELNS1_3repE0EEENS1_30default_config_static_selectorELNS0_4arch9wavefront6targetE1EEEvT1_ ; -- Begin function _ZN7rocprim17ROCPRIM_400000_NS6detail17trampoline_kernelINS0_14default_configENS1_35adjacent_difference_config_selectorILb1EdEEZNS1_24adjacent_difference_implIS3_Lb1ELb0EPdN6thrust23THRUST_200600_302600_NS16discard_iteratorINS9_11use_defaultEEENS9_5minusIdEEEE10hipError_tPvRmT2_T3_mT4_P12ihipStream_tbEUlT_E_NS1_11comp_targetILNS1_3genE2ELNS1_11target_archE906ELNS1_3gpuE6ELNS1_3repE0EEENS1_30default_config_static_selectorELNS0_4arch9wavefront6targetE1EEEvT1_
	.globl	_ZN7rocprim17ROCPRIM_400000_NS6detail17trampoline_kernelINS0_14default_configENS1_35adjacent_difference_config_selectorILb1EdEEZNS1_24adjacent_difference_implIS3_Lb1ELb0EPdN6thrust23THRUST_200600_302600_NS16discard_iteratorINS9_11use_defaultEEENS9_5minusIdEEEE10hipError_tPvRmT2_T3_mT4_P12ihipStream_tbEUlT_E_NS1_11comp_targetILNS1_3genE2ELNS1_11target_archE906ELNS1_3gpuE6ELNS1_3repE0EEENS1_30default_config_static_selectorELNS0_4arch9wavefront6targetE1EEEvT1_
	.p2align	8
	.type	_ZN7rocprim17ROCPRIM_400000_NS6detail17trampoline_kernelINS0_14default_configENS1_35adjacent_difference_config_selectorILb1EdEEZNS1_24adjacent_difference_implIS3_Lb1ELb0EPdN6thrust23THRUST_200600_302600_NS16discard_iteratorINS9_11use_defaultEEENS9_5minusIdEEEE10hipError_tPvRmT2_T3_mT4_P12ihipStream_tbEUlT_E_NS1_11comp_targetILNS1_3genE2ELNS1_11target_archE906ELNS1_3gpuE6ELNS1_3repE0EEENS1_30default_config_static_selectorELNS0_4arch9wavefront6targetE1EEEvT1_,@function
_ZN7rocprim17ROCPRIM_400000_NS6detail17trampoline_kernelINS0_14default_configENS1_35adjacent_difference_config_selectorILb1EdEEZNS1_24adjacent_difference_implIS3_Lb1ELb0EPdN6thrust23THRUST_200600_302600_NS16discard_iteratorINS9_11use_defaultEEENS9_5minusIdEEEE10hipError_tPvRmT2_T3_mT4_P12ihipStream_tbEUlT_E_NS1_11comp_targetILNS1_3genE2ELNS1_11target_archE906ELNS1_3gpuE6ELNS1_3repE0EEENS1_30default_config_static_selectorELNS0_4arch9wavefront6targetE1EEEvT1_: ; @_ZN7rocprim17ROCPRIM_400000_NS6detail17trampoline_kernelINS0_14default_configENS1_35adjacent_difference_config_selectorILb1EdEEZNS1_24adjacent_difference_implIS3_Lb1ELb0EPdN6thrust23THRUST_200600_302600_NS16discard_iteratorINS9_11use_defaultEEENS9_5minusIdEEEE10hipError_tPvRmT2_T3_mT4_P12ihipStream_tbEUlT_E_NS1_11comp_targetILNS1_3genE2ELNS1_11target_archE906ELNS1_3gpuE6ELNS1_3repE0EEENS1_30default_config_static_selectorELNS0_4arch9wavefront6targetE1EEEvT1_
; %bb.0:
	.section	.rodata,"a",@progbits
	.p2align	6, 0x0
	.amdhsa_kernel _ZN7rocprim17ROCPRIM_400000_NS6detail17trampoline_kernelINS0_14default_configENS1_35adjacent_difference_config_selectorILb1EdEEZNS1_24adjacent_difference_implIS3_Lb1ELb0EPdN6thrust23THRUST_200600_302600_NS16discard_iteratorINS9_11use_defaultEEENS9_5minusIdEEEE10hipError_tPvRmT2_T3_mT4_P12ihipStream_tbEUlT_E_NS1_11comp_targetILNS1_3genE2ELNS1_11target_archE906ELNS1_3gpuE6ELNS1_3repE0EEENS1_30default_config_static_selectorELNS0_4arch9wavefront6targetE1EEEvT1_
		.amdhsa_group_segment_fixed_size 0
		.amdhsa_private_segment_fixed_size 0
		.amdhsa_kernarg_size 64
		.amdhsa_user_sgpr_count 2
		.amdhsa_user_sgpr_dispatch_ptr 0
		.amdhsa_user_sgpr_queue_ptr 0
		.amdhsa_user_sgpr_kernarg_segment_ptr 1
		.amdhsa_user_sgpr_dispatch_id 0
		.amdhsa_user_sgpr_kernarg_preload_length 0
		.amdhsa_user_sgpr_kernarg_preload_offset 0
		.amdhsa_user_sgpr_private_segment_size 0
		.amdhsa_uses_dynamic_stack 0
		.amdhsa_enable_private_segment 0
		.amdhsa_system_sgpr_workgroup_id_x 1
		.amdhsa_system_sgpr_workgroup_id_y 0
		.amdhsa_system_sgpr_workgroup_id_z 0
		.amdhsa_system_sgpr_workgroup_info 0
		.amdhsa_system_vgpr_workitem_id 0
		.amdhsa_next_free_vgpr 1
		.amdhsa_next_free_sgpr 0
		.amdhsa_accum_offset 4
		.amdhsa_reserve_vcc 0
		.amdhsa_float_round_mode_32 0
		.amdhsa_float_round_mode_16_64 0
		.amdhsa_float_denorm_mode_32 3
		.amdhsa_float_denorm_mode_16_64 3
		.amdhsa_dx10_clamp 1
		.amdhsa_ieee_mode 1
		.amdhsa_fp16_overflow 0
		.amdhsa_tg_split 0
		.amdhsa_exception_fp_ieee_invalid_op 0
		.amdhsa_exception_fp_denorm_src 0
		.amdhsa_exception_fp_ieee_div_zero 0
		.amdhsa_exception_fp_ieee_overflow 0
		.amdhsa_exception_fp_ieee_underflow 0
		.amdhsa_exception_fp_ieee_inexact 0
		.amdhsa_exception_int_div_zero 0
	.end_amdhsa_kernel
	.section	.text._ZN7rocprim17ROCPRIM_400000_NS6detail17trampoline_kernelINS0_14default_configENS1_35adjacent_difference_config_selectorILb1EdEEZNS1_24adjacent_difference_implIS3_Lb1ELb0EPdN6thrust23THRUST_200600_302600_NS16discard_iteratorINS9_11use_defaultEEENS9_5minusIdEEEE10hipError_tPvRmT2_T3_mT4_P12ihipStream_tbEUlT_E_NS1_11comp_targetILNS1_3genE2ELNS1_11target_archE906ELNS1_3gpuE6ELNS1_3repE0EEENS1_30default_config_static_selectorELNS0_4arch9wavefront6targetE1EEEvT1_,"axG",@progbits,_ZN7rocprim17ROCPRIM_400000_NS6detail17trampoline_kernelINS0_14default_configENS1_35adjacent_difference_config_selectorILb1EdEEZNS1_24adjacent_difference_implIS3_Lb1ELb0EPdN6thrust23THRUST_200600_302600_NS16discard_iteratorINS9_11use_defaultEEENS9_5minusIdEEEE10hipError_tPvRmT2_T3_mT4_P12ihipStream_tbEUlT_E_NS1_11comp_targetILNS1_3genE2ELNS1_11target_archE906ELNS1_3gpuE6ELNS1_3repE0EEENS1_30default_config_static_selectorELNS0_4arch9wavefront6targetE1EEEvT1_,comdat
.Lfunc_end799:
	.size	_ZN7rocprim17ROCPRIM_400000_NS6detail17trampoline_kernelINS0_14default_configENS1_35adjacent_difference_config_selectorILb1EdEEZNS1_24adjacent_difference_implIS3_Lb1ELb0EPdN6thrust23THRUST_200600_302600_NS16discard_iteratorINS9_11use_defaultEEENS9_5minusIdEEEE10hipError_tPvRmT2_T3_mT4_P12ihipStream_tbEUlT_E_NS1_11comp_targetILNS1_3genE2ELNS1_11target_archE906ELNS1_3gpuE6ELNS1_3repE0EEENS1_30default_config_static_selectorELNS0_4arch9wavefront6targetE1EEEvT1_, .Lfunc_end799-_ZN7rocprim17ROCPRIM_400000_NS6detail17trampoline_kernelINS0_14default_configENS1_35adjacent_difference_config_selectorILb1EdEEZNS1_24adjacent_difference_implIS3_Lb1ELb0EPdN6thrust23THRUST_200600_302600_NS16discard_iteratorINS9_11use_defaultEEENS9_5minusIdEEEE10hipError_tPvRmT2_T3_mT4_P12ihipStream_tbEUlT_E_NS1_11comp_targetILNS1_3genE2ELNS1_11target_archE906ELNS1_3gpuE6ELNS1_3repE0EEENS1_30default_config_static_selectorELNS0_4arch9wavefront6targetE1EEEvT1_
                                        ; -- End function
	.section	.AMDGPU.csdata,"",@progbits
; Kernel info:
; codeLenInByte = 0
; NumSgprs: 6
; NumVgprs: 0
; NumAgprs: 0
; TotalNumVgprs: 0
; ScratchSize: 0
; MemoryBound: 0
; FloatMode: 240
; IeeeMode: 1
; LDSByteSize: 0 bytes/workgroup (compile time only)
; SGPRBlocks: 0
; VGPRBlocks: 0
; NumSGPRsForWavesPerEU: 6
; NumVGPRsForWavesPerEU: 1
; AccumOffset: 4
; Occupancy: 8
; WaveLimiterHint : 0
; COMPUTE_PGM_RSRC2:SCRATCH_EN: 0
; COMPUTE_PGM_RSRC2:USER_SGPR: 2
; COMPUTE_PGM_RSRC2:TRAP_HANDLER: 0
; COMPUTE_PGM_RSRC2:TGID_X_EN: 1
; COMPUTE_PGM_RSRC2:TGID_Y_EN: 0
; COMPUTE_PGM_RSRC2:TGID_Z_EN: 0
; COMPUTE_PGM_RSRC2:TIDIG_COMP_CNT: 0
; COMPUTE_PGM_RSRC3_GFX90A:ACCUM_OFFSET: 0
; COMPUTE_PGM_RSRC3_GFX90A:TG_SPLIT: 0
	.section	.text._ZN7rocprim17ROCPRIM_400000_NS6detail17trampoline_kernelINS0_14default_configENS1_35adjacent_difference_config_selectorILb1EdEEZNS1_24adjacent_difference_implIS3_Lb1ELb0EPdN6thrust23THRUST_200600_302600_NS16discard_iteratorINS9_11use_defaultEEENS9_5minusIdEEEE10hipError_tPvRmT2_T3_mT4_P12ihipStream_tbEUlT_E_NS1_11comp_targetILNS1_3genE9ELNS1_11target_archE1100ELNS1_3gpuE3ELNS1_3repE0EEENS1_30default_config_static_selectorELNS0_4arch9wavefront6targetE1EEEvT1_,"axG",@progbits,_ZN7rocprim17ROCPRIM_400000_NS6detail17trampoline_kernelINS0_14default_configENS1_35adjacent_difference_config_selectorILb1EdEEZNS1_24adjacent_difference_implIS3_Lb1ELb0EPdN6thrust23THRUST_200600_302600_NS16discard_iteratorINS9_11use_defaultEEENS9_5minusIdEEEE10hipError_tPvRmT2_T3_mT4_P12ihipStream_tbEUlT_E_NS1_11comp_targetILNS1_3genE9ELNS1_11target_archE1100ELNS1_3gpuE3ELNS1_3repE0EEENS1_30default_config_static_selectorELNS0_4arch9wavefront6targetE1EEEvT1_,comdat
	.protected	_ZN7rocprim17ROCPRIM_400000_NS6detail17trampoline_kernelINS0_14default_configENS1_35adjacent_difference_config_selectorILb1EdEEZNS1_24adjacent_difference_implIS3_Lb1ELb0EPdN6thrust23THRUST_200600_302600_NS16discard_iteratorINS9_11use_defaultEEENS9_5minusIdEEEE10hipError_tPvRmT2_T3_mT4_P12ihipStream_tbEUlT_E_NS1_11comp_targetILNS1_3genE9ELNS1_11target_archE1100ELNS1_3gpuE3ELNS1_3repE0EEENS1_30default_config_static_selectorELNS0_4arch9wavefront6targetE1EEEvT1_ ; -- Begin function _ZN7rocprim17ROCPRIM_400000_NS6detail17trampoline_kernelINS0_14default_configENS1_35adjacent_difference_config_selectorILb1EdEEZNS1_24adjacent_difference_implIS3_Lb1ELb0EPdN6thrust23THRUST_200600_302600_NS16discard_iteratorINS9_11use_defaultEEENS9_5minusIdEEEE10hipError_tPvRmT2_T3_mT4_P12ihipStream_tbEUlT_E_NS1_11comp_targetILNS1_3genE9ELNS1_11target_archE1100ELNS1_3gpuE3ELNS1_3repE0EEENS1_30default_config_static_selectorELNS0_4arch9wavefront6targetE1EEEvT1_
	.globl	_ZN7rocprim17ROCPRIM_400000_NS6detail17trampoline_kernelINS0_14default_configENS1_35adjacent_difference_config_selectorILb1EdEEZNS1_24adjacent_difference_implIS3_Lb1ELb0EPdN6thrust23THRUST_200600_302600_NS16discard_iteratorINS9_11use_defaultEEENS9_5minusIdEEEE10hipError_tPvRmT2_T3_mT4_P12ihipStream_tbEUlT_E_NS1_11comp_targetILNS1_3genE9ELNS1_11target_archE1100ELNS1_3gpuE3ELNS1_3repE0EEENS1_30default_config_static_selectorELNS0_4arch9wavefront6targetE1EEEvT1_
	.p2align	8
	.type	_ZN7rocprim17ROCPRIM_400000_NS6detail17trampoline_kernelINS0_14default_configENS1_35adjacent_difference_config_selectorILb1EdEEZNS1_24adjacent_difference_implIS3_Lb1ELb0EPdN6thrust23THRUST_200600_302600_NS16discard_iteratorINS9_11use_defaultEEENS9_5minusIdEEEE10hipError_tPvRmT2_T3_mT4_P12ihipStream_tbEUlT_E_NS1_11comp_targetILNS1_3genE9ELNS1_11target_archE1100ELNS1_3gpuE3ELNS1_3repE0EEENS1_30default_config_static_selectorELNS0_4arch9wavefront6targetE1EEEvT1_,@function
_ZN7rocprim17ROCPRIM_400000_NS6detail17trampoline_kernelINS0_14default_configENS1_35adjacent_difference_config_selectorILb1EdEEZNS1_24adjacent_difference_implIS3_Lb1ELb0EPdN6thrust23THRUST_200600_302600_NS16discard_iteratorINS9_11use_defaultEEENS9_5minusIdEEEE10hipError_tPvRmT2_T3_mT4_P12ihipStream_tbEUlT_E_NS1_11comp_targetILNS1_3genE9ELNS1_11target_archE1100ELNS1_3gpuE3ELNS1_3repE0EEENS1_30default_config_static_selectorELNS0_4arch9wavefront6targetE1EEEvT1_: ; @_ZN7rocprim17ROCPRIM_400000_NS6detail17trampoline_kernelINS0_14default_configENS1_35adjacent_difference_config_selectorILb1EdEEZNS1_24adjacent_difference_implIS3_Lb1ELb0EPdN6thrust23THRUST_200600_302600_NS16discard_iteratorINS9_11use_defaultEEENS9_5minusIdEEEE10hipError_tPvRmT2_T3_mT4_P12ihipStream_tbEUlT_E_NS1_11comp_targetILNS1_3genE9ELNS1_11target_archE1100ELNS1_3gpuE3ELNS1_3repE0EEENS1_30default_config_static_selectorELNS0_4arch9wavefront6targetE1EEEvT1_
; %bb.0:
	.section	.rodata,"a",@progbits
	.p2align	6, 0x0
	.amdhsa_kernel _ZN7rocprim17ROCPRIM_400000_NS6detail17trampoline_kernelINS0_14default_configENS1_35adjacent_difference_config_selectorILb1EdEEZNS1_24adjacent_difference_implIS3_Lb1ELb0EPdN6thrust23THRUST_200600_302600_NS16discard_iteratorINS9_11use_defaultEEENS9_5minusIdEEEE10hipError_tPvRmT2_T3_mT4_P12ihipStream_tbEUlT_E_NS1_11comp_targetILNS1_3genE9ELNS1_11target_archE1100ELNS1_3gpuE3ELNS1_3repE0EEENS1_30default_config_static_selectorELNS0_4arch9wavefront6targetE1EEEvT1_
		.amdhsa_group_segment_fixed_size 0
		.amdhsa_private_segment_fixed_size 0
		.amdhsa_kernarg_size 64
		.amdhsa_user_sgpr_count 2
		.amdhsa_user_sgpr_dispatch_ptr 0
		.amdhsa_user_sgpr_queue_ptr 0
		.amdhsa_user_sgpr_kernarg_segment_ptr 1
		.amdhsa_user_sgpr_dispatch_id 0
		.amdhsa_user_sgpr_kernarg_preload_length 0
		.amdhsa_user_sgpr_kernarg_preload_offset 0
		.amdhsa_user_sgpr_private_segment_size 0
		.amdhsa_uses_dynamic_stack 0
		.amdhsa_enable_private_segment 0
		.amdhsa_system_sgpr_workgroup_id_x 1
		.amdhsa_system_sgpr_workgroup_id_y 0
		.amdhsa_system_sgpr_workgroup_id_z 0
		.amdhsa_system_sgpr_workgroup_info 0
		.amdhsa_system_vgpr_workitem_id 0
		.amdhsa_next_free_vgpr 1
		.amdhsa_next_free_sgpr 0
		.amdhsa_accum_offset 4
		.amdhsa_reserve_vcc 0
		.amdhsa_float_round_mode_32 0
		.amdhsa_float_round_mode_16_64 0
		.amdhsa_float_denorm_mode_32 3
		.amdhsa_float_denorm_mode_16_64 3
		.amdhsa_dx10_clamp 1
		.amdhsa_ieee_mode 1
		.amdhsa_fp16_overflow 0
		.amdhsa_tg_split 0
		.amdhsa_exception_fp_ieee_invalid_op 0
		.amdhsa_exception_fp_denorm_src 0
		.amdhsa_exception_fp_ieee_div_zero 0
		.amdhsa_exception_fp_ieee_overflow 0
		.amdhsa_exception_fp_ieee_underflow 0
		.amdhsa_exception_fp_ieee_inexact 0
		.amdhsa_exception_int_div_zero 0
	.end_amdhsa_kernel
	.section	.text._ZN7rocprim17ROCPRIM_400000_NS6detail17trampoline_kernelINS0_14default_configENS1_35adjacent_difference_config_selectorILb1EdEEZNS1_24adjacent_difference_implIS3_Lb1ELb0EPdN6thrust23THRUST_200600_302600_NS16discard_iteratorINS9_11use_defaultEEENS9_5minusIdEEEE10hipError_tPvRmT2_T3_mT4_P12ihipStream_tbEUlT_E_NS1_11comp_targetILNS1_3genE9ELNS1_11target_archE1100ELNS1_3gpuE3ELNS1_3repE0EEENS1_30default_config_static_selectorELNS0_4arch9wavefront6targetE1EEEvT1_,"axG",@progbits,_ZN7rocprim17ROCPRIM_400000_NS6detail17trampoline_kernelINS0_14default_configENS1_35adjacent_difference_config_selectorILb1EdEEZNS1_24adjacent_difference_implIS3_Lb1ELb0EPdN6thrust23THRUST_200600_302600_NS16discard_iteratorINS9_11use_defaultEEENS9_5minusIdEEEE10hipError_tPvRmT2_T3_mT4_P12ihipStream_tbEUlT_E_NS1_11comp_targetILNS1_3genE9ELNS1_11target_archE1100ELNS1_3gpuE3ELNS1_3repE0EEENS1_30default_config_static_selectorELNS0_4arch9wavefront6targetE1EEEvT1_,comdat
.Lfunc_end800:
	.size	_ZN7rocprim17ROCPRIM_400000_NS6detail17trampoline_kernelINS0_14default_configENS1_35adjacent_difference_config_selectorILb1EdEEZNS1_24adjacent_difference_implIS3_Lb1ELb0EPdN6thrust23THRUST_200600_302600_NS16discard_iteratorINS9_11use_defaultEEENS9_5minusIdEEEE10hipError_tPvRmT2_T3_mT4_P12ihipStream_tbEUlT_E_NS1_11comp_targetILNS1_3genE9ELNS1_11target_archE1100ELNS1_3gpuE3ELNS1_3repE0EEENS1_30default_config_static_selectorELNS0_4arch9wavefront6targetE1EEEvT1_, .Lfunc_end800-_ZN7rocprim17ROCPRIM_400000_NS6detail17trampoline_kernelINS0_14default_configENS1_35adjacent_difference_config_selectorILb1EdEEZNS1_24adjacent_difference_implIS3_Lb1ELb0EPdN6thrust23THRUST_200600_302600_NS16discard_iteratorINS9_11use_defaultEEENS9_5minusIdEEEE10hipError_tPvRmT2_T3_mT4_P12ihipStream_tbEUlT_E_NS1_11comp_targetILNS1_3genE9ELNS1_11target_archE1100ELNS1_3gpuE3ELNS1_3repE0EEENS1_30default_config_static_selectorELNS0_4arch9wavefront6targetE1EEEvT1_
                                        ; -- End function
	.section	.AMDGPU.csdata,"",@progbits
; Kernel info:
; codeLenInByte = 0
; NumSgprs: 6
; NumVgprs: 0
; NumAgprs: 0
; TotalNumVgprs: 0
; ScratchSize: 0
; MemoryBound: 0
; FloatMode: 240
; IeeeMode: 1
; LDSByteSize: 0 bytes/workgroup (compile time only)
; SGPRBlocks: 0
; VGPRBlocks: 0
; NumSGPRsForWavesPerEU: 6
; NumVGPRsForWavesPerEU: 1
; AccumOffset: 4
; Occupancy: 8
; WaveLimiterHint : 0
; COMPUTE_PGM_RSRC2:SCRATCH_EN: 0
; COMPUTE_PGM_RSRC2:USER_SGPR: 2
; COMPUTE_PGM_RSRC2:TRAP_HANDLER: 0
; COMPUTE_PGM_RSRC2:TGID_X_EN: 1
; COMPUTE_PGM_RSRC2:TGID_Y_EN: 0
; COMPUTE_PGM_RSRC2:TGID_Z_EN: 0
; COMPUTE_PGM_RSRC2:TIDIG_COMP_CNT: 0
; COMPUTE_PGM_RSRC3_GFX90A:ACCUM_OFFSET: 0
; COMPUTE_PGM_RSRC3_GFX90A:TG_SPLIT: 0
	.section	.text._ZN7rocprim17ROCPRIM_400000_NS6detail17trampoline_kernelINS0_14default_configENS1_35adjacent_difference_config_selectorILb1EdEEZNS1_24adjacent_difference_implIS3_Lb1ELb0EPdN6thrust23THRUST_200600_302600_NS16discard_iteratorINS9_11use_defaultEEENS9_5minusIdEEEE10hipError_tPvRmT2_T3_mT4_P12ihipStream_tbEUlT_E_NS1_11comp_targetILNS1_3genE8ELNS1_11target_archE1030ELNS1_3gpuE2ELNS1_3repE0EEENS1_30default_config_static_selectorELNS0_4arch9wavefront6targetE1EEEvT1_,"axG",@progbits,_ZN7rocprim17ROCPRIM_400000_NS6detail17trampoline_kernelINS0_14default_configENS1_35adjacent_difference_config_selectorILb1EdEEZNS1_24adjacent_difference_implIS3_Lb1ELb0EPdN6thrust23THRUST_200600_302600_NS16discard_iteratorINS9_11use_defaultEEENS9_5minusIdEEEE10hipError_tPvRmT2_T3_mT4_P12ihipStream_tbEUlT_E_NS1_11comp_targetILNS1_3genE8ELNS1_11target_archE1030ELNS1_3gpuE2ELNS1_3repE0EEENS1_30default_config_static_selectorELNS0_4arch9wavefront6targetE1EEEvT1_,comdat
	.protected	_ZN7rocprim17ROCPRIM_400000_NS6detail17trampoline_kernelINS0_14default_configENS1_35adjacent_difference_config_selectorILb1EdEEZNS1_24adjacent_difference_implIS3_Lb1ELb0EPdN6thrust23THRUST_200600_302600_NS16discard_iteratorINS9_11use_defaultEEENS9_5minusIdEEEE10hipError_tPvRmT2_T3_mT4_P12ihipStream_tbEUlT_E_NS1_11comp_targetILNS1_3genE8ELNS1_11target_archE1030ELNS1_3gpuE2ELNS1_3repE0EEENS1_30default_config_static_selectorELNS0_4arch9wavefront6targetE1EEEvT1_ ; -- Begin function _ZN7rocprim17ROCPRIM_400000_NS6detail17trampoline_kernelINS0_14default_configENS1_35adjacent_difference_config_selectorILb1EdEEZNS1_24adjacent_difference_implIS3_Lb1ELb0EPdN6thrust23THRUST_200600_302600_NS16discard_iteratorINS9_11use_defaultEEENS9_5minusIdEEEE10hipError_tPvRmT2_T3_mT4_P12ihipStream_tbEUlT_E_NS1_11comp_targetILNS1_3genE8ELNS1_11target_archE1030ELNS1_3gpuE2ELNS1_3repE0EEENS1_30default_config_static_selectorELNS0_4arch9wavefront6targetE1EEEvT1_
	.globl	_ZN7rocprim17ROCPRIM_400000_NS6detail17trampoline_kernelINS0_14default_configENS1_35adjacent_difference_config_selectorILb1EdEEZNS1_24adjacent_difference_implIS3_Lb1ELb0EPdN6thrust23THRUST_200600_302600_NS16discard_iteratorINS9_11use_defaultEEENS9_5minusIdEEEE10hipError_tPvRmT2_T3_mT4_P12ihipStream_tbEUlT_E_NS1_11comp_targetILNS1_3genE8ELNS1_11target_archE1030ELNS1_3gpuE2ELNS1_3repE0EEENS1_30default_config_static_selectorELNS0_4arch9wavefront6targetE1EEEvT1_
	.p2align	8
	.type	_ZN7rocprim17ROCPRIM_400000_NS6detail17trampoline_kernelINS0_14default_configENS1_35adjacent_difference_config_selectorILb1EdEEZNS1_24adjacent_difference_implIS3_Lb1ELb0EPdN6thrust23THRUST_200600_302600_NS16discard_iteratorINS9_11use_defaultEEENS9_5minusIdEEEE10hipError_tPvRmT2_T3_mT4_P12ihipStream_tbEUlT_E_NS1_11comp_targetILNS1_3genE8ELNS1_11target_archE1030ELNS1_3gpuE2ELNS1_3repE0EEENS1_30default_config_static_selectorELNS0_4arch9wavefront6targetE1EEEvT1_,@function
_ZN7rocprim17ROCPRIM_400000_NS6detail17trampoline_kernelINS0_14default_configENS1_35adjacent_difference_config_selectorILb1EdEEZNS1_24adjacent_difference_implIS3_Lb1ELb0EPdN6thrust23THRUST_200600_302600_NS16discard_iteratorINS9_11use_defaultEEENS9_5minusIdEEEE10hipError_tPvRmT2_T3_mT4_P12ihipStream_tbEUlT_E_NS1_11comp_targetILNS1_3genE8ELNS1_11target_archE1030ELNS1_3gpuE2ELNS1_3repE0EEENS1_30default_config_static_selectorELNS0_4arch9wavefront6targetE1EEEvT1_: ; @_ZN7rocprim17ROCPRIM_400000_NS6detail17trampoline_kernelINS0_14default_configENS1_35adjacent_difference_config_selectorILb1EdEEZNS1_24adjacent_difference_implIS3_Lb1ELb0EPdN6thrust23THRUST_200600_302600_NS16discard_iteratorINS9_11use_defaultEEENS9_5minusIdEEEE10hipError_tPvRmT2_T3_mT4_P12ihipStream_tbEUlT_E_NS1_11comp_targetILNS1_3genE8ELNS1_11target_archE1030ELNS1_3gpuE2ELNS1_3repE0EEENS1_30default_config_static_selectorELNS0_4arch9wavefront6targetE1EEEvT1_
; %bb.0:
	.section	.rodata,"a",@progbits
	.p2align	6, 0x0
	.amdhsa_kernel _ZN7rocprim17ROCPRIM_400000_NS6detail17trampoline_kernelINS0_14default_configENS1_35adjacent_difference_config_selectorILb1EdEEZNS1_24adjacent_difference_implIS3_Lb1ELb0EPdN6thrust23THRUST_200600_302600_NS16discard_iteratorINS9_11use_defaultEEENS9_5minusIdEEEE10hipError_tPvRmT2_T3_mT4_P12ihipStream_tbEUlT_E_NS1_11comp_targetILNS1_3genE8ELNS1_11target_archE1030ELNS1_3gpuE2ELNS1_3repE0EEENS1_30default_config_static_selectorELNS0_4arch9wavefront6targetE1EEEvT1_
		.amdhsa_group_segment_fixed_size 0
		.amdhsa_private_segment_fixed_size 0
		.amdhsa_kernarg_size 64
		.amdhsa_user_sgpr_count 2
		.amdhsa_user_sgpr_dispatch_ptr 0
		.amdhsa_user_sgpr_queue_ptr 0
		.amdhsa_user_sgpr_kernarg_segment_ptr 1
		.amdhsa_user_sgpr_dispatch_id 0
		.amdhsa_user_sgpr_kernarg_preload_length 0
		.amdhsa_user_sgpr_kernarg_preload_offset 0
		.amdhsa_user_sgpr_private_segment_size 0
		.amdhsa_uses_dynamic_stack 0
		.amdhsa_enable_private_segment 0
		.amdhsa_system_sgpr_workgroup_id_x 1
		.amdhsa_system_sgpr_workgroup_id_y 0
		.amdhsa_system_sgpr_workgroup_id_z 0
		.amdhsa_system_sgpr_workgroup_info 0
		.amdhsa_system_vgpr_workitem_id 0
		.amdhsa_next_free_vgpr 1
		.amdhsa_next_free_sgpr 0
		.amdhsa_accum_offset 4
		.amdhsa_reserve_vcc 0
		.amdhsa_float_round_mode_32 0
		.amdhsa_float_round_mode_16_64 0
		.amdhsa_float_denorm_mode_32 3
		.amdhsa_float_denorm_mode_16_64 3
		.amdhsa_dx10_clamp 1
		.amdhsa_ieee_mode 1
		.amdhsa_fp16_overflow 0
		.amdhsa_tg_split 0
		.amdhsa_exception_fp_ieee_invalid_op 0
		.amdhsa_exception_fp_denorm_src 0
		.amdhsa_exception_fp_ieee_div_zero 0
		.amdhsa_exception_fp_ieee_overflow 0
		.amdhsa_exception_fp_ieee_underflow 0
		.amdhsa_exception_fp_ieee_inexact 0
		.amdhsa_exception_int_div_zero 0
	.end_amdhsa_kernel
	.section	.text._ZN7rocprim17ROCPRIM_400000_NS6detail17trampoline_kernelINS0_14default_configENS1_35adjacent_difference_config_selectorILb1EdEEZNS1_24adjacent_difference_implIS3_Lb1ELb0EPdN6thrust23THRUST_200600_302600_NS16discard_iteratorINS9_11use_defaultEEENS9_5minusIdEEEE10hipError_tPvRmT2_T3_mT4_P12ihipStream_tbEUlT_E_NS1_11comp_targetILNS1_3genE8ELNS1_11target_archE1030ELNS1_3gpuE2ELNS1_3repE0EEENS1_30default_config_static_selectorELNS0_4arch9wavefront6targetE1EEEvT1_,"axG",@progbits,_ZN7rocprim17ROCPRIM_400000_NS6detail17trampoline_kernelINS0_14default_configENS1_35adjacent_difference_config_selectorILb1EdEEZNS1_24adjacent_difference_implIS3_Lb1ELb0EPdN6thrust23THRUST_200600_302600_NS16discard_iteratorINS9_11use_defaultEEENS9_5minusIdEEEE10hipError_tPvRmT2_T3_mT4_P12ihipStream_tbEUlT_E_NS1_11comp_targetILNS1_3genE8ELNS1_11target_archE1030ELNS1_3gpuE2ELNS1_3repE0EEENS1_30default_config_static_selectorELNS0_4arch9wavefront6targetE1EEEvT1_,comdat
.Lfunc_end801:
	.size	_ZN7rocprim17ROCPRIM_400000_NS6detail17trampoline_kernelINS0_14default_configENS1_35adjacent_difference_config_selectorILb1EdEEZNS1_24adjacent_difference_implIS3_Lb1ELb0EPdN6thrust23THRUST_200600_302600_NS16discard_iteratorINS9_11use_defaultEEENS9_5minusIdEEEE10hipError_tPvRmT2_T3_mT4_P12ihipStream_tbEUlT_E_NS1_11comp_targetILNS1_3genE8ELNS1_11target_archE1030ELNS1_3gpuE2ELNS1_3repE0EEENS1_30default_config_static_selectorELNS0_4arch9wavefront6targetE1EEEvT1_, .Lfunc_end801-_ZN7rocprim17ROCPRIM_400000_NS6detail17trampoline_kernelINS0_14default_configENS1_35adjacent_difference_config_selectorILb1EdEEZNS1_24adjacent_difference_implIS3_Lb1ELb0EPdN6thrust23THRUST_200600_302600_NS16discard_iteratorINS9_11use_defaultEEENS9_5minusIdEEEE10hipError_tPvRmT2_T3_mT4_P12ihipStream_tbEUlT_E_NS1_11comp_targetILNS1_3genE8ELNS1_11target_archE1030ELNS1_3gpuE2ELNS1_3repE0EEENS1_30default_config_static_selectorELNS0_4arch9wavefront6targetE1EEEvT1_
                                        ; -- End function
	.section	.AMDGPU.csdata,"",@progbits
; Kernel info:
; codeLenInByte = 0
; NumSgprs: 6
; NumVgprs: 0
; NumAgprs: 0
; TotalNumVgprs: 0
; ScratchSize: 0
; MemoryBound: 0
; FloatMode: 240
; IeeeMode: 1
; LDSByteSize: 0 bytes/workgroup (compile time only)
; SGPRBlocks: 0
; VGPRBlocks: 0
; NumSGPRsForWavesPerEU: 6
; NumVGPRsForWavesPerEU: 1
; AccumOffset: 4
; Occupancy: 8
; WaveLimiterHint : 0
; COMPUTE_PGM_RSRC2:SCRATCH_EN: 0
; COMPUTE_PGM_RSRC2:USER_SGPR: 2
; COMPUTE_PGM_RSRC2:TRAP_HANDLER: 0
; COMPUTE_PGM_RSRC2:TGID_X_EN: 1
; COMPUTE_PGM_RSRC2:TGID_Y_EN: 0
; COMPUTE_PGM_RSRC2:TGID_Z_EN: 0
; COMPUTE_PGM_RSRC2:TIDIG_COMP_CNT: 0
; COMPUTE_PGM_RSRC3_GFX90A:ACCUM_OFFSET: 0
; COMPUTE_PGM_RSRC3_GFX90A:TG_SPLIT: 0
	.section	.text._ZN6thrust23THRUST_200600_302600_NS11hip_rocprim14__parallel_for6kernelILj256ENS1_20__uninitialized_fill7functorINS0_10device_ptrIiEEiEEmLj1EEEvT0_T1_SA_,"axG",@progbits,_ZN6thrust23THRUST_200600_302600_NS11hip_rocprim14__parallel_for6kernelILj256ENS1_20__uninitialized_fill7functorINS0_10device_ptrIiEEiEEmLj1EEEvT0_T1_SA_,comdat
	.protected	_ZN6thrust23THRUST_200600_302600_NS11hip_rocprim14__parallel_for6kernelILj256ENS1_20__uninitialized_fill7functorINS0_10device_ptrIiEEiEEmLj1EEEvT0_T1_SA_ ; -- Begin function _ZN6thrust23THRUST_200600_302600_NS11hip_rocprim14__parallel_for6kernelILj256ENS1_20__uninitialized_fill7functorINS0_10device_ptrIiEEiEEmLj1EEEvT0_T1_SA_
	.globl	_ZN6thrust23THRUST_200600_302600_NS11hip_rocprim14__parallel_for6kernelILj256ENS1_20__uninitialized_fill7functorINS0_10device_ptrIiEEiEEmLj1EEEvT0_T1_SA_
	.p2align	8
	.type	_ZN6thrust23THRUST_200600_302600_NS11hip_rocprim14__parallel_for6kernelILj256ENS1_20__uninitialized_fill7functorINS0_10device_ptrIiEEiEEmLj1EEEvT0_T1_SA_,@function
_ZN6thrust23THRUST_200600_302600_NS11hip_rocprim14__parallel_for6kernelILj256ENS1_20__uninitialized_fill7functorINS0_10device_ptrIiEEiEEmLj1EEEvT0_T1_SA_: ; @_ZN6thrust23THRUST_200600_302600_NS11hip_rocprim14__parallel_for6kernelILj256ENS1_20__uninitialized_fill7functorINS0_10device_ptrIiEEiEEmLj1EEEvT0_T1_SA_
; %bb.0:
	s_load_dwordx4 s[4:7], s[0:1], 0x10
	s_lshl_b32 s2, s2, 8
	v_mov_b64_e32 v[2:3], 0x100
	s_waitcnt lgkmcnt(0)
	s_add_u32 s2, s2, s6
	s_addc_u32 s3, 0, s7
	s_sub_u32 s4, s4, s2
	s_subb_u32 s5, s5, s3
	v_cmp_lt_u64_e32 vcc, s[4:5], v[2:3]
	s_cbranch_vccz .LBB802_2
; %bb.1:
	v_cmp_gt_u32_e32 vcc, s4, v0
	s_and_b64 s[4:5], vcc, exec
	s_cbranch_execz .LBB802_3
	s_branch .LBB802_4
.LBB802_2:
	s_mov_b64 s[4:5], 0
.LBB802_3:
	s_or_b64 s[4:5], s[4:5], exec
.LBB802_4:
	s_and_saveexec_b64 s[6:7], s[4:5]
	s_cbranch_execnz .LBB802_6
; %bb.5:
	s_endpgm
.LBB802_6:
	s_load_dwordx2 s[4:5], s[0:1], 0x0
	s_load_dword s6, s[0:1], 0x8
	s_lshl_b64 s[0:1], s[2:3], 2
	v_mov_b32_e32 v1, 0
	s_waitcnt lgkmcnt(0)
	s_add_u32 s0, s4, s0
	s_addc_u32 s1, s5, s1
	v_lshl_add_u64 v[0:1], v[0:1], 2, s[0:1]
	v_mov_b32_e32 v2, s6
	flat_store_dword v[0:1], v2
	s_endpgm
	.section	.rodata,"a",@progbits
	.p2align	6, 0x0
	.amdhsa_kernel _ZN6thrust23THRUST_200600_302600_NS11hip_rocprim14__parallel_for6kernelILj256ENS1_20__uninitialized_fill7functorINS0_10device_ptrIiEEiEEmLj1EEEvT0_T1_SA_
		.amdhsa_group_segment_fixed_size 0
		.amdhsa_private_segment_fixed_size 0
		.amdhsa_kernarg_size 32
		.amdhsa_user_sgpr_count 2
		.amdhsa_user_sgpr_dispatch_ptr 0
		.amdhsa_user_sgpr_queue_ptr 0
		.amdhsa_user_sgpr_kernarg_segment_ptr 1
		.amdhsa_user_sgpr_dispatch_id 0
		.amdhsa_user_sgpr_kernarg_preload_length 0
		.amdhsa_user_sgpr_kernarg_preload_offset 0
		.amdhsa_user_sgpr_private_segment_size 0
		.amdhsa_uses_dynamic_stack 0
		.amdhsa_enable_private_segment 0
		.amdhsa_system_sgpr_workgroup_id_x 1
		.amdhsa_system_sgpr_workgroup_id_y 0
		.amdhsa_system_sgpr_workgroup_id_z 0
		.amdhsa_system_sgpr_workgroup_info 0
		.amdhsa_system_vgpr_workitem_id 0
		.amdhsa_next_free_vgpr 4
		.amdhsa_next_free_sgpr 8
		.amdhsa_accum_offset 4
		.amdhsa_reserve_vcc 1
		.amdhsa_float_round_mode_32 0
		.amdhsa_float_round_mode_16_64 0
		.amdhsa_float_denorm_mode_32 3
		.amdhsa_float_denorm_mode_16_64 3
		.amdhsa_dx10_clamp 1
		.amdhsa_ieee_mode 1
		.amdhsa_fp16_overflow 0
		.amdhsa_tg_split 0
		.amdhsa_exception_fp_ieee_invalid_op 0
		.amdhsa_exception_fp_denorm_src 0
		.amdhsa_exception_fp_ieee_div_zero 0
		.amdhsa_exception_fp_ieee_overflow 0
		.amdhsa_exception_fp_ieee_underflow 0
		.amdhsa_exception_fp_ieee_inexact 0
		.amdhsa_exception_int_div_zero 0
	.end_amdhsa_kernel
	.section	.text._ZN6thrust23THRUST_200600_302600_NS11hip_rocprim14__parallel_for6kernelILj256ENS1_20__uninitialized_fill7functorINS0_10device_ptrIiEEiEEmLj1EEEvT0_T1_SA_,"axG",@progbits,_ZN6thrust23THRUST_200600_302600_NS11hip_rocprim14__parallel_for6kernelILj256ENS1_20__uninitialized_fill7functorINS0_10device_ptrIiEEiEEmLj1EEEvT0_T1_SA_,comdat
.Lfunc_end802:
	.size	_ZN6thrust23THRUST_200600_302600_NS11hip_rocprim14__parallel_for6kernelILj256ENS1_20__uninitialized_fill7functorINS0_10device_ptrIiEEiEEmLj1EEEvT0_T1_SA_, .Lfunc_end802-_ZN6thrust23THRUST_200600_302600_NS11hip_rocprim14__parallel_for6kernelILj256ENS1_20__uninitialized_fill7functorINS0_10device_ptrIiEEiEEmLj1EEEvT0_T1_SA_
                                        ; -- End function
	.section	.AMDGPU.csdata,"",@progbits
; Kernel info:
; codeLenInByte = 144
; NumSgprs: 14
; NumVgprs: 4
; NumAgprs: 0
; TotalNumVgprs: 4
; ScratchSize: 0
; MemoryBound: 0
; FloatMode: 240
; IeeeMode: 1
; LDSByteSize: 0 bytes/workgroup (compile time only)
; SGPRBlocks: 1
; VGPRBlocks: 0
; NumSGPRsForWavesPerEU: 14
; NumVGPRsForWavesPerEU: 4
; AccumOffset: 4
; Occupancy: 8
; WaveLimiterHint : 0
; COMPUTE_PGM_RSRC2:SCRATCH_EN: 0
; COMPUTE_PGM_RSRC2:USER_SGPR: 2
; COMPUTE_PGM_RSRC2:TRAP_HANDLER: 0
; COMPUTE_PGM_RSRC2:TGID_X_EN: 1
; COMPUTE_PGM_RSRC2:TGID_Y_EN: 0
; COMPUTE_PGM_RSRC2:TGID_Z_EN: 0
; COMPUTE_PGM_RSRC2:TIDIG_COMP_CNT: 0
; COMPUTE_PGM_RSRC3_GFX90A:ACCUM_OFFSET: 0
; COMPUTE_PGM_RSRC3_GFX90A:TG_SPLIT: 0
	.text
	.p2alignl 6, 3212836864
	.fill 256, 4, 3212836864
	.type	__hip_cuid_4ee3cbb54b4c6cba,@object ; @__hip_cuid_4ee3cbb54b4c6cba
	.section	.bss,"aw",@nobits
	.globl	__hip_cuid_4ee3cbb54b4c6cba
__hip_cuid_4ee3cbb54b4c6cba:
	.byte	0                               ; 0x0
	.size	__hip_cuid_4ee3cbb54b4c6cba, 1

	.ident	"AMD clang version 19.0.0git (https://github.com/RadeonOpenCompute/llvm-project roc-6.4.0 25133 c7fe45cf4b819c5991fe208aaa96edf142730f1d)"
	.section	".note.GNU-stack","",@progbits
	.addrsig
	.addrsig_sym __hip_cuid_4ee3cbb54b4c6cba
	.amdgpu_metadata
---
amdhsa.kernels:
  - .agpr_count:     0
    .args:
      - .offset:         0
        .size:           16
        .value_kind:     by_value
      - .offset:         16
        .size:           8
        .value_kind:     by_value
      - .offset:         24
        .size:           8
        .value_kind:     by_value
    .group_segment_fixed_size: 0
    .kernarg_segment_align: 8
    .kernarg_segment_size: 32
    .language:       OpenCL C
    .language_version:
      - 2
      - 0
    .max_flat_workgroup_size: 256
    .name:           _ZN6thrust23THRUST_200600_302600_NS11hip_rocprim14__parallel_for6kernelILj256ENS1_20__uninitialized_fill7functorINS0_10device_ptrIaEEaEEmLj1EEEvT0_T1_SA_
    .private_segment_fixed_size: 0
    .sgpr_count:     14
    .sgpr_spill_count: 0
    .symbol:         _ZN6thrust23THRUST_200600_302600_NS11hip_rocprim14__parallel_for6kernelILj256ENS1_20__uninitialized_fill7functorINS0_10device_ptrIaEEaEEmLj1EEEvT0_T1_SA_.kd
    .uniform_work_group_size: 1
    .uses_dynamic_stack: false
    .vgpr_count:     4
    .vgpr_spill_count: 0
    .wavefront_size: 64
  - .agpr_count:     0
    .args:
      - .offset:         0
        .size:           56
        .value_kind:     by_value
    .group_segment_fixed_size: 0
    .kernarg_segment_align: 8
    .kernarg_segment_size: 56
    .language:       OpenCL C
    .language_version:
      - 2
      - 0
    .max_flat_workgroup_size: 64
    .name:           _ZN7rocprim17ROCPRIM_400000_NS6detail17trampoline_kernelINS0_14default_configENS1_35adjacent_difference_config_selectorILb0EaEEZNS1_24adjacent_difference_implIS3_Lb0ELb0EPaS7_N6thrust23THRUST_200600_302600_NS5minusIaEEEE10hipError_tPvRmT2_T3_mT4_P12ihipStream_tbEUlT_E_NS1_11comp_targetILNS1_3genE0ELNS1_11target_archE4294967295ELNS1_3gpuE0ELNS1_3repE0EEENS1_30default_config_static_selectorELNS0_4arch9wavefront6targetE1EEEvT1_
    .private_segment_fixed_size: 0
    .sgpr_count:     6
    .sgpr_spill_count: 0
    .symbol:         _ZN7rocprim17ROCPRIM_400000_NS6detail17trampoline_kernelINS0_14default_configENS1_35adjacent_difference_config_selectorILb0EaEEZNS1_24adjacent_difference_implIS3_Lb0ELb0EPaS7_N6thrust23THRUST_200600_302600_NS5minusIaEEEE10hipError_tPvRmT2_T3_mT4_P12ihipStream_tbEUlT_E_NS1_11comp_targetILNS1_3genE0ELNS1_11target_archE4294967295ELNS1_3gpuE0ELNS1_3repE0EEENS1_30default_config_static_selectorELNS0_4arch9wavefront6targetE1EEEvT1_.kd
    .uniform_work_group_size: 1
    .uses_dynamic_stack: false
    .vgpr_count:     0
    .vgpr_spill_count: 0
    .wavefront_size: 64
  - .agpr_count:     0
    .args:
      - .offset:         0
        .size:           56
        .value_kind:     by_value
    .group_segment_fixed_size: 0
    .kernarg_segment_align: 8
    .kernarg_segment_size: 56
    .language:       OpenCL C
    .language_version:
      - 2
      - 0
    .max_flat_workgroup_size: 1024
    .name:           _ZN7rocprim17ROCPRIM_400000_NS6detail17trampoline_kernelINS0_14default_configENS1_35adjacent_difference_config_selectorILb0EaEEZNS1_24adjacent_difference_implIS3_Lb0ELb0EPaS7_N6thrust23THRUST_200600_302600_NS5minusIaEEEE10hipError_tPvRmT2_T3_mT4_P12ihipStream_tbEUlT_E_NS1_11comp_targetILNS1_3genE10ELNS1_11target_archE1201ELNS1_3gpuE5ELNS1_3repE0EEENS1_30default_config_static_selectorELNS0_4arch9wavefront6targetE1EEEvT1_
    .private_segment_fixed_size: 0
    .sgpr_count:     6
    .sgpr_spill_count: 0
    .symbol:         _ZN7rocprim17ROCPRIM_400000_NS6detail17trampoline_kernelINS0_14default_configENS1_35adjacent_difference_config_selectorILb0EaEEZNS1_24adjacent_difference_implIS3_Lb0ELb0EPaS7_N6thrust23THRUST_200600_302600_NS5minusIaEEEE10hipError_tPvRmT2_T3_mT4_P12ihipStream_tbEUlT_E_NS1_11comp_targetILNS1_3genE10ELNS1_11target_archE1201ELNS1_3gpuE5ELNS1_3repE0EEENS1_30default_config_static_selectorELNS0_4arch9wavefront6targetE1EEEvT1_.kd
    .uniform_work_group_size: 1
    .uses_dynamic_stack: false
    .vgpr_count:     0
    .vgpr_spill_count: 0
    .wavefront_size: 64
  - .agpr_count:     0
    .args:
      - .offset:         0
        .size:           56
        .value_kind:     by_value
    .group_segment_fixed_size: 2432
    .kernarg_segment_align: 8
    .kernarg_segment_size: 56
    .language:       OpenCL C
    .language_version:
      - 2
      - 0
    .max_flat_workgroup_size: 128
    .name:           _ZN7rocprim17ROCPRIM_400000_NS6detail17trampoline_kernelINS0_14default_configENS1_35adjacent_difference_config_selectorILb0EaEEZNS1_24adjacent_difference_implIS3_Lb0ELb0EPaS7_N6thrust23THRUST_200600_302600_NS5minusIaEEEE10hipError_tPvRmT2_T3_mT4_P12ihipStream_tbEUlT_E_NS1_11comp_targetILNS1_3genE5ELNS1_11target_archE942ELNS1_3gpuE9ELNS1_3repE0EEENS1_30default_config_static_selectorELNS0_4arch9wavefront6targetE1EEEvT1_
    .private_segment_fixed_size: 0
    .sgpr_count:     28
    .sgpr_spill_count: 0
    .symbol:         _ZN7rocprim17ROCPRIM_400000_NS6detail17trampoline_kernelINS0_14default_configENS1_35adjacent_difference_config_selectorILb0EaEEZNS1_24adjacent_difference_implIS3_Lb0ELb0EPaS7_N6thrust23THRUST_200600_302600_NS5minusIaEEEE10hipError_tPvRmT2_T3_mT4_P12ihipStream_tbEUlT_E_NS1_11comp_targetILNS1_3genE5ELNS1_11target_archE942ELNS1_3gpuE9ELNS1_3repE0EEENS1_30default_config_static_selectorELNS0_4arch9wavefront6targetE1EEEvT1_.kd
    .uniform_work_group_size: 1
    .uses_dynamic_stack: false
    .vgpr_count:     34
    .vgpr_spill_count: 0
    .wavefront_size: 64
  - .agpr_count:     0
    .args:
      - .offset:         0
        .size:           56
        .value_kind:     by_value
    .group_segment_fixed_size: 0
    .kernarg_segment_align: 8
    .kernarg_segment_size: 56
    .language:       OpenCL C
    .language_version:
      - 2
      - 0
    .max_flat_workgroup_size: 64
    .name:           _ZN7rocprim17ROCPRIM_400000_NS6detail17trampoline_kernelINS0_14default_configENS1_35adjacent_difference_config_selectorILb0EaEEZNS1_24adjacent_difference_implIS3_Lb0ELb0EPaS7_N6thrust23THRUST_200600_302600_NS5minusIaEEEE10hipError_tPvRmT2_T3_mT4_P12ihipStream_tbEUlT_E_NS1_11comp_targetILNS1_3genE4ELNS1_11target_archE910ELNS1_3gpuE8ELNS1_3repE0EEENS1_30default_config_static_selectorELNS0_4arch9wavefront6targetE1EEEvT1_
    .private_segment_fixed_size: 0
    .sgpr_count:     6
    .sgpr_spill_count: 0
    .symbol:         _ZN7rocprim17ROCPRIM_400000_NS6detail17trampoline_kernelINS0_14default_configENS1_35adjacent_difference_config_selectorILb0EaEEZNS1_24adjacent_difference_implIS3_Lb0ELb0EPaS7_N6thrust23THRUST_200600_302600_NS5minusIaEEEE10hipError_tPvRmT2_T3_mT4_P12ihipStream_tbEUlT_E_NS1_11comp_targetILNS1_3genE4ELNS1_11target_archE910ELNS1_3gpuE8ELNS1_3repE0EEENS1_30default_config_static_selectorELNS0_4arch9wavefront6targetE1EEEvT1_.kd
    .uniform_work_group_size: 1
    .uses_dynamic_stack: false
    .vgpr_count:     0
    .vgpr_spill_count: 0
    .wavefront_size: 64
  - .agpr_count:     0
    .args:
      - .offset:         0
        .size:           56
        .value_kind:     by_value
    .group_segment_fixed_size: 0
    .kernarg_segment_align: 8
    .kernarg_segment_size: 56
    .language:       OpenCL C
    .language_version:
      - 2
      - 0
    .max_flat_workgroup_size: 64
    .name:           _ZN7rocprim17ROCPRIM_400000_NS6detail17trampoline_kernelINS0_14default_configENS1_35adjacent_difference_config_selectorILb0EaEEZNS1_24adjacent_difference_implIS3_Lb0ELb0EPaS7_N6thrust23THRUST_200600_302600_NS5minusIaEEEE10hipError_tPvRmT2_T3_mT4_P12ihipStream_tbEUlT_E_NS1_11comp_targetILNS1_3genE3ELNS1_11target_archE908ELNS1_3gpuE7ELNS1_3repE0EEENS1_30default_config_static_selectorELNS0_4arch9wavefront6targetE1EEEvT1_
    .private_segment_fixed_size: 0
    .sgpr_count:     6
    .sgpr_spill_count: 0
    .symbol:         _ZN7rocprim17ROCPRIM_400000_NS6detail17trampoline_kernelINS0_14default_configENS1_35adjacent_difference_config_selectorILb0EaEEZNS1_24adjacent_difference_implIS3_Lb0ELb0EPaS7_N6thrust23THRUST_200600_302600_NS5minusIaEEEE10hipError_tPvRmT2_T3_mT4_P12ihipStream_tbEUlT_E_NS1_11comp_targetILNS1_3genE3ELNS1_11target_archE908ELNS1_3gpuE7ELNS1_3repE0EEENS1_30default_config_static_selectorELNS0_4arch9wavefront6targetE1EEEvT1_.kd
    .uniform_work_group_size: 1
    .uses_dynamic_stack: false
    .vgpr_count:     0
    .vgpr_spill_count: 0
    .wavefront_size: 64
  - .agpr_count:     0
    .args:
      - .offset:         0
        .size:           56
        .value_kind:     by_value
    .group_segment_fixed_size: 0
    .kernarg_segment_align: 8
    .kernarg_segment_size: 56
    .language:       OpenCL C
    .language_version:
      - 2
      - 0
    .max_flat_workgroup_size: 64
    .name:           _ZN7rocprim17ROCPRIM_400000_NS6detail17trampoline_kernelINS0_14default_configENS1_35adjacent_difference_config_selectorILb0EaEEZNS1_24adjacent_difference_implIS3_Lb0ELb0EPaS7_N6thrust23THRUST_200600_302600_NS5minusIaEEEE10hipError_tPvRmT2_T3_mT4_P12ihipStream_tbEUlT_E_NS1_11comp_targetILNS1_3genE2ELNS1_11target_archE906ELNS1_3gpuE6ELNS1_3repE0EEENS1_30default_config_static_selectorELNS0_4arch9wavefront6targetE1EEEvT1_
    .private_segment_fixed_size: 0
    .sgpr_count:     6
    .sgpr_spill_count: 0
    .symbol:         _ZN7rocprim17ROCPRIM_400000_NS6detail17trampoline_kernelINS0_14default_configENS1_35adjacent_difference_config_selectorILb0EaEEZNS1_24adjacent_difference_implIS3_Lb0ELb0EPaS7_N6thrust23THRUST_200600_302600_NS5minusIaEEEE10hipError_tPvRmT2_T3_mT4_P12ihipStream_tbEUlT_E_NS1_11comp_targetILNS1_3genE2ELNS1_11target_archE906ELNS1_3gpuE6ELNS1_3repE0EEENS1_30default_config_static_selectorELNS0_4arch9wavefront6targetE1EEEvT1_.kd
    .uniform_work_group_size: 1
    .uses_dynamic_stack: false
    .vgpr_count:     0
    .vgpr_spill_count: 0
    .wavefront_size: 64
  - .agpr_count:     0
    .args:
      - .offset:         0
        .size:           56
        .value_kind:     by_value
    .group_segment_fixed_size: 0
    .kernarg_segment_align: 8
    .kernarg_segment_size: 56
    .language:       OpenCL C
    .language_version:
      - 2
      - 0
    .max_flat_workgroup_size: 64
    .name:           _ZN7rocprim17ROCPRIM_400000_NS6detail17trampoline_kernelINS0_14default_configENS1_35adjacent_difference_config_selectorILb0EaEEZNS1_24adjacent_difference_implIS3_Lb0ELb0EPaS7_N6thrust23THRUST_200600_302600_NS5minusIaEEEE10hipError_tPvRmT2_T3_mT4_P12ihipStream_tbEUlT_E_NS1_11comp_targetILNS1_3genE9ELNS1_11target_archE1100ELNS1_3gpuE3ELNS1_3repE0EEENS1_30default_config_static_selectorELNS0_4arch9wavefront6targetE1EEEvT1_
    .private_segment_fixed_size: 0
    .sgpr_count:     6
    .sgpr_spill_count: 0
    .symbol:         _ZN7rocprim17ROCPRIM_400000_NS6detail17trampoline_kernelINS0_14default_configENS1_35adjacent_difference_config_selectorILb0EaEEZNS1_24adjacent_difference_implIS3_Lb0ELb0EPaS7_N6thrust23THRUST_200600_302600_NS5minusIaEEEE10hipError_tPvRmT2_T3_mT4_P12ihipStream_tbEUlT_E_NS1_11comp_targetILNS1_3genE9ELNS1_11target_archE1100ELNS1_3gpuE3ELNS1_3repE0EEENS1_30default_config_static_selectorELNS0_4arch9wavefront6targetE1EEEvT1_.kd
    .uniform_work_group_size: 1
    .uses_dynamic_stack: false
    .vgpr_count:     0
    .vgpr_spill_count: 0
    .wavefront_size: 64
  - .agpr_count:     0
    .args:
      - .offset:         0
        .size:           56
        .value_kind:     by_value
    .group_segment_fixed_size: 0
    .kernarg_segment_align: 8
    .kernarg_segment_size: 56
    .language:       OpenCL C
    .language_version:
      - 2
      - 0
    .max_flat_workgroup_size: 64
    .name:           _ZN7rocprim17ROCPRIM_400000_NS6detail17trampoline_kernelINS0_14default_configENS1_35adjacent_difference_config_selectorILb0EaEEZNS1_24adjacent_difference_implIS3_Lb0ELb0EPaS7_N6thrust23THRUST_200600_302600_NS5minusIaEEEE10hipError_tPvRmT2_T3_mT4_P12ihipStream_tbEUlT_E_NS1_11comp_targetILNS1_3genE8ELNS1_11target_archE1030ELNS1_3gpuE2ELNS1_3repE0EEENS1_30default_config_static_selectorELNS0_4arch9wavefront6targetE1EEEvT1_
    .private_segment_fixed_size: 0
    .sgpr_count:     6
    .sgpr_spill_count: 0
    .symbol:         _ZN7rocprim17ROCPRIM_400000_NS6detail17trampoline_kernelINS0_14default_configENS1_35adjacent_difference_config_selectorILb0EaEEZNS1_24adjacent_difference_implIS3_Lb0ELb0EPaS7_N6thrust23THRUST_200600_302600_NS5minusIaEEEE10hipError_tPvRmT2_T3_mT4_P12ihipStream_tbEUlT_E_NS1_11comp_targetILNS1_3genE8ELNS1_11target_archE1030ELNS1_3gpuE2ELNS1_3repE0EEENS1_30default_config_static_selectorELNS0_4arch9wavefront6targetE1EEEvT1_.kd
    .uniform_work_group_size: 1
    .uses_dynamic_stack: false
    .vgpr_count:     0
    .vgpr_spill_count: 0
    .wavefront_size: 64
  - .agpr_count:     0
    .args:
      - .offset:         0
        .size:           56
        .value_kind:     by_value
    .group_segment_fixed_size: 0
    .kernarg_segment_align: 8
    .kernarg_segment_size: 56
    .language:       OpenCL C
    .language_version:
      - 2
      - 0
    .max_flat_workgroup_size: 128
    .name:           _ZN7rocprim17ROCPRIM_400000_NS6detail17trampoline_kernelINS0_14default_configENS1_25transform_config_selectorIaLb0EEEZNS1_14transform_implILb0ES3_S5_NS0_18transform_iteratorINS0_17counting_iteratorImlEEZNS1_24adjacent_difference_implIS3_Lb1ELb0EPaSB_N6thrust23THRUST_200600_302600_NS5minusIaEEEE10hipError_tPvRmT2_T3_mT4_P12ihipStream_tbEUlmE_aEESB_NS0_8identityIvEEEESG_SJ_SK_mSL_SN_bEUlT_E_NS1_11comp_targetILNS1_3genE0ELNS1_11target_archE4294967295ELNS1_3gpuE0ELNS1_3repE0EEENS1_30default_config_static_selectorELNS0_4arch9wavefront6targetE1EEEvT1_
    .private_segment_fixed_size: 0
    .sgpr_count:     6
    .sgpr_spill_count: 0
    .symbol:         _ZN7rocprim17ROCPRIM_400000_NS6detail17trampoline_kernelINS0_14default_configENS1_25transform_config_selectorIaLb0EEEZNS1_14transform_implILb0ES3_S5_NS0_18transform_iteratorINS0_17counting_iteratorImlEEZNS1_24adjacent_difference_implIS3_Lb1ELb0EPaSB_N6thrust23THRUST_200600_302600_NS5minusIaEEEE10hipError_tPvRmT2_T3_mT4_P12ihipStream_tbEUlmE_aEESB_NS0_8identityIvEEEESG_SJ_SK_mSL_SN_bEUlT_E_NS1_11comp_targetILNS1_3genE0ELNS1_11target_archE4294967295ELNS1_3gpuE0ELNS1_3repE0EEENS1_30default_config_static_selectorELNS0_4arch9wavefront6targetE1EEEvT1_.kd
    .uniform_work_group_size: 1
    .uses_dynamic_stack: false
    .vgpr_count:     0
    .vgpr_spill_count: 0
    .wavefront_size: 64
  - .agpr_count:     0
    .args:
      - .offset:         0
        .size:           56
        .value_kind:     by_value
      - .offset:         56
        .size:           4
        .value_kind:     hidden_block_count_x
      - .offset:         60
        .size:           4
        .value_kind:     hidden_block_count_y
      - .offset:         64
        .size:           4
        .value_kind:     hidden_block_count_z
      - .offset:         68
        .size:           2
        .value_kind:     hidden_group_size_x
      - .offset:         70
        .size:           2
        .value_kind:     hidden_group_size_y
      - .offset:         72
        .size:           2
        .value_kind:     hidden_group_size_z
      - .offset:         74
        .size:           2
        .value_kind:     hidden_remainder_x
      - .offset:         76
        .size:           2
        .value_kind:     hidden_remainder_y
      - .offset:         78
        .size:           2
        .value_kind:     hidden_remainder_z
      - .offset:         96
        .size:           8
        .value_kind:     hidden_global_offset_x
      - .offset:         104
        .size:           8
        .value_kind:     hidden_global_offset_y
      - .offset:         112
        .size:           8
        .value_kind:     hidden_global_offset_z
      - .offset:         120
        .size:           2
        .value_kind:     hidden_grid_dims
    .group_segment_fixed_size: 0
    .kernarg_segment_align: 8
    .kernarg_segment_size: 312
    .language:       OpenCL C
    .language_version:
      - 2
      - 0
    .max_flat_workgroup_size: 1024
    .name:           _ZN7rocprim17ROCPRIM_400000_NS6detail17trampoline_kernelINS0_14default_configENS1_25transform_config_selectorIaLb0EEEZNS1_14transform_implILb0ES3_S5_NS0_18transform_iteratorINS0_17counting_iteratorImlEEZNS1_24adjacent_difference_implIS3_Lb1ELb0EPaSB_N6thrust23THRUST_200600_302600_NS5minusIaEEEE10hipError_tPvRmT2_T3_mT4_P12ihipStream_tbEUlmE_aEESB_NS0_8identityIvEEEESG_SJ_SK_mSL_SN_bEUlT_E_NS1_11comp_targetILNS1_3genE5ELNS1_11target_archE942ELNS1_3gpuE9ELNS1_3repE0EEENS1_30default_config_static_selectorELNS0_4arch9wavefront6targetE1EEEvT1_
    .private_segment_fixed_size: 0
    .sgpr_count:     33
    .sgpr_spill_count: 0
    .symbol:         _ZN7rocprim17ROCPRIM_400000_NS6detail17trampoline_kernelINS0_14default_configENS1_25transform_config_selectorIaLb0EEEZNS1_14transform_implILb0ES3_S5_NS0_18transform_iteratorINS0_17counting_iteratorImlEEZNS1_24adjacent_difference_implIS3_Lb1ELb0EPaSB_N6thrust23THRUST_200600_302600_NS5minusIaEEEE10hipError_tPvRmT2_T3_mT4_P12ihipStream_tbEUlmE_aEESB_NS0_8identityIvEEEESG_SJ_SK_mSL_SN_bEUlT_E_NS1_11comp_targetILNS1_3genE5ELNS1_11target_archE942ELNS1_3gpuE9ELNS1_3repE0EEENS1_30default_config_static_selectorELNS0_4arch9wavefront6targetE1EEEvT1_.kd
    .uniform_work_group_size: 1
    .uses_dynamic_stack: false
    .vgpr_count:     15
    .vgpr_spill_count: 0
    .wavefront_size: 64
  - .agpr_count:     0
    .args:
      - .offset:         0
        .size:           56
        .value_kind:     by_value
    .group_segment_fixed_size: 0
    .kernarg_segment_align: 8
    .kernarg_segment_size: 56
    .language:       OpenCL C
    .language_version:
      - 2
      - 0
    .max_flat_workgroup_size: 64
    .name:           _ZN7rocprim17ROCPRIM_400000_NS6detail17trampoline_kernelINS0_14default_configENS1_25transform_config_selectorIaLb0EEEZNS1_14transform_implILb0ES3_S5_NS0_18transform_iteratorINS0_17counting_iteratorImlEEZNS1_24adjacent_difference_implIS3_Lb1ELb0EPaSB_N6thrust23THRUST_200600_302600_NS5minusIaEEEE10hipError_tPvRmT2_T3_mT4_P12ihipStream_tbEUlmE_aEESB_NS0_8identityIvEEEESG_SJ_SK_mSL_SN_bEUlT_E_NS1_11comp_targetILNS1_3genE4ELNS1_11target_archE910ELNS1_3gpuE8ELNS1_3repE0EEENS1_30default_config_static_selectorELNS0_4arch9wavefront6targetE1EEEvT1_
    .private_segment_fixed_size: 0
    .sgpr_count:     6
    .sgpr_spill_count: 0
    .symbol:         _ZN7rocprim17ROCPRIM_400000_NS6detail17trampoline_kernelINS0_14default_configENS1_25transform_config_selectorIaLb0EEEZNS1_14transform_implILb0ES3_S5_NS0_18transform_iteratorINS0_17counting_iteratorImlEEZNS1_24adjacent_difference_implIS3_Lb1ELb0EPaSB_N6thrust23THRUST_200600_302600_NS5minusIaEEEE10hipError_tPvRmT2_T3_mT4_P12ihipStream_tbEUlmE_aEESB_NS0_8identityIvEEEESG_SJ_SK_mSL_SN_bEUlT_E_NS1_11comp_targetILNS1_3genE4ELNS1_11target_archE910ELNS1_3gpuE8ELNS1_3repE0EEENS1_30default_config_static_selectorELNS0_4arch9wavefront6targetE1EEEvT1_.kd
    .uniform_work_group_size: 1
    .uses_dynamic_stack: false
    .vgpr_count:     0
    .vgpr_spill_count: 0
    .wavefront_size: 64
  - .agpr_count:     0
    .args:
      - .offset:         0
        .size:           56
        .value_kind:     by_value
    .group_segment_fixed_size: 0
    .kernarg_segment_align: 8
    .kernarg_segment_size: 56
    .language:       OpenCL C
    .language_version:
      - 2
      - 0
    .max_flat_workgroup_size: 128
    .name:           _ZN7rocprim17ROCPRIM_400000_NS6detail17trampoline_kernelINS0_14default_configENS1_25transform_config_selectorIaLb0EEEZNS1_14transform_implILb0ES3_S5_NS0_18transform_iteratorINS0_17counting_iteratorImlEEZNS1_24adjacent_difference_implIS3_Lb1ELb0EPaSB_N6thrust23THRUST_200600_302600_NS5minusIaEEEE10hipError_tPvRmT2_T3_mT4_P12ihipStream_tbEUlmE_aEESB_NS0_8identityIvEEEESG_SJ_SK_mSL_SN_bEUlT_E_NS1_11comp_targetILNS1_3genE3ELNS1_11target_archE908ELNS1_3gpuE7ELNS1_3repE0EEENS1_30default_config_static_selectorELNS0_4arch9wavefront6targetE1EEEvT1_
    .private_segment_fixed_size: 0
    .sgpr_count:     6
    .sgpr_spill_count: 0
    .symbol:         _ZN7rocprim17ROCPRIM_400000_NS6detail17trampoline_kernelINS0_14default_configENS1_25transform_config_selectorIaLb0EEEZNS1_14transform_implILb0ES3_S5_NS0_18transform_iteratorINS0_17counting_iteratorImlEEZNS1_24adjacent_difference_implIS3_Lb1ELb0EPaSB_N6thrust23THRUST_200600_302600_NS5minusIaEEEE10hipError_tPvRmT2_T3_mT4_P12ihipStream_tbEUlmE_aEESB_NS0_8identityIvEEEESG_SJ_SK_mSL_SN_bEUlT_E_NS1_11comp_targetILNS1_3genE3ELNS1_11target_archE908ELNS1_3gpuE7ELNS1_3repE0EEENS1_30default_config_static_selectorELNS0_4arch9wavefront6targetE1EEEvT1_.kd
    .uniform_work_group_size: 1
    .uses_dynamic_stack: false
    .vgpr_count:     0
    .vgpr_spill_count: 0
    .wavefront_size: 64
  - .agpr_count:     0
    .args:
      - .offset:         0
        .size:           56
        .value_kind:     by_value
    .group_segment_fixed_size: 0
    .kernarg_segment_align: 8
    .kernarg_segment_size: 56
    .language:       OpenCL C
    .language_version:
      - 2
      - 0
    .max_flat_workgroup_size: 64
    .name:           _ZN7rocprim17ROCPRIM_400000_NS6detail17trampoline_kernelINS0_14default_configENS1_25transform_config_selectorIaLb0EEEZNS1_14transform_implILb0ES3_S5_NS0_18transform_iteratorINS0_17counting_iteratorImlEEZNS1_24adjacent_difference_implIS3_Lb1ELb0EPaSB_N6thrust23THRUST_200600_302600_NS5minusIaEEEE10hipError_tPvRmT2_T3_mT4_P12ihipStream_tbEUlmE_aEESB_NS0_8identityIvEEEESG_SJ_SK_mSL_SN_bEUlT_E_NS1_11comp_targetILNS1_3genE2ELNS1_11target_archE906ELNS1_3gpuE6ELNS1_3repE0EEENS1_30default_config_static_selectorELNS0_4arch9wavefront6targetE1EEEvT1_
    .private_segment_fixed_size: 0
    .sgpr_count:     6
    .sgpr_spill_count: 0
    .symbol:         _ZN7rocprim17ROCPRIM_400000_NS6detail17trampoline_kernelINS0_14default_configENS1_25transform_config_selectorIaLb0EEEZNS1_14transform_implILb0ES3_S5_NS0_18transform_iteratorINS0_17counting_iteratorImlEEZNS1_24adjacent_difference_implIS3_Lb1ELb0EPaSB_N6thrust23THRUST_200600_302600_NS5minusIaEEEE10hipError_tPvRmT2_T3_mT4_P12ihipStream_tbEUlmE_aEESB_NS0_8identityIvEEEESG_SJ_SK_mSL_SN_bEUlT_E_NS1_11comp_targetILNS1_3genE2ELNS1_11target_archE906ELNS1_3gpuE6ELNS1_3repE0EEENS1_30default_config_static_selectorELNS0_4arch9wavefront6targetE1EEEvT1_.kd
    .uniform_work_group_size: 1
    .uses_dynamic_stack: false
    .vgpr_count:     0
    .vgpr_spill_count: 0
    .wavefront_size: 64
  - .agpr_count:     0
    .args:
      - .offset:         0
        .size:           56
        .value_kind:     by_value
    .group_segment_fixed_size: 0
    .kernarg_segment_align: 8
    .kernarg_segment_size: 56
    .language:       OpenCL C
    .language_version:
      - 2
      - 0
    .max_flat_workgroup_size: 256
    .name:           _ZN7rocprim17ROCPRIM_400000_NS6detail17trampoline_kernelINS0_14default_configENS1_25transform_config_selectorIaLb0EEEZNS1_14transform_implILb0ES3_S5_NS0_18transform_iteratorINS0_17counting_iteratorImlEEZNS1_24adjacent_difference_implIS3_Lb1ELb0EPaSB_N6thrust23THRUST_200600_302600_NS5minusIaEEEE10hipError_tPvRmT2_T3_mT4_P12ihipStream_tbEUlmE_aEESB_NS0_8identityIvEEEESG_SJ_SK_mSL_SN_bEUlT_E_NS1_11comp_targetILNS1_3genE10ELNS1_11target_archE1201ELNS1_3gpuE5ELNS1_3repE0EEENS1_30default_config_static_selectorELNS0_4arch9wavefront6targetE1EEEvT1_
    .private_segment_fixed_size: 0
    .sgpr_count:     6
    .sgpr_spill_count: 0
    .symbol:         _ZN7rocprim17ROCPRIM_400000_NS6detail17trampoline_kernelINS0_14default_configENS1_25transform_config_selectorIaLb0EEEZNS1_14transform_implILb0ES3_S5_NS0_18transform_iteratorINS0_17counting_iteratorImlEEZNS1_24adjacent_difference_implIS3_Lb1ELb0EPaSB_N6thrust23THRUST_200600_302600_NS5minusIaEEEE10hipError_tPvRmT2_T3_mT4_P12ihipStream_tbEUlmE_aEESB_NS0_8identityIvEEEESG_SJ_SK_mSL_SN_bEUlT_E_NS1_11comp_targetILNS1_3genE10ELNS1_11target_archE1201ELNS1_3gpuE5ELNS1_3repE0EEENS1_30default_config_static_selectorELNS0_4arch9wavefront6targetE1EEEvT1_.kd
    .uniform_work_group_size: 1
    .uses_dynamic_stack: false
    .vgpr_count:     0
    .vgpr_spill_count: 0
    .wavefront_size: 64
  - .agpr_count:     0
    .args:
      - .offset:         0
        .size:           56
        .value_kind:     by_value
    .group_segment_fixed_size: 0
    .kernarg_segment_align: 8
    .kernarg_segment_size: 56
    .language:       OpenCL C
    .language_version:
      - 2
      - 0
    .max_flat_workgroup_size: 256
    .name:           _ZN7rocprim17ROCPRIM_400000_NS6detail17trampoline_kernelINS0_14default_configENS1_25transform_config_selectorIaLb0EEEZNS1_14transform_implILb0ES3_S5_NS0_18transform_iteratorINS0_17counting_iteratorImlEEZNS1_24adjacent_difference_implIS3_Lb1ELb0EPaSB_N6thrust23THRUST_200600_302600_NS5minusIaEEEE10hipError_tPvRmT2_T3_mT4_P12ihipStream_tbEUlmE_aEESB_NS0_8identityIvEEEESG_SJ_SK_mSL_SN_bEUlT_E_NS1_11comp_targetILNS1_3genE10ELNS1_11target_archE1200ELNS1_3gpuE4ELNS1_3repE0EEENS1_30default_config_static_selectorELNS0_4arch9wavefront6targetE1EEEvT1_
    .private_segment_fixed_size: 0
    .sgpr_count:     6
    .sgpr_spill_count: 0
    .symbol:         _ZN7rocprim17ROCPRIM_400000_NS6detail17trampoline_kernelINS0_14default_configENS1_25transform_config_selectorIaLb0EEEZNS1_14transform_implILb0ES3_S5_NS0_18transform_iteratorINS0_17counting_iteratorImlEEZNS1_24adjacent_difference_implIS3_Lb1ELb0EPaSB_N6thrust23THRUST_200600_302600_NS5minusIaEEEE10hipError_tPvRmT2_T3_mT4_P12ihipStream_tbEUlmE_aEESB_NS0_8identityIvEEEESG_SJ_SK_mSL_SN_bEUlT_E_NS1_11comp_targetILNS1_3genE10ELNS1_11target_archE1200ELNS1_3gpuE4ELNS1_3repE0EEENS1_30default_config_static_selectorELNS0_4arch9wavefront6targetE1EEEvT1_.kd
    .uniform_work_group_size: 1
    .uses_dynamic_stack: false
    .vgpr_count:     0
    .vgpr_spill_count: 0
    .wavefront_size: 64
  - .agpr_count:     0
    .args:
      - .offset:         0
        .size:           56
        .value_kind:     by_value
    .group_segment_fixed_size: 0
    .kernarg_segment_align: 8
    .kernarg_segment_size: 56
    .language:       OpenCL C
    .language_version:
      - 2
      - 0
    .max_flat_workgroup_size: 1024
    .name:           _ZN7rocprim17ROCPRIM_400000_NS6detail17trampoline_kernelINS0_14default_configENS1_25transform_config_selectorIaLb0EEEZNS1_14transform_implILb0ES3_S5_NS0_18transform_iteratorINS0_17counting_iteratorImlEEZNS1_24adjacent_difference_implIS3_Lb1ELb0EPaSB_N6thrust23THRUST_200600_302600_NS5minusIaEEEE10hipError_tPvRmT2_T3_mT4_P12ihipStream_tbEUlmE_aEESB_NS0_8identityIvEEEESG_SJ_SK_mSL_SN_bEUlT_E_NS1_11comp_targetILNS1_3genE9ELNS1_11target_archE1100ELNS1_3gpuE3ELNS1_3repE0EEENS1_30default_config_static_selectorELNS0_4arch9wavefront6targetE1EEEvT1_
    .private_segment_fixed_size: 0
    .sgpr_count:     6
    .sgpr_spill_count: 0
    .symbol:         _ZN7rocprim17ROCPRIM_400000_NS6detail17trampoline_kernelINS0_14default_configENS1_25transform_config_selectorIaLb0EEEZNS1_14transform_implILb0ES3_S5_NS0_18transform_iteratorINS0_17counting_iteratorImlEEZNS1_24adjacent_difference_implIS3_Lb1ELb0EPaSB_N6thrust23THRUST_200600_302600_NS5minusIaEEEE10hipError_tPvRmT2_T3_mT4_P12ihipStream_tbEUlmE_aEESB_NS0_8identityIvEEEESG_SJ_SK_mSL_SN_bEUlT_E_NS1_11comp_targetILNS1_3genE9ELNS1_11target_archE1100ELNS1_3gpuE3ELNS1_3repE0EEENS1_30default_config_static_selectorELNS0_4arch9wavefront6targetE1EEEvT1_.kd
    .uniform_work_group_size: 1
    .uses_dynamic_stack: false
    .vgpr_count:     0
    .vgpr_spill_count: 0
    .wavefront_size: 64
  - .agpr_count:     0
    .args:
      - .offset:         0
        .size:           56
        .value_kind:     by_value
    .group_segment_fixed_size: 0
    .kernarg_segment_align: 8
    .kernarg_segment_size: 56
    .language:       OpenCL C
    .language_version:
      - 2
      - 0
    .max_flat_workgroup_size: 128
    .name:           _ZN7rocprim17ROCPRIM_400000_NS6detail17trampoline_kernelINS0_14default_configENS1_25transform_config_selectorIaLb0EEEZNS1_14transform_implILb0ES3_S5_NS0_18transform_iteratorINS0_17counting_iteratorImlEEZNS1_24adjacent_difference_implIS3_Lb1ELb0EPaSB_N6thrust23THRUST_200600_302600_NS5minusIaEEEE10hipError_tPvRmT2_T3_mT4_P12ihipStream_tbEUlmE_aEESB_NS0_8identityIvEEEESG_SJ_SK_mSL_SN_bEUlT_E_NS1_11comp_targetILNS1_3genE8ELNS1_11target_archE1030ELNS1_3gpuE2ELNS1_3repE0EEENS1_30default_config_static_selectorELNS0_4arch9wavefront6targetE1EEEvT1_
    .private_segment_fixed_size: 0
    .sgpr_count:     6
    .sgpr_spill_count: 0
    .symbol:         _ZN7rocprim17ROCPRIM_400000_NS6detail17trampoline_kernelINS0_14default_configENS1_25transform_config_selectorIaLb0EEEZNS1_14transform_implILb0ES3_S5_NS0_18transform_iteratorINS0_17counting_iteratorImlEEZNS1_24adjacent_difference_implIS3_Lb1ELb0EPaSB_N6thrust23THRUST_200600_302600_NS5minusIaEEEE10hipError_tPvRmT2_T3_mT4_P12ihipStream_tbEUlmE_aEESB_NS0_8identityIvEEEESG_SJ_SK_mSL_SN_bEUlT_E_NS1_11comp_targetILNS1_3genE8ELNS1_11target_archE1030ELNS1_3gpuE2ELNS1_3repE0EEENS1_30default_config_static_selectorELNS0_4arch9wavefront6targetE1EEEvT1_.kd
    .uniform_work_group_size: 1
    .uses_dynamic_stack: false
    .vgpr_count:     0
    .vgpr_spill_count: 0
    .wavefront_size: 64
  - .agpr_count:     0
    .args:
      - .offset:         0
        .size:           56
        .value_kind:     by_value
    .group_segment_fixed_size: 0
    .kernarg_segment_align: 8
    .kernarg_segment_size: 56
    .language:       OpenCL C
    .language_version:
      - 2
      - 0
    .max_flat_workgroup_size: 64
    .name:           _ZN7rocprim17ROCPRIM_400000_NS6detail17trampoline_kernelINS0_14default_configENS1_35adjacent_difference_config_selectorILb1EaEEZNS1_24adjacent_difference_implIS3_Lb1ELb0EPaS7_N6thrust23THRUST_200600_302600_NS5minusIaEEEE10hipError_tPvRmT2_T3_mT4_P12ihipStream_tbEUlT_E_NS1_11comp_targetILNS1_3genE0ELNS1_11target_archE4294967295ELNS1_3gpuE0ELNS1_3repE0EEENS1_30default_config_static_selectorELNS0_4arch9wavefront6targetE1EEEvT1_
    .private_segment_fixed_size: 0
    .sgpr_count:     6
    .sgpr_spill_count: 0
    .symbol:         _ZN7rocprim17ROCPRIM_400000_NS6detail17trampoline_kernelINS0_14default_configENS1_35adjacent_difference_config_selectorILb1EaEEZNS1_24adjacent_difference_implIS3_Lb1ELb0EPaS7_N6thrust23THRUST_200600_302600_NS5minusIaEEEE10hipError_tPvRmT2_T3_mT4_P12ihipStream_tbEUlT_E_NS1_11comp_targetILNS1_3genE0ELNS1_11target_archE4294967295ELNS1_3gpuE0ELNS1_3repE0EEENS1_30default_config_static_selectorELNS0_4arch9wavefront6targetE1EEEvT1_.kd
    .uniform_work_group_size: 1
    .uses_dynamic_stack: false
    .vgpr_count:     0
    .vgpr_spill_count: 0
    .wavefront_size: 64
  - .agpr_count:     0
    .args:
      - .offset:         0
        .size:           56
        .value_kind:     by_value
    .group_segment_fixed_size: 0
    .kernarg_segment_align: 8
    .kernarg_segment_size: 56
    .language:       OpenCL C
    .language_version:
      - 2
      - 0
    .max_flat_workgroup_size: 128
    .name:           _ZN7rocprim17ROCPRIM_400000_NS6detail17trampoline_kernelINS0_14default_configENS1_35adjacent_difference_config_selectorILb1EaEEZNS1_24adjacent_difference_implIS3_Lb1ELb0EPaS7_N6thrust23THRUST_200600_302600_NS5minusIaEEEE10hipError_tPvRmT2_T3_mT4_P12ihipStream_tbEUlT_E_NS1_11comp_targetILNS1_3genE10ELNS1_11target_archE1201ELNS1_3gpuE5ELNS1_3repE0EEENS1_30default_config_static_selectorELNS0_4arch9wavefront6targetE1EEEvT1_
    .private_segment_fixed_size: 0
    .sgpr_count:     6
    .sgpr_spill_count: 0
    .symbol:         _ZN7rocprim17ROCPRIM_400000_NS6detail17trampoline_kernelINS0_14default_configENS1_35adjacent_difference_config_selectorILb1EaEEZNS1_24adjacent_difference_implIS3_Lb1ELb0EPaS7_N6thrust23THRUST_200600_302600_NS5minusIaEEEE10hipError_tPvRmT2_T3_mT4_P12ihipStream_tbEUlT_E_NS1_11comp_targetILNS1_3genE10ELNS1_11target_archE1201ELNS1_3gpuE5ELNS1_3repE0EEENS1_30default_config_static_selectorELNS0_4arch9wavefront6targetE1EEEvT1_.kd
    .uniform_work_group_size: 1
    .uses_dynamic_stack: false
    .vgpr_count:     0
    .vgpr_spill_count: 0
    .wavefront_size: 64
  - .agpr_count:     0
    .args:
      - .offset:         0
        .size:           56
        .value_kind:     by_value
    .group_segment_fixed_size: 2944
    .kernarg_segment_align: 8
    .kernarg_segment_size: 56
    .language:       OpenCL C
    .language_version:
      - 2
      - 0
    .max_flat_workgroup_size: 128
    .name:           _ZN7rocprim17ROCPRIM_400000_NS6detail17trampoline_kernelINS0_14default_configENS1_35adjacent_difference_config_selectorILb1EaEEZNS1_24adjacent_difference_implIS3_Lb1ELb0EPaS7_N6thrust23THRUST_200600_302600_NS5minusIaEEEE10hipError_tPvRmT2_T3_mT4_P12ihipStream_tbEUlT_E_NS1_11comp_targetILNS1_3genE5ELNS1_11target_archE942ELNS1_3gpuE9ELNS1_3repE0EEENS1_30default_config_static_selectorELNS0_4arch9wavefront6targetE1EEEvT1_
    .private_segment_fixed_size: 0
    .sgpr_count:     33
    .sgpr_spill_count: 0
    .symbol:         _ZN7rocprim17ROCPRIM_400000_NS6detail17trampoline_kernelINS0_14default_configENS1_35adjacent_difference_config_selectorILb1EaEEZNS1_24adjacent_difference_implIS3_Lb1ELb0EPaS7_N6thrust23THRUST_200600_302600_NS5minusIaEEEE10hipError_tPvRmT2_T3_mT4_P12ihipStream_tbEUlT_E_NS1_11comp_targetILNS1_3genE5ELNS1_11target_archE942ELNS1_3gpuE9ELNS1_3repE0EEENS1_30default_config_static_selectorELNS0_4arch9wavefront6targetE1EEEvT1_.kd
    .uniform_work_group_size: 1
    .uses_dynamic_stack: false
    .vgpr_count:     42
    .vgpr_spill_count: 0
    .wavefront_size: 64
  - .agpr_count:     0
    .args:
      - .offset:         0
        .size:           56
        .value_kind:     by_value
    .group_segment_fixed_size: 0
    .kernarg_segment_align: 8
    .kernarg_segment_size: 56
    .language:       OpenCL C
    .language_version:
      - 2
      - 0
    .max_flat_workgroup_size: 128
    .name:           _ZN7rocprim17ROCPRIM_400000_NS6detail17trampoline_kernelINS0_14default_configENS1_35adjacent_difference_config_selectorILb1EaEEZNS1_24adjacent_difference_implIS3_Lb1ELb0EPaS7_N6thrust23THRUST_200600_302600_NS5minusIaEEEE10hipError_tPvRmT2_T3_mT4_P12ihipStream_tbEUlT_E_NS1_11comp_targetILNS1_3genE4ELNS1_11target_archE910ELNS1_3gpuE8ELNS1_3repE0EEENS1_30default_config_static_selectorELNS0_4arch9wavefront6targetE1EEEvT1_
    .private_segment_fixed_size: 0
    .sgpr_count:     6
    .sgpr_spill_count: 0
    .symbol:         _ZN7rocprim17ROCPRIM_400000_NS6detail17trampoline_kernelINS0_14default_configENS1_35adjacent_difference_config_selectorILb1EaEEZNS1_24adjacent_difference_implIS3_Lb1ELb0EPaS7_N6thrust23THRUST_200600_302600_NS5minusIaEEEE10hipError_tPvRmT2_T3_mT4_P12ihipStream_tbEUlT_E_NS1_11comp_targetILNS1_3genE4ELNS1_11target_archE910ELNS1_3gpuE8ELNS1_3repE0EEENS1_30default_config_static_selectorELNS0_4arch9wavefront6targetE1EEEvT1_.kd
    .uniform_work_group_size: 1
    .uses_dynamic_stack: false
    .vgpr_count:     0
    .vgpr_spill_count: 0
    .wavefront_size: 64
  - .agpr_count:     0
    .args:
      - .offset:         0
        .size:           56
        .value_kind:     by_value
    .group_segment_fixed_size: 0
    .kernarg_segment_align: 8
    .kernarg_segment_size: 56
    .language:       OpenCL C
    .language_version:
      - 2
      - 0
    .max_flat_workgroup_size: 64
    .name:           _ZN7rocprim17ROCPRIM_400000_NS6detail17trampoline_kernelINS0_14default_configENS1_35adjacent_difference_config_selectorILb1EaEEZNS1_24adjacent_difference_implIS3_Lb1ELb0EPaS7_N6thrust23THRUST_200600_302600_NS5minusIaEEEE10hipError_tPvRmT2_T3_mT4_P12ihipStream_tbEUlT_E_NS1_11comp_targetILNS1_3genE3ELNS1_11target_archE908ELNS1_3gpuE7ELNS1_3repE0EEENS1_30default_config_static_selectorELNS0_4arch9wavefront6targetE1EEEvT1_
    .private_segment_fixed_size: 0
    .sgpr_count:     6
    .sgpr_spill_count: 0
    .symbol:         _ZN7rocprim17ROCPRIM_400000_NS6detail17trampoline_kernelINS0_14default_configENS1_35adjacent_difference_config_selectorILb1EaEEZNS1_24adjacent_difference_implIS3_Lb1ELb0EPaS7_N6thrust23THRUST_200600_302600_NS5minusIaEEEE10hipError_tPvRmT2_T3_mT4_P12ihipStream_tbEUlT_E_NS1_11comp_targetILNS1_3genE3ELNS1_11target_archE908ELNS1_3gpuE7ELNS1_3repE0EEENS1_30default_config_static_selectorELNS0_4arch9wavefront6targetE1EEEvT1_.kd
    .uniform_work_group_size: 1
    .uses_dynamic_stack: false
    .vgpr_count:     0
    .vgpr_spill_count: 0
    .wavefront_size: 64
  - .agpr_count:     0
    .args:
      - .offset:         0
        .size:           56
        .value_kind:     by_value
    .group_segment_fixed_size: 0
    .kernarg_segment_align: 8
    .kernarg_segment_size: 56
    .language:       OpenCL C
    .language_version:
      - 2
      - 0
    .max_flat_workgroup_size: 64
    .name:           _ZN7rocprim17ROCPRIM_400000_NS6detail17trampoline_kernelINS0_14default_configENS1_35adjacent_difference_config_selectorILb1EaEEZNS1_24adjacent_difference_implIS3_Lb1ELb0EPaS7_N6thrust23THRUST_200600_302600_NS5minusIaEEEE10hipError_tPvRmT2_T3_mT4_P12ihipStream_tbEUlT_E_NS1_11comp_targetILNS1_3genE2ELNS1_11target_archE906ELNS1_3gpuE6ELNS1_3repE0EEENS1_30default_config_static_selectorELNS0_4arch9wavefront6targetE1EEEvT1_
    .private_segment_fixed_size: 0
    .sgpr_count:     6
    .sgpr_spill_count: 0
    .symbol:         _ZN7rocprim17ROCPRIM_400000_NS6detail17trampoline_kernelINS0_14default_configENS1_35adjacent_difference_config_selectorILb1EaEEZNS1_24adjacent_difference_implIS3_Lb1ELb0EPaS7_N6thrust23THRUST_200600_302600_NS5minusIaEEEE10hipError_tPvRmT2_T3_mT4_P12ihipStream_tbEUlT_E_NS1_11comp_targetILNS1_3genE2ELNS1_11target_archE906ELNS1_3gpuE6ELNS1_3repE0EEENS1_30default_config_static_selectorELNS0_4arch9wavefront6targetE1EEEvT1_.kd
    .uniform_work_group_size: 1
    .uses_dynamic_stack: false
    .vgpr_count:     0
    .vgpr_spill_count: 0
    .wavefront_size: 64
  - .agpr_count:     0
    .args:
      - .offset:         0
        .size:           56
        .value_kind:     by_value
    .group_segment_fixed_size: 0
    .kernarg_segment_align: 8
    .kernarg_segment_size: 56
    .language:       OpenCL C
    .language_version:
      - 2
      - 0
    .max_flat_workgroup_size: 512
    .name:           _ZN7rocprim17ROCPRIM_400000_NS6detail17trampoline_kernelINS0_14default_configENS1_35adjacent_difference_config_selectorILb1EaEEZNS1_24adjacent_difference_implIS3_Lb1ELb0EPaS7_N6thrust23THRUST_200600_302600_NS5minusIaEEEE10hipError_tPvRmT2_T3_mT4_P12ihipStream_tbEUlT_E_NS1_11comp_targetILNS1_3genE9ELNS1_11target_archE1100ELNS1_3gpuE3ELNS1_3repE0EEENS1_30default_config_static_selectorELNS0_4arch9wavefront6targetE1EEEvT1_
    .private_segment_fixed_size: 0
    .sgpr_count:     6
    .sgpr_spill_count: 0
    .symbol:         _ZN7rocprim17ROCPRIM_400000_NS6detail17trampoline_kernelINS0_14default_configENS1_35adjacent_difference_config_selectorILb1EaEEZNS1_24adjacent_difference_implIS3_Lb1ELb0EPaS7_N6thrust23THRUST_200600_302600_NS5minusIaEEEE10hipError_tPvRmT2_T3_mT4_P12ihipStream_tbEUlT_E_NS1_11comp_targetILNS1_3genE9ELNS1_11target_archE1100ELNS1_3gpuE3ELNS1_3repE0EEENS1_30default_config_static_selectorELNS0_4arch9wavefront6targetE1EEEvT1_.kd
    .uniform_work_group_size: 1
    .uses_dynamic_stack: false
    .vgpr_count:     0
    .vgpr_spill_count: 0
    .wavefront_size: 64
  - .agpr_count:     0
    .args:
      - .offset:         0
        .size:           56
        .value_kind:     by_value
    .group_segment_fixed_size: 0
    .kernarg_segment_align: 8
    .kernarg_segment_size: 56
    .language:       OpenCL C
    .language_version:
      - 2
      - 0
    .max_flat_workgroup_size: 1024
    .name:           _ZN7rocprim17ROCPRIM_400000_NS6detail17trampoline_kernelINS0_14default_configENS1_35adjacent_difference_config_selectorILb1EaEEZNS1_24adjacent_difference_implIS3_Lb1ELb0EPaS7_N6thrust23THRUST_200600_302600_NS5minusIaEEEE10hipError_tPvRmT2_T3_mT4_P12ihipStream_tbEUlT_E_NS1_11comp_targetILNS1_3genE8ELNS1_11target_archE1030ELNS1_3gpuE2ELNS1_3repE0EEENS1_30default_config_static_selectorELNS0_4arch9wavefront6targetE1EEEvT1_
    .private_segment_fixed_size: 0
    .sgpr_count:     6
    .sgpr_spill_count: 0
    .symbol:         _ZN7rocprim17ROCPRIM_400000_NS6detail17trampoline_kernelINS0_14default_configENS1_35adjacent_difference_config_selectorILb1EaEEZNS1_24adjacent_difference_implIS3_Lb1ELb0EPaS7_N6thrust23THRUST_200600_302600_NS5minusIaEEEE10hipError_tPvRmT2_T3_mT4_P12ihipStream_tbEUlT_E_NS1_11comp_targetILNS1_3genE8ELNS1_11target_archE1030ELNS1_3gpuE2ELNS1_3repE0EEENS1_30default_config_static_selectorELNS0_4arch9wavefront6targetE1EEEvT1_.kd
    .uniform_work_group_size: 1
    .uses_dynamic_stack: false
    .vgpr_count:     0
    .vgpr_spill_count: 0
    .wavefront_size: 64
  - .agpr_count:     0
    .args:
      - .offset:         0
        .size:           56
        .value_kind:     by_value
    .group_segment_fixed_size: 0
    .kernarg_segment_align: 8
    .kernarg_segment_size: 56
    .language:       OpenCL C
    .language_version:
      - 2
      - 0
    .max_flat_workgroup_size: 64
    .name:           _ZN7rocprim17ROCPRIM_400000_NS6detail17trampoline_kernelINS0_14default_configENS1_35adjacent_difference_config_selectorILb0EaEEZNS1_24adjacent_difference_implIS3_Lb0ELb0EPaS7_N6thrust23THRUST_200600_302600_NS4plusIaEEEE10hipError_tPvRmT2_T3_mT4_P12ihipStream_tbEUlT_E_NS1_11comp_targetILNS1_3genE0ELNS1_11target_archE4294967295ELNS1_3gpuE0ELNS1_3repE0EEENS1_30default_config_static_selectorELNS0_4arch9wavefront6targetE1EEEvT1_
    .private_segment_fixed_size: 0
    .sgpr_count:     6
    .sgpr_spill_count: 0
    .symbol:         _ZN7rocprim17ROCPRIM_400000_NS6detail17trampoline_kernelINS0_14default_configENS1_35adjacent_difference_config_selectorILb0EaEEZNS1_24adjacent_difference_implIS3_Lb0ELb0EPaS7_N6thrust23THRUST_200600_302600_NS4plusIaEEEE10hipError_tPvRmT2_T3_mT4_P12ihipStream_tbEUlT_E_NS1_11comp_targetILNS1_3genE0ELNS1_11target_archE4294967295ELNS1_3gpuE0ELNS1_3repE0EEENS1_30default_config_static_selectorELNS0_4arch9wavefront6targetE1EEEvT1_.kd
    .uniform_work_group_size: 1
    .uses_dynamic_stack: false
    .vgpr_count:     0
    .vgpr_spill_count: 0
    .wavefront_size: 64
  - .agpr_count:     0
    .args:
      - .offset:         0
        .size:           56
        .value_kind:     by_value
    .group_segment_fixed_size: 0
    .kernarg_segment_align: 8
    .kernarg_segment_size: 56
    .language:       OpenCL C
    .language_version:
      - 2
      - 0
    .max_flat_workgroup_size: 1024
    .name:           _ZN7rocprim17ROCPRIM_400000_NS6detail17trampoline_kernelINS0_14default_configENS1_35adjacent_difference_config_selectorILb0EaEEZNS1_24adjacent_difference_implIS3_Lb0ELb0EPaS7_N6thrust23THRUST_200600_302600_NS4plusIaEEEE10hipError_tPvRmT2_T3_mT4_P12ihipStream_tbEUlT_E_NS1_11comp_targetILNS1_3genE10ELNS1_11target_archE1201ELNS1_3gpuE5ELNS1_3repE0EEENS1_30default_config_static_selectorELNS0_4arch9wavefront6targetE1EEEvT1_
    .private_segment_fixed_size: 0
    .sgpr_count:     6
    .sgpr_spill_count: 0
    .symbol:         _ZN7rocprim17ROCPRIM_400000_NS6detail17trampoline_kernelINS0_14default_configENS1_35adjacent_difference_config_selectorILb0EaEEZNS1_24adjacent_difference_implIS3_Lb0ELb0EPaS7_N6thrust23THRUST_200600_302600_NS4plusIaEEEE10hipError_tPvRmT2_T3_mT4_P12ihipStream_tbEUlT_E_NS1_11comp_targetILNS1_3genE10ELNS1_11target_archE1201ELNS1_3gpuE5ELNS1_3repE0EEENS1_30default_config_static_selectorELNS0_4arch9wavefront6targetE1EEEvT1_.kd
    .uniform_work_group_size: 1
    .uses_dynamic_stack: false
    .vgpr_count:     0
    .vgpr_spill_count: 0
    .wavefront_size: 64
  - .agpr_count:     0
    .args:
      - .offset:         0
        .size:           56
        .value_kind:     by_value
    .group_segment_fixed_size: 2432
    .kernarg_segment_align: 8
    .kernarg_segment_size: 56
    .language:       OpenCL C
    .language_version:
      - 2
      - 0
    .max_flat_workgroup_size: 128
    .name:           _ZN7rocprim17ROCPRIM_400000_NS6detail17trampoline_kernelINS0_14default_configENS1_35adjacent_difference_config_selectorILb0EaEEZNS1_24adjacent_difference_implIS3_Lb0ELb0EPaS7_N6thrust23THRUST_200600_302600_NS4plusIaEEEE10hipError_tPvRmT2_T3_mT4_P12ihipStream_tbEUlT_E_NS1_11comp_targetILNS1_3genE5ELNS1_11target_archE942ELNS1_3gpuE9ELNS1_3repE0EEENS1_30default_config_static_selectorELNS0_4arch9wavefront6targetE1EEEvT1_
    .private_segment_fixed_size: 0
    .sgpr_count:     54
    .sgpr_spill_count: 0
    .symbol:         _ZN7rocprim17ROCPRIM_400000_NS6detail17trampoline_kernelINS0_14default_configENS1_35adjacent_difference_config_selectorILb0EaEEZNS1_24adjacent_difference_implIS3_Lb0ELb0EPaS7_N6thrust23THRUST_200600_302600_NS4plusIaEEEE10hipError_tPvRmT2_T3_mT4_P12ihipStream_tbEUlT_E_NS1_11comp_targetILNS1_3genE5ELNS1_11target_archE942ELNS1_3gpuE9ELNS1_3repE0EEENS1_30default_config_static_selectorELNS0_4arch9wavefront6targetE1EEEvT1_.kd
    .uniform_work_group_size: 1
    .uses_dynamic_stack: false
    .vgpr_count:     42
    .vgpr_spill_count: 0
    .wavefront_size: 64
  - .agpr_count:     0
    .args:
      - .offset:         0
        .size:           56
        .value_kind:     by_value
    .group_segment_fixed_size: 0
    .kernarg_segment_align: 8
    .kernarg_segment_size: 56
    .language:       OpenCL C
    .language_version:
      - 2
      - 0
    .max_flat_workgroup_size: 64
    .name:           _ZN7rocprim17ROCPRIM_400000_NS6detail17trampoline_kernelINS0_14default_configENS1_35adjacent_difference_config_selectorILb0EaEEZNS1_24adjacent_difference_implIS3_Lb0ELb0EPaS7_N6thrust23THRUST_200600_302600_NS4plusIaEEEE10hipError_tPvRmT2_T3_mT4_P12ihipStream_tbEUlT_E_NS1_11comp_targetILNS1_3genE4ELNS1_11target_archE910ELNS1_3gpuE8ELNS1_3repE0EEENS1_30default_config_static_selectorELNS0_4arch9wavefront6targetE1EEEvT1_
    .private_segment_fixed_size: 0
    .sgpr_count:     6
    .sgpr_spill_count: 0
    .symbol:         _ZN7rocprim17ROCPRIM_400000_NS6detail17trampoline_kernelINS0_14default_configENS1_35adjacent_difference_config_selectorILb0EaEEZNS1_24adjacent_difference_implIS3_Lb0ELb0EPaS7_N6thrust23THRUST_200600_302600_NS4plusIaEEEE10hipError_tPvRmT2_T3_mT4_P12ihipStream_tbEUlT_E_NS1_11comp_targetILNS1_3genE4ELNS1_11target_archE910ELNS1_3gpuE8ELNS1_3repE0EEENS1_30default_config_static_selectorELNS0_4arch9wavefront6targetE1EEEvT1_.kd
    .uniform_work_group_size: 1
    .uses_dynamic_stack: false
    .vgpr_count:     0
    .vgpr_spill_count: 0
    .wavefront_size: 64
  - .agpr_count:     0
    .args:
      - .offset:         0
        .size:           56
        .value_kind:     by_value
    .group_segment_fixed_size: 0
    .kernarg_segment_align: 8
    .kernarg_segment_size: 56
    .language:       OpenCL C
    .language_version:
      - 2
      - 0
    .max_flat_workgroup_size: 64
    .name:           _ZN7rocprim17ROCPRIM_400000_NS6detail17trampoline_kernelINS0_14default_configENS1_35adjacent_difference_config_selectorILb0EaEEZNS1_24adjacent_difference_implIS3_Lb0ELb0EPaS7_N6thrust23THRUST_200600_302600_NS4plusIaEEEE10hipError_tPvRmT2_T3_mT4_P12ihipStream_tbEUlT_E_NS1_11comp_targetILNS1_3genE3ELNS1_11target_archE908ELNS1_3gpuE7ELNS1_3repE0EEENS1_30default_config_static_selectorELNS0_4arch9wavefront6targetE1EEEvT1_
    .private_segment_fixed_size: 0
    .sgpr_count:     6
    .sgpr_spill_count: 0
    .symbol:         _ZN7rocprim17ROCPRIM_400000_NS6detail17trampoline_kernelINS0_14default_configENS1_35adjacent_difference_config_selectorILb0EaEEZNS1_24adjacent_difference_implIS3_Lb0ELb0EPaS7_N6thrust23THRUST_200600_302600_NS4plusIaEEEE10hipError_tPvRmT2_T3_mT4_P12ihipStream_tbEUlT_E_NS1_11comp_targetILNS1_3genE3ELNS1_11target_archE908ELNS1_3gpuE7ELNS1_3repE0EEENS1_30default_config_static_selectorELNS0_4arch9wavefront6targetE1EEEvT1_.kd
    .uniform_work_group_size: 1
    .uses_dynamic_stack: false
    .vgpr_count:     0
    .vgpr_spill_count: 0
    .wavefront_size: 64
  - .agpr_count:     0
    .args:
      - .offset:         0
        .size:           56
        .value_kind:     by_value
    .group_segment_fixed_size: 0
    .kernarg_segment_align: 8
    .kernarg_segment_size: 56
    .language:       OpenCL C
    .language_version:
      - 2
      - 0
    .max_flat_workgroup_size: 64
    .name:           _ZN7rocprim17ROCPRIM_400000_NS6detail17trampoline_kernelINS0_14default_configENS1_35adjacent_difference_config_selectorILb0EaEEZNS1_24adjacent_difference_implIS3_Lb0ELb0EPaS7_N6thrust23THRUST_200600_302600_NS4plusIaEEEE10hipError_tPvRmT2_T3_mT4_P12ihipStream_tbEUlT_E_NS1_11comp_targetILNS1_3genE2ELNS1_11target_archE906ELNS1_3gpuE6ELNS1_3repE0EEENS1_30default_config_static_selectorELNS0_4arch9wavefront6targetE1EEEvT1_
    .private_segment_fixed_size: 0
    .sgpr_count:     6
    .sgpr_spill_count: 0
    .symbol:         _ZN7rocprim17ROCPRIM_400000_NS6detail17trampoline_kernelINS0_14default_configENS1_35adjacent_difference_config_selectorILb0EaEEZNS1_24adjacent_difference_implIS3_Lb0ELb0EPaS7_N6thrust23THRUST_200600_302600_NS4plusIaEEEE10hipError_tPvRmT2_T3_mT4_P12ihipStream_tbEUlT_E_NS1_11comp_targetILNS1_3genE2ELNS1_11target_archE906ELNS1_3gpuE6ELNS1_3repE0EEENS1_30default_config_static_selectorELNS0_4arch9wavefront6targetE1EEEvT1_.kd
    .uniform_work_group_size: 1
    .uses_dynamic_stack: false
    .vgpr_count:     0
    .vgpr_spill_count: 0
    .wavefront_size: 64
  - .agpr_count:     0
    .args:
      - .offset:         0
        .size:           56
        .value_kind:     by_value
    .group_segment_fixed_size: 0
    .kernarg_segment_align: 8
    .kernarg_segment_size: 56
    .language:       OpenCL C
    .language_version:
      - 2
      - 0
    .max_flat_workgroup_size: 64
    .name:           _ZN7rocprim17ROCPRIM_400000_NS6detail17trampoline_kernelINS0_14default_configENS1_35adjacent_difference_config_selectorILb0EaEEZNS1_24adjacent_difference_implIS3_Lb0ELb0EPaS7_N6thrust23THRUST_200600_302600_NS4plusIaEEEE10hipError_tPvRmT2_T3_mT4_P12ihipStream_tbEUlT_E_NS1_11comp_targetILNS1_3genE9ELNS1_11target_archE1100ELNS1_3gpuE3ELNS1_3repE0EEENS1_30default_config_static_selectorELNS0_4arch9wavefront6targetE1EEEvT1_
    .private_segment_fixed_size: 0
    .sgpr_count:     6
    .sgpr_spill_count: 0
    .symbol:         _ZN7rocprim17ROCPRIM_400000_NS6detail17trampoline_kernelINS0_14default_configENS1_35adjacent_difference_config_selectorILb0EaEEZNS1_24adjacent_difference_implIS3_Lb0ELb0EPaS7_N6thrust23THRUST_200600_302600_NS4plusIaEEEE10hipError_tPvRmT2_T3_mT4_P12ihipStream_tbEUlT_E_NS1_11comp_targetILNS1_3genE9ELNS1_11target_archE1100ELNS1_3gpuE3ELNS1_3repE0EEENS1_30default_config_static_selectorELNS0_4arch9wavefront6targetE1EEEvT1_.kd
    .uniform_work_group_size: 1
    .uses_dynamic_stack: false
    .vgpr_count:     0
    .vgpr_spill_count: 0
    .wavefront_size: 64
  - .agpr_count:     0
    .args:
      - .offset:         0
        .size:           56
        .value_kind:     by_value
    .group_segment_fixed_size: 0
    .kernarg_segment_align: 8
    .kernarg_segment_size: 56
    .language:       OpenCL C
    .language_version:
      - 2
      - 0
    .max_flat_workgroup_size: 64
    .name:           _ZN7rocprim17ROCPRIM_400000_NS6detail17trampoline_kernelINS0_14default_configENS1_35adjacent_difference_config_selectorILb0EaEEZNS1_24adjacent_difference_implIS3_Lb0ELb0EPaS7_N6thrust23THRUST_200600_302600_NS4plusIaEEEE10hipError_tPvRmT2_T3_mT4_P12ihipStream_tbEUlT_E_NS1_11comp_targetILNS1_3genE8ELNS1_11target_archE1030ELNS1_3gpuE2ELNS1_3repE0EEENS1_30default_config_static_selectorELNS0_4arch9wavefront6targetE1EEEvT1_
    .private_segment_fixed_size: 0
    .sgpr_count:     6
    .sgpr_spill_count: 0
    .symbol:         _ZN7rocprim17ROCPRIM_400000_NS6detail17trampoline_kernelINS0_14default_configENS1_35adjacent_difference_config_selectorILb0EaEEZNS1_24adjacent_difference_implIS3_Lb0ELb0EPaS7_N6thrust23THRUST_200600_302600_NS4plusIaEEEE10hipError_tPvRmT2_T3_mT4_P12ihipStream_tbEUlT_E_NS1_11comp_targetILNS1_3genE8ELNS1_11target_archE1030ELNS1_3gpuE2ELNS1_3repE0EEENS1_30default_config_static_selectorELNS0_4arch9wavefront6targetE1EEEvT1_.kd
    .uniform_work_group_size: 1
    .uses_dynamic_stack: false
    .vgpr_count:     0
    .vgpr_spill_count: 0
    .wavefront_size: 64
  - .agpr_count:     0
    .args:
      - .offset:         0
        .size:           56
        .value_kind:     by_value
    .group_segment_fixed_size: 0
    .kernarg_segment_align: 8
    .kernarg_segment_size: 56
    .language:       OpenCL C
    .language_version:
      - 2
      - 0
    .max_flat_workgroup_size: 128
    .name:           _ZN7rocprim17ROCPRIM_400000_NS6detail17trampoline_kernelINS0_14default_configENS1_25transform_config_selectorIaLb0EEEZNS1_14transform_implILb0ES3_S5_NS0_18transform_iteratorINS0_17counting_iteratorImlEEZNS1_24adjacent_difference_implIS3_Lb1ELb0EPaSB_N6thrust23THRUST_200600_302600_NS4plusIaEEEE10hipError_tPvRmT2_T3_mT4_P12ihipStream_tbEUlmE_aEESB_NS0_8identityIvEEEESG_SJ_SK_mSL_SN_bEUlT_E_NS1_11comp_targetILNS1_3genE0ELNS1_11target_archE4294967295ELNS1_3gpuE0ELNS1_3repE0EEENS1_30default_config_static_selectorELNS0_4arch9wavefront6targetE1EEEvT1_
    .private_segment_fixed_size: 0
    .sgpr_count:     6
    .sgpr_spill_count: 0
    .symbol:         _ZN7rocprim17ROCPRIM_400000_NS6detail17trampoline_kernelINS0_14default_configENS1_25transform_config_selectorIaLb0EEEZNS1_14transform_implILb0ES3_S5_NS0_18transform_iteratorINS0_17counting_iteratorImlEEZNS1_24adjacent_difference_implIS3_Lb1ELb0EPaSB_N6thrust23THRUST_200600_302600_NS4plusIaEEEE10hipError_tPvRmT2_T3_mT4_P12ihipStream_tbEUlmE_aEESB_NS0_8identityIvEEEESG_SJ_SK_mSL_SN_bEUlT_E_NS1_11comp_targetILNS1_3genE0ELNS1_11target_archE4294967295ELNS1_3gpuE0ELNS1_3repE0EEENS1_30default_config_static_selectorELNS0_4arch9wavefront6targetE1EEEvT1_.kd
    .uniform_work_group_size: 1
    .uses_dynamic_stack: false
    .vgpr_count:     0
    .vgpr_spill_count: 0
    .wavefront_size: 64
  - .agpr_count:     0
    .args:
      - .offset:         0
        .size:           56
        .value_kind:     by_value
      - .offset:         56
        .size:           4
        .value_kind:     hidden_block_count_x
      - .offset:         60
        .size:           4
        .value_kind:     hidden_block_count_y
      - .offset:         64
        .size:           4
        .value_kind:     hidden_block_count_z
      - .offset:         68
        .size:           2
        .value_kind:     hidden_group_size_x
      - .offset:         70
        .size:           2
        .value_kind:     hidden_group_size_y
      - .offset:         72
        .size:           2
        .value_kind:     hidden_group_size_z
      - .offset:         74
        .size:           2
        .value_kind:     hidden_remainder_x
      - .offset:         76
        .size:           2
        .value_kind:     hidden_remainder_y
      - .offset:         78
        .size:           2
        .value_kind:     hidden_remainder_z
      - .offset:         96
        .size:           8
        .value_kind:     hidden_global_offset_x
      - .offset:         104
        .size:           8
        .value_kind:     hidden_global_offset_y
      - .offset:         112
        .size:           8
        .value_kind:     hidden_global_offset_z
      - .offset:         120
        .size:           2
        .value_kind:     hidden_grid_dims
    .group_segment_fixed_size: 0
    .kernarg_segment_align: 8
    .kernarg_segment_size: 312
    .language:       OpenCL C
    .language_version:
      - 2
      - 0
    .max_flat_workgroup_size: 1024
    .name:           _ZN7rocprim17ROCPRIM_400000_NS6detail17trampoline_kernelINS0_14default_configENS1_25transform_config_selectorIaLb0EEEZNS1_14transform_implILb0ES3_S5_NS0_18transform_iteratorINS0_17counting_iteratorImlEEZNS1_24adjacent_difference_implIS3_Lb1ELb0EPaSB_N6thrust23THRUST_200600_302600_NS4plusIaEEEE10hipError_tPvRmT2_T3_mT4_P12ihipStream_tbEUlmE_aEESB_NS0_8identityIvEEEESG_SJ_SK_mSL_SN_bEUlT_E_NS1_11comp_targetILNS1_3genE5ELNS1_11target_archE942ELNS1_3gpuE9ELNS1_3repE0EEENS1_30default_config_static_selectorELNS0_4arch9wavefront6targetE1EEEvT1_
    .private_segment_fixed_size: 0
    .sgpr_count:     33
    .sgpr_spill_count: 0
    .symbol:         _ZN7rocprim17ROCPRIM_400000_NS6detail17trampoline_kernelINS0_14default_configENS1_25transform_config_selectorIaLb0EEEZNS1_14transform_implILb0ES3_S5_NS0_18transform_iteratorINS0_17counting_iteratorImlEEZNS1_24adjacent_difference_implIS3_Lb1ELb0EPaSB_N6thrust23THRUST_200600_302600_NS4plusIaEEEE10hipError_tPvRmT2_T3_mT4_P12ihipStream_tbEUlmE_aEESB_NS0_8identityIvEEEESG_SJ_SK_mSL_SN_bEUlT_E_NS1_11comp_targetILNS1_3genE5ELNS1_11target_archE942ELNS1_3gpuE9ELNS1_3repE0EEENS1_30default_config_static_selectorELNS0_4arch9wavefront6targetE1EEEvT1_.kd
    .uniform_work_group_size: 1
    .uses_dynamic_stack: false
    .vgpr_count:     15
    .vgpr_spill_count: 0
    .wavefront_size: 64
  - .agpr_count:     0
    .args:
      - .offset:         0
        .size:           56
        .value_kind:     by_value
    .group_segment_fixed_size: 0
    .kernarg_segment_align: 8
    .kernarg_segment_size: 56
    .language:       OpenCL C
    .language_version:
      - 2
      - 0
    .max_flat_workgroup_size: 64
    .name:           _ZN7rocprim17ROCPRIM_400000_NS6detail17trampoline_kernelINS0_14default_configENS1_25transform_config_selectorIaLb0EEEZNS1_14transform_implILb0ES3_S5_NS0_18transform_iteratorINS0_17counting_iteratorImlEEZNS1_24adjacent_difference_implIS3_Lb1ELb0EPaSB_N6thrust23THRUST_200600_302600_NS4plusIaEEEE10hipError_tPvRmT2_T3_mT4_P12ihipStream_tbEUlmE_aEESB_NS0_8identityIvEEEESG_SJ_SK_mSL_SN_bEUlT_E_NS1_11comp_targetILNS1_3genE4ELNS1_11target_archE910ELNS1_3gpuE8ELNS1_3repE0EEENS1_30default_config_static_selectorELNS0_4arch9wavefront6targetE1EEEvT1_
    .private_segment_fixed_size: 0
    .sgpr_count:     6
    .sgpr_spill_count: 0
    .symbol:         _ZN7rocprim17ROCPRIM_400000_NS6detail17trampoline_kernelINS0_14default_configENS1_25transform_config_selectorIaLb0EEEZNS1_14transform_implILb0ES3_S5_NS0_18transform_iteratorINS0_17counting_iteratorImlEEZNS1_24adjacent_difference_implIS3_Lb1ELb0EPaSB_N6thrust23THRUST_200600_302600_NS4plusIaEEEE10hipError_tPvRmT2_T3_mT4_P12ihipStream_tbEUlmE_aEESB_NS0_8identityIvEEEESG_SJ_SK_mSL_SN_bEUlT_E_NS1_11comp_targetILNS1_3genE4ELNS1_11target_archE910ELNS1_3gpuE8ELNS1_3repE0EEENS1_30default_config_static_selectorELNS0_4arch9wavefront6targetE1EEEvT1_.kd
    .uniform_work_group_size: 1
    .uses_dynamic_stack: false
    .vgpr_count:     0
    .vgpr_spill_count: 0
    .wavefront_size: 64
  - .agpr_count:     0
    .args:
      - .offset:         0
        .size:           56
        .value_kind:     by_value
    .group_segment_fixed_size: 0
    .kernarg_segment_align: 8
    .kernarg_segment_size: 56
    .language:       OpenCL C
    .language_version:
      - 2
      - 0
    .max_flat_workgroup_size: 128
    .name:           _ZN7rocprim17ROCPRIM_400000_NS6detail17trampoline_kernelINS0_14default_configENS1_25transform_config_selectorIaLb0EEEZNS1_14transform_implILb0ES3_S5_NS0_18transform_iteratorINS0_17counting_iteratorImlEEZNS1_24adjacent_difference_implIS3_Lb1ELb0EPaSB_N6thrust23THRUST_200600_302600_NS4plusIaEEEE10hipError_tPvRmT2_T3_mT4_P12ihipStream_tbEUlmE_aEESB_NS0_8identityIvEEEESG_SJ_SK_mSL_SN_bEUlT_E_NS1_11comp_targetILNS1_3genE3ELNS1_11target_archE908ELNS1_3gpuE7ELNS1_3repE0EEENS1_30default_config_static_selectorELNS0_4arch9wavefront6targetE1EEEvT1_
    .private_segment_fixed_size: 0
    .sgpr_count:     6
    .sgpr_spill_count: 0
    .symbol:         _ZN7rocprim17ROCPRIM_400000_NS6detail17trampoline_kernelINS0_14default_configENS1_25transform_config_selectorIaLb0EEEZNS1_14transform_implILb0ES3_S5_NS0_18transform_iteratorINS0_17counting_iteratorImlEEZNS1_24adjacent_difference_implIS3_Lb1ELb0EPaSB_N6thrust23THRUST_200600_302600_NS4plusIaEEEE10hipError_tPvRmT2_T3_mT4_P12ihipStream_tbEUlmE_aEESB_NS0_8identityIvEEEESG_SJ_SK_mSL_SN_bEUlT_E_NS1_11comp_targetILNS1_3genE3ELNS1_11target_archE908ELNS1_3gpuE7ELNS1_3repE0EEENS1_30default_config_static_selectorELNS0_4arch9wavefront6targetE1EEEvT1_.kd
    .uniform_work_group_size: 1
    .uses_dynamic_stack: false
    .vgpr_count:     0
    .vgpr_spill_count: 0
    .wavefront_size: 64
  - .agpr_count:     0
    .args:
      - .offset:         0
        .size:           56
        .value_kind:     by_value
    .group_segment_fixed_size: 0
    .kernarg_segment_align: 8
    .kernarg_segment_size: 56
    .language:       OpenCL C
    .language_version:
      - 2
      - 0
    .max_flat_workgroup_size: 64
    .name:           _ZN7rocprim17ROCPRIM_400000_NS6detail17trampoline_kernelINS0_14default_configENS1_25transform_config_selectorIaLb0EEEZNS1_14transform_implILb0ES3_S5_NS0_18transform_iteratorINS0_17counting_iteratorImlEEZNS1_24adjacent_difference_implIS3_Lb1ELb0EPaSB_N6thrust23THRUST_200600_302600_NS4plusIaEEEE10hipError_tPvRmT2_T3_mT4_P12ihipStream_tbEUlmE_aEESB_NS0_8identityIvEEEESG_SJ_SK_mSL_SN_bEUlT_E_NS1_11comp_targetILNS1_3genE2ELNS1_11target_archE906ELNS1_3gpuE6ELNS1_3repE0EEENS1_30default_config_static_selectorELNS0_4arch9wavefront6targetE1EEEvT1_
    .private_segment_fixed_size: 0
    .sgpr_count:     6
    .sgpr_spill_count: 0
    .symbol:         _ZN7rocprim17ROCPRIM_400000_NS6detail17trampoline_kernelINS0_14default_configENS1_25transform_config_selectorIaLb0EEEZNS1_14transform_implILb0ES3_S5_NS0_18transform_iteratorINS0_17counting_iteratorImlEEZNS1_24adjacent_difference_implIS3_Lb1ELb0EPaSB_N6thrust23THRUST_200600_302600_NS4plusIaEEEE10hipError_tPvRmT2_T3_mT4_P12ihipStream_tbEUlmE_aEESB_NS0_8identityIvEEEESG_SJ_SK_mSL_SN_bEUlT_E_NS1_11comp_targetILNS1_3genE2ELNS1_11target_archE906ELNS1_3gpuE6ELNS1_3repE0EEENS1_30default_config_static_selectorELNS0_4arch9wavefront6targetE1EEEvT1_.kd
    .uniform_work_group_size: 1
    .uses_dynamic_stack: false
    .vgpr_count:     0
    .vgpr_spill_count: 0
    .wavefront_size: 64
  - .agpr_count:     0
    .args:
      - .offset:         0
        .size:           56
        .value_kind:     by_value
    .group_segment_fixed_size: 0
    .kernarg_segment_align: 8
    .kernarg_segment_size: 56
    .language:       OpenCL C
    .language_version:
      - 2
      - 0
    .max_flat_workgroup_size: 256
    .name:           _ZN7rocprim17ROCPRIM_400000_NS6detail17trampoline_kernelINS0_14default_configENS1_25transform_config_selectorIaLb0EEEZNS1_14transform_implILb0ES3_S5_NS0_18transform_iteratorINS0_17counting_iteratorImlEEZNS1_24adjacent_difference_implIS3_Lb1ELb0EPaSB_N6thrust23THRUST_200600_302600_NS4plusIaEEEE10hipError_tPvRmT2_T3_mT4_P12ihipStream_tbEUlmE_aEESB_NS0_8identityIvEEEESG_SJ_SK_mSL_SN_bEUlT_E_NS1_11comp_targetILNS1_3genE10ELNS1_11target_archE1201ELNS1_3gpuE5ELNS1_3repE0EEENS1_30default_config_static_selectorELNS0_4arch9wavefront6targetE1EEEvT1_
    .private_segment_fixed_size: 0
    .sgpr_count:     6
    .sgpr_spill_count: 0
    .symbol:         _ZN7rocprim17ROCPRIM_400000_NS6detail17trampoline_kernelINS0_14default_configENS1_25transform_config_selectorIaLb0EEEZNS1_14transform_implILb0ES3_S5_NS0_18transform_iteratorINS0_17counting_iteratorImlEEZNS1_24adjacent_difference_implIS3_Lb1ELb0EPaSB_N6thrust23THRUST_200600_302600_NS4plusIaEEEE10hipError_tPvRmT2_T3_mT4_P12ihipStream_tbEUlmE_aEESB_NS0_8identityIvEEEESG_SJ_SK_mSL_SN_bEUlT_E_NS1_11comp_targetILNS1_3genE10ELNS1_11target_archE1201ELNS1_3gpuE5ELNS1_3repE0EEENS1_30default_config_static_selectorELNS0_4arch9wavefront6targetE1EEEvT1_.kd
    .uniform_work_group_size: 1
    .uses_dynamic_stack: false
    .vgpr_count:     0
    .vgpr_spill_count: 0
    .wavefront_size: 64
  - .agpr_count:     0
    .args:
      - .offset:         0
        .size:           56
        .value_kind:     by_value
    .group_segment_fixed_size: 0
    .kernarg_segment_align: 8
    .kernarg_segment_size: 56
    .language:       OpenCL C
    .language_version:
      - 2
      - 0
    .max_flat_workgroup_size: 256
    .name:           _ZN7rocprim17ROCPRIM_400000_NS6detail17trampoline_kernelINS0_14default_configENS1_25transform_config_selectorIaLb0EEEZNS1_14transform_implILb0ES3_S5_NS0_18transform_iteratorINS0_17counting_iteratorImlEEZNS1_24adjacent_difference_implIS3_Lb1ELb0EPaSB_N6thrust23THRUST_200600_302600_NS4plusIaEEEE10hipError_tPvRmT2_T3_mT4_P12ihipStream_tbEUlmE_aEESB_NS0_8identityIvEEEESG_SJ_SK_mSL_SN_bEUlT_E_NS1_11comp_targetILNS1_3genE10ELNS1_11target_archE1200ELNS1_3gpuE4ELNS1_3repE0EEENS1_30default_config_static_selectorELNS0_4arch9wavefront6targetE1EEEvT1_
    .private_segment_fixed_size: 0
    .sgpr_count:     6
    .sgpr_spill_count: 0
    .symbol:         _ZN7rocprim17ROCPRIM_400000_NS6detail17trampoline_kernelINS0_14default_configENS1_25transform_config_selectorIaLb0EEEZNS1_14transform_implILb0ES3_S5_NS0_18transform_iteratorINS0_17counting_iteratorImlEEZNS1_24adjacent_difference_implIS3_Lb1ELb0EPaSB_N6thrust23THRUST_200600_302600_NS4plusIaEEEE10hipError_tPvRmT2_T3_mT4_P12ihipStream_tbEUlmE_aEESB_NS0_8identityIvEEEESG_SJ_SK_mSL_SN_bEUlT_E_NS1_11comp_targetILNS1_3genE10ELNS1_11target_archE1200ELNS1_3gpuE4ELNS1_3repE0EEENS1_30default_config_static_selectorELNS0_4arch9wavefront6targetE1EEEvT1_.kd
    .uniform_work_group_size: 1
    .uses_dynamic_stack: false
    .vgpr_count:     0
    .vgpr_spill_count: 0
    .wavefront_size: 64
  - .agpr_count:     0
    .args:
      - .offset:         0
        .size:           56
        .value_kind:     by_value
    .group_segment_fixed_size: 0
    .kernarg_segment_align: 8
    .kernarg_segment_size: 56
    .language:       OpenCL C
    .language_version:
      - 2
      - 0
    .max_flat_workgroup_size: 1024
    .name:           _ZN7rocprim17ROCPRIM_400000_NS6detail17trampoline_kernelINS0_14default_configENS1_25transform_config_selectorIaLb0EEEZNS1_14transform_implILb0ES3_S5_NS0_18transform_iteratorINS0_17counting_iteratorImlEEZNS1_24adjacent_difference_implIS3_Lb1ELb0EPaSB_N6thrust23THRUST_200600_302600_NS4plusIaEEEE10hipError_tPvRmT2_T3_mT4_P12ihipStream_tbEUlmE_aEESB_NS0_8identityIvEEEESG_SJ_SK_mSL_SN_bEUlT_E_NS1_11comp_targetILNS1_3genE9ELNS1_11target_archE1100ELNS1_3gpuE3ELNS1_3repE0EEENS1_30default_config_static_selectorELNS0_4arch9wavefront6targetE1EEEvT1_
    .private_segment_fixed_size: 0
    .sgpr_count:     6
    .sgpr_spill_count: 0
    .symbol:         _ZN7rocprim17ROCPRIM_400000_NS6detail17trampoline_kernelINS0_14default_configENS1_25transform_config_selectorIaLb0EEEZNS1_14transform_implILb0ES3_S5_NS0_18transform_iteratorINS0_17counting_iteratorImlEEZNS1_24adjacent_difference_implIS3_Lb1ELb0EPaSB_N6thrust23THRUST_200600_302600_NS4plusIaEEEE10hipError_tPvRmT2_T3_mT4_P12ihipStream_tbEUlmE_aEESB_NS0_8identityIvEEEESG_SJ_SK_mSL_SN_bEUlT_E_NS1_11comp_targetILNS1_3genE9ELNS1_11target_archE1100ELNS1_3gpuE3ELNS1_3repE0EEENS1_30default_config_static_selectorELNS0_4arch9wavefront6targetE1EEEvT1_.kd
    .uniform_work_group_size: 1
    .uses_dynamic_stack: false
    .vgpr_count:     0
    .vgpr_spill_count: 0
    .wavefront_size: 64
  - .agpr_count:     0
    .args:
      - .offset:         0
        .size:           56
        .value_kind:     by_value
    .group_segment_fixed_size: 0
    .kernarg_segment_align: 8
    .kernarg_segment_size: 56
    .language:       OpenCL C
    .language_version:
      - 2
      - 0
    .max_flat_workgroup_size: 128
    .name:           _ZN7rocprim17ROCPRIM_400000_NS6detail17trampoline_kernelINS0_14default_configENS1_25transform_config_selectorIaLb0EEEZNS1_14transform_implILb0ES3_S5_NS0_18transform_iteratorINS0_17counting_iteratorImlEEZNS1_24adjacent_difference_implIS3_Lb1ELb0EPaSB_N6thrust23THRUST_200600_302600_NS4plusIaEEEE10hipError_tPvRmT2_T3_mT4_P12ihipStream_tbEUlmE_aEESB_NS0_8identityIvEEEESG_SJ_SK_mSL_SN_bEUlT_E_NS1_11comp_targetILNS1_3genE8ELNS1_11target_archE1030ELNS1_3gpuE2ELNS1_3repE0EEENS1_30default_config_static_selectorELNS0_4arch9wavefront6targetE1EEEvT1_
    .private_segment_fixed_size: 0
    .sgpr_count:     6
    .sgpr_spill_count: 0
    .symbol:         _ZN7rocprim17ROCPRIM_400000_NS6detail17trampoline_kernelINS0_14default_configENS1_25transform_config_selectorIaLb0EEEZNS1_14transform_implILb0ES3_S5_NS0_18transform_iteratorINS0_17counting_iteratorImlEEZNS1_24adjacent_difference_implIS3_Lb1ELb0EPaSB_N6thrust23THRUST_200600_302600_NS4plusIaEEEE10hipError_tPvRmT2_T3_mT4_P12ihipStream_tbEUlmE_aEESB_NS0_8identityIvEEEESG_SJ_SK_mSL_SN_bEUlT_E_NS1_11comp_targetILNS1_3genE8ELNS1_11target_archE1030ELNS1_3gpuE2ELNS1_3repE0EEENS1_30default_config_static_selectorELNS0_4arch9wavefront6targetE1EEEvT1_.kd
    .uniform_work_group_size: 1
    .uses_dynamic_stack: false
    .vgpr_count:     0
    .vgpr_spill_count: 0
    .wavefront_size: 64
  - .agpr_count:     0
    .args:
      - .offset:         0
        .size:           56
        .value_kind:     by_value
    .group_segment_fixed_size: 0
    .kernarg_segment_align: 8
    .kernarg_segment_size: 56
    .language:       OpenCL C
    .language_version:
      - 2
      - 0
    .max_flat_workgroup_size: 64
    .name:           _ZN7rocprim17ROCPRIM_400000_NS6detail17trampoline_kernelINS0_14default_configENS1_35adjacent_difference_config_selectorILb1EaEEZNS1_24adjacent_difference_implIS3_Lb1ELb0EPaS7_N6thrust23THRUST_200600_302600_NS4plusIaEEEE10hipError_tPvRmT2_T3_mT4_P12ihipStream_tbEUlT_E_NS1_11comp_targetILNS1_3genE0ELNS1_11target_archE4294967295ELNS1_3gpuE0ELNS1_3repE0EEENS1_30default_config_static_selectorELNS0_4arch9wavefront6targetE1EEEvT1_
    .private_segment_fixed_size: 0
    .sgpr_count:     6
    .sgpr_spill_count: 0
    .symbol:         _ZN7rocprim17ROCPRIM_400000_NS6detail17trampoline_kernelINS0_14default_configENS1_35adjacent_difference_config_selectorILb1EaEEZNS1_24adjacent_difference_implIS3_Lb1ELb0EPaS7_N6thrust23THRUST_200600_302600_NS4plusIaEEEE10hipError_tPvRmT2_T3_mT4_P12ihipStream_tbEUlT_E_NS1_11comp_targetILNS1_3genE0ELNS1_11target_archE4294967295ELNS1_3gpuE0ELNS1_3repE0EEENS1_30default_config_static_selectorELNS0_4arch9wavefront6targetE1EEEvT1_.kd
    .uniform_work_group_size: 1
    .uses_dynamic_stack: false
    .vgpr_count:     0
    .vgpr_spill_count: 0
    .wavefront_size: 64
  - .agpr_count:     0
    .args:
      - .offset:         0
        .size:           56
        .value_kind:     by_value
    .group_segment_fixed_size: 0
    .kernarg_segment_align: 8
    .kernarg_segment_size: 56
    .language:       OpenCL C
    .language_version:
      - 2
      - 0
    .max_flat_workgroup_size: 128
    .name:           _ZN7rocprim17ROCPRIM_400000_NS6detail17trampoline_kernelINS0_14default_configENS1_35adjacent_difference_config_selectorILb1EaEEZNS1_24adjacent_difference_implIS3_Lb1ELb0EPaS7_N6thrust23THRUST_200600_302600_NS4plusIaEEEE10hipError_tPvRmT2_T3_mT4_P12ihipStream_tbEUlT_E_NS1_11comp_targetILNS1_3genE10ELNS1_11target_archE1201ELNS1_3gpuE5ELNS1_3repE0EEENS1_30default_config_static_selectorELNS0_4arch9wavefront6targetE1EEEvT1_
    .private_segment_fixed_size: 0
    .sgpr_count:     6
    .sgpr_spill_count: 0
    .symbol:         _ZN7rocprim17ROCPRIM_400000_NS6detail17trampoline_kernelINS0_14default_configENS1_35adjacent_difference_config_selectorILb1EaEEZNS1_24adjacent_difference_implIS3_Lb1ELb0EPaS7_N6thrust23THRUST_200600_302600_NS4plusIaEEEE10hipError_tPvRmT2_T3_mT4_P12ihipStream_tbEUlT_E_NS1_11comp_targetILNS1_3genE10ELNS1_11target_archE1201ELNS1_3gpuE5ELNS1_3repE0EEENS1_30default_config_static_selectorELNS0_4arch9wavefront6targetE1EEEvT1_.kd
    .uniform_work_group_size: 1
    .uses_dynamic_stack: false
    .vgpr_count:     0
    .vgpr_spill_count: 0
    .wavefront_size: 64
  - .agpr_count:     0
    .args:
      - .offset:         0
        .size:           56
        .value_kind:     by_value
    .group_segment_fixed_size: 2944
    .kernarg_segment_align: 8
    .kernarg_segment_size: 56
    .language:       OpenCL C
    .language_version:
      - 2
      - 0
    .max_flat_workgroup_size: 128
    .name:           _ZN7rocprim17ROCPRIM_400000_NS6detail17trampoline_kernelINS0_14default_configENS1_35adjacent_difference_config_selectorILb1EaEEZNS1_24adjacent_difference_implIS3_Lb1ELb0EPaS7_N6thrust23THRUST_200600_302600_NS4plusIaEEEE10hipError_tPvRmT2_T3_mT4_P12ihipStream_tbEUlT_E_NS1_11comp_targetILNS1_3genE5ELNS1_11target_archE942ELNS1_3gpuE9ELNS1_3repE0EEENS1_30default_config_static_selectorELNS0_4arch9wavefront6targetE1EEEvT1_
    .private_segment_fixed_size: 0
    .sgpr_count:     62
    .sgpr_spill_count: 0
    .symbol:         _ZN7rocprim17ROCPRIM_400000_NS6detail17trampoline_kernelINS0_14default_configENS1_35adjacent_difference_config_selectorILb1EaEEZNS1_24adjacent_difference_implIS3_Lb1ELb0EPaS7_N6thrust23THRUST_200600_302600_NS4plusIaEEEE10hipError_tPvRmT2_T3_mT4_P12ihipStream_tbEUlT_E_NS1_11comp_targetILNS1_3genE5ELNS1_11target_archE942ELNS1_3gpuE9ELNS1_3repE0EEENS1_30default_config_static_selectorELNS0_4arch9wavefront6targetE1EEEvT1_.kd
    .uniform_work_group_size: 1
    .uses_dynamic_stack: false
    .vgpr_count:     50
    .vgpr_spill_count: 0
    .wavefront_size: 64
  - .agpr_count:     0
    .args:
      - .offset:         0
        .size:           56
        .value_kind:     by_value
    .group_segment_fixed_size: 0
    .kernarg_segment_align: 8
    .kernarg_segment_size: 56
    .language:       OpenCL C
    .language_version:
      - 2
      - 0
    .max_flat_workgroup_size: 128
    .name:           _ZN7rocprim17ROCPRIM_400000_NS6detail17trampoline_kernelINS0_14default_configENS1_35adjacent_difference_config_selectorILb1EaEEZNS1_24adjacent_difference_implIS3_Lb1ELb0EPaS7_N6thrust23THRUST_200600_302600_NS4plusIaEEEE10hipError_tPvRmT2_T3_mT4_P12ihipStream_tbEUlT_E_NS1_11comp_targetILNS1_3genE4ELNS1_11target_archE910ELNS1_3gpuE8ELNS1_3repE0EEENS1_30default_config_static_selectorELNS0_4arch9wavefront6targetE1EEEvT1_
    .private_segment_fixed_size: 0
    .sgpr_count:     6
    .sgpr_spill_count: 0
    .symbol:         _ZN7rocprim17ROCPRIM_400000_NS6detail17trampoline_kernelINS0_14default_configENS1_35adjacent_difference_config_selectorILb1EaEEZNS1_24adjacent_difference_implIS3_Lb1ELb0EPaS7_N6thrust23THRUST_200600_302600_NS4plusIaEEEE10hipError_tPvRmT2_T3_mT4_P12ihipStream_tbEUlT_E_NS1_11comp_targetILNS1_3genE4ELNS1_11target_archE910ELNS1_3gpuE8ELNS1_3repE0EEENS1_30default_config_static_selectorELNS0_4arch9wavefront6targetE1EEEvT1_.kd
    .uniform_work_group_size: 1
    .uses_dynamic_stack: false
    .vgpr_count:     0
    .vgpr_spill_count: 0
    .wavefront_size: 64
  - .agpr_count:     0
    .args:
      - .offset:         0
        .size:           56
        .value_kind:     by_value
    .group_segment_fixed_size: 0
    .kernarg_segment_align: 8
    .kernarg_segment_size: 56
    .language:       OpenCL C
    .language_version:
      - 2
      - 0
    .max_flat_workgroup_size: 64
    .name:           _ZN7rocprim17ROCPRIM_400000_NS6detail17trampoline_kernelINS0_14default_configENS1_35adjacent_difference_config_selectorILb1EaEEZNS1_24adjacent_difference_implIS3_Lb1ELb0EPaS7_N6thrust23THRUST_200600_302600_NS4plusIaEEEE10hipError_tPvRmT2_T3_mT4_P12ihipStream_tbEUlT_E_NS1_11comp_targetILNS1_3genE3ELNS1_11target_archE908ELNS1_3gpuE7ELNS1_3repE0EEENS1_30default_config_static_selectorELNS0_4arch9wavefront6targetE1EEEvT1_
    .private_segment_fixed_size: 0
    .sgpr_count:     6
    .sgpr_spill_count: 0
    .symbol:         _ZN7rocprim17ROCPRIM_400000_NS6detail17trampoline_kernelINS0_14default_configENS1_35adjacent_difference_config_selectorILb1EaEEZNS1_24adjacent_difference_implIS3_Lb1ELb0EPaS7_N6thrust23THRUST_200600_302600_NS4plusIaEEEE10hipError_tPvRmT2_T3_mT4_P12ihipStream_tbEUlT_E_NS1_11comp_targetILNS1_3genE3ELNS1_11target_archE908ELNS1_3gpuE7ELNS1_3repE0EEENS1_30default_config_static_selectorELNS0_4arch9wavefront6targetE1EEEvT1_.kd
    .uniform_work_group_size: 1
    .uses_dynamic_stack: false
    .vgpr_count:     0
    .vgpr_spill_count: 0
    .wavefront_size: 64
  - .agpr_count:     0
    .args:
      - .offset:         0
        .size:           56
        .value_kind:     by_value
    .group_segment_fixed_size: 0
    .kernarg_segment_align: 8
    .kernarg_segment_size: 56
    .language:       OpenCL C
    .language_version:
      - 2
      - 0
    .max_flat_workgroup_size: 64
    .name:           _ZN7rocprim17ROCPRIM_400000_NS6detail17trampoline_kernelINS0_14default_configENS1_35adjacent_difference_config_selectorILb1EaEEZNS1_24adjacent_difference_implIS3_Lb1ELb0EPaS7_N6thrust23THRUST_200600_302600_NS4plusIaEEEE10hipError_tPvRmT2_T3_mT4_P12ihipStream_tbEUlT_E_NS1_11comp_targetILNS1_3genE2ELNS1_11target_archE906ELNS1_3gpuE6ELNS1_3repE0EEENS1_30default_config_static_selectorELNS0_4arch9wavefront6targetE1EEEvT1_
    .private_segment_fixed_size: 0
    .sgpr_count:     6
    .sgpr_spill_count: 0
    .symbol:         _ZN7rocprim17ROCPRIM_400000_NS6detail17trampoline_kernelINS0_14default_configENS1_35adjacent_difference_config_selectorILb1EaEEZNS1_24adjacent_difference_implIS3_Lb1ELb0EPaS7_N6thrust23THRUST_200600_302600_NS4plusIaEEEE10hipError_tPvRmT2_T3_mT4_P12ihipStream_tbEUlT_E_NS1_11comp_targetILNS1_3genE2ELNS1_11target_archE906ELNS1_3gpuE6ELNS1_3repE0EEENS1_30default_config_static_selectorELNS0_4arch9wavefront6targetE1EEEvT1_.kd
    .uniform_work_group_size: 1
    .uses_dynamic_stack: false
    .vgpr_count:     0
    .vgpr_spill_count: 0
    .wavefront_size: 64
  - .agpr_count:     0
    .args:
      - .offset:         0
        .size:           56
        .value_kind:     by_value
    .group_segment_fixed_size: 0
    .kernarg_segment_align: 8
    .kernarg_segment_size: 56
    .language:       OpenCL C
    .language_version:
      - 2
      - 0
    .max_flat_workgroup_size: 512
    .name:           _ZN7rocprim17ROCPRIM_400000_NS6detail17trampoline_kernelINS0_14default_configENS1_35adjacent_difference_config_selectorILb1EaEEZNS1_24adjacent_difference_implIS3_Lb1ELb0EPaS7_N6thrust23THRUST_200600_302600_NS4plusIaEEEE10hipError_tPvRmT2_T3_mT4_P12ihipStream_tbEUlT_E_NS1_11comp_targetILNS1_3genE9ELNS1_11target_archE1100ELNS1_3gpuE3ELNS1_3repE0EEENS1_30default_config_static_selectorELNS0_4arch9wavefront6targetE1EEEvT1_
    .private_segment_fixed_size: 0
    .sgpr_count:     6
    .sgpr_spill_count: 0
    .symbol:         _ZN7rocprim17ROCPRIM_400000_NS6detail17trampoline_kernelINS0_14default_configENS1_35adjacent_difference_config_selectorILb1EaEEZNS1_24adjacent_difference_implIS3_Lb1ELb0EPaS7_N6thrust23THRUST_200600_302600_NS4plusIaEEEE10hipError_tPvRmT2_T3_mT4_P12ihipStream_tbEUlT_E_NS1_11comp_targetILNS1_3genE9ELNS1_11target_archE1100ELNS1_3gpuE3ELNS1_3repE0EEENS1_30default_config_static_selectorELNS0_4arch9wavefront6targetE1EEEvT1_.kd
    .uniform_work_group_size: 1
    .uses_dynamic_stack: false
    .vgpr_count:     0
    .vgpr_spill_count: 0
    .wavefront_size: 64
  - .agpr_count:     0
    .args:
      - .offset:         0
        .size:           56
        .value_kind:     by_value
    .group_segment_fixed_size: 0
    .kernarg_segment_align: 8
    .kernarg_segment_size: 56
    .language:       OpenCL C
    .language_version:
      - 2
      - 0
    .max_flat_workgroup_size: 1024
    .name:           _ZN7rocprim17ROCPRIM_400000_NS6detail17trampoline_kernelINS0_14default_configENS1_35adjacent_difference_config_selectorILb1EaEEZNS1_24adjacent_difference_implIS3_Lb1ELb0EPaS7_N6thrust23THRUST_200600_302600_NS4plusIaEEEE10hipError_tPvRmT2_T3_mT4_P12ihipStream_tbEUlT_E_NS1_11comp_targetILNS1_3genE8ELNS1_11target_archE1030ELNS1_3gpuE2ELNS1_3repE0EEENS1_30default_config_static_selectorELNS0_4arch9wavefront6targetE1EEEvT1_
    .private_segment_fixed_size: 0
    .sgpr_count:     6
    .sgpr_spill_count: 0
    .symbol:         _ZN7rocprim17ROCPRIM_400000_NS6detail17trampoline_kernelINS0_14default_configENS1_35adjacent_difference_config_selectorILb1EaEEZNS1_24adjacent_difference_implIS3_Lb1ELb0EPaS7_N6thrust23THRUST_200600_302600_NS4plusIaEEEE10hipError_tPvRmT2_T3_mT4_P12ihipStream_tbEUlT_E_NS1_11comp_targetILNS1_3genE8ELNS1_11target_archE1030ELNS1_3gpuE2ELNS1_3repE0EEENS1_30default_config_static_selectorELNS0_4arch9wavefront6targetE1EEEvT1_.kd
    .uniform_work_group_size: 1
    .uses_dynamic_stack: false
    .vgpr_count:     0
    .vgpr_spill_count: 0
    .wavefront_size: 64
  - .agpr_count:     0
    .args:
      - .offset:         0
        .size:           16
        .value_kind:     by_value
      - .offset:         16
        .size:           8
        .value_kind:     by_value
      - .offset:         24
        .size:           8
        .value_kind:     by_value
    .group_segment_fixed_size: 0
    .kernarg_segment_align: 8
    .kernarg_segment_size: 32
    .language:       OpenCL C
    .language_version:
      - 2
      - 0
    .max_flat_workgroup_size: 256
    .name:           _ZN6thrust23THRUST_200600_302600_NS11hip_rocprim14__parallel_for6kernelILj256ENS1_20__uninitialized_fill7functorINS0_10device_ptrIsEEsEEmLj1EEEvT0_T1_SA_
    .private_segment_fixed_size: 0
    .sgpr_count:     14
    .sgpr_spill_count: 0
    .symbol:         _ZN6thrust23THRUST_200600_302600_NS11hip_rocprim14__parallel_for6kernelILj256ENS1_20__uninitialized_fill7functorINS0_10device_ptrIsEEsEEmLj1EEEvT0_T1_SA_.kd
    .uniform_work_group_size: 1
    .uses_dynamic_stack: false
    .vgpr_count:     4
    .vgpr_spill_count: 0
    .wavefront_size: 64
  - .agpr_count:     0
    .args:
      - .offset:         0
        .size:           56
        .value_kind:     by_value
    .group_segment_fixed_size: 0
    .kernarg_segment_align: 8
    .kernarg_segment_size: 56
    .language:       OpenCL C
    .language_version:
      - 2
      - 0
    .max_flat_workgroup_size: 64
    .name:           _ZN7rocprim17ROCPRIM_400000_NS6detail17trampoline_kernelINS0_14default_configENS1_35adjacent_difference_config_selectorILb0EsEEZNS1_24adjacent_difference_implIS3_Lb0ELb0EPsS7_N6thrust23THRUST_200600_302600_NS5minusIsEEEE10hipError_tPvRmT2_T3_mT4_P12ihipStream_tbEUlT_E_NS1_11comp_targetILNS1_3genE0ELNS1_11target_archE4294967295ELNS1_3gpuE0ELNS1_3repE0EEENS1_30default_config_static_selectorELNS0_4arch9wavefront6targetE1EEEvT1_
    .private_segment_fixed_size: 0
    .sgpr_count:     6
    .sgpr_spill_count: 0
    .symbol:         _ZN7rocprim17ROCPRIM_400000_NS6detail17trampoline_kernelINS0_14default_configENS1_35adjacent_difference_config_selectorILb0EsEEZNS1_24adjacent_difference_implIS3_Lb0ELb0EPsS7_N6thrust23THRUST_200600_302600_NS5minusIsEEEE10hipError_tPvRmT2_T3_mT4_P12ihipStream_tbEUlT_E_NS1_11comp_targetILNS1_3genE0ELNS1_11target_archE4294967295ELNS1_3gpuE0ELNS1_3repE0EEENS1_30default_config_static_selectorELNS0_4arch9wavefront6targetE1EEEvT1_.kd
    .uniform_work_group_size: 1
    .uses_dynamic_stack: false
    .vgpr_count:     0
    .vgpr_spill_count: 0
    .wavefront_size: 64
  - .agpr_count:     0
    .args:
      - .offset:         0
        .size:           56
        .value_kind:     by_value
    .group_segment_fixed_size: 0
    .kernarg_segment_align: 8
    .kernarg_segment_size: 56
    .language:       OpenCL C
    .language_version:
      - 2
      - 0
    .max_flat_workgroup_size: 128
    .name:           _ZN7rocprim17ROCPRIM_400000_NS6detail17trampoline_kernelINS0_14default_configENS1_35adjacent_difference_config_selectorILb0EsEEZNS1_24adjacent_difference_implIS3_Lb0ELb0EPsS7_N6thrust23THRUST_200600_302600_NS5minusIsEEEE10hipError_tPvRmT2_T3_mT4_P12ihipStream_tbEUlT_E_NS1_11comp_targetILNS1_3genE10ELNS1_11target_archE1201ELNS1_3gpuE5ELNS1_3repE0EEENS1_30default_config_static_selectorELNS0_4arch9wavefront6targetE1EEEvT1_
    .private_segment_fixed_size: 0
    .sgpr_count:     6
    .sgpr_spill_count: 0
    .symbol:         _ZN7rocprim17ROCPRIM_400000_NS6detail17trampoline_kernelINS0_14default_configENS1_35adjacent_difference_config_selectorILb0EsEEZNS1_24adjacent_difference_implIS3_Lb0ELb0EPsS7_N6thrust23THRUST_200600_302600_NS5minusIsEEEE10hipError_tPvRmT2_T3_mT4_P12ihipStream_tbEUlT_E_NS1_11comp_targetILNS1_3genE10ELNS1_11target_archE1201ELNS1_3gpuE5ELNS1_3repE0EEENS1_30default_config_static_selectorELNS0_4arch9wavefront6targetE1EEEvT1_.kd
    .uniform_work_group_size: 1
    .uses_dynamic_stack: false
    .vgpr_count:     0
    .vgpr_spill_count: 0
    .wavefront_size: 64
  - .agpr_count:     0
    .args:
      - .offset:         0
        .size:           56
        .value_kind:     by_value
    .group_segment_fixed_size: 8704
    .kernarg_segment_align: 8
    .kernarg_segment_size: 56
    .language:       OpenCL C
    .language_version:
      - 2
      - 0
    .max_flat_workgroup_size: 256
    .name:           _ZN7rocprim17ROCPRIM_400000_NS6detail17trampoline_kernelINS0_14default_configENS1_35adjacent_difference_config_selectorILb0EsEEZNS1_24adjacent_difference_implIS3_Lb0ELb0EPsS7_N6thrust23THRUST_200600_302600_NS5minusIsEEEE10hipError_tPvRmT2_T3_mT4_P12ihipStream_tbEUlT_E_NS1_11comp_targetILNS1_3genE5ELNS1_11target_archE942ELNS1_3gpuE9ELNS1_3repE0EEENS1_30default_config_static_selectorELNS0_4arch9wavefront6targetE1EEEvT1_
    .private_segment_fixed_size: 0
    .sgpr_count:     29
    .sgpr_spill_count: 0
    .symbol:         _ZN7rocprim17ROCPRIM_400000_NS6detail17trampoline_kernelINS0_14default_configENS1_35adjacent_difference_config_selectorILb0EsEEZNS1_24adjacent_difference_implIS3_Lb0ELb0EPsS7_N6thrust23THRUST_200600_302600_NS5minusIsEEEE10hipError_tPvRmT2_T3_mT4_P12ihipStream_tbEUlT_E_NS1_11comp_targetILNS1_3genE5ELNS1_11target_archE942ELNS1_3gpuE9ELNS1_3repE0EEENS1_30default_config_static_selectorELNS0_4arch9wavefront6targetE1EEEvT1_.kd
    .uniform_work_group_size: 1
    .uses_dynamic_stack: false
    .vgpr_count:     34
    .vgpr_spill_count: 0
    .wavefront_size: 64
  - .agpr_count:     0
    .args:
      - .offset:         0
        .size:           56
        .value_kind:     by_value
    .group_segment_fixed_size: 0
    .kernarg_segment_align: 8
    .kernarg_segment_size: 56
    .language:       OpenCL C
    .language_version:
      - 2
      - 0
    .max_flat_workgroup_size: 64
    .name:           _ZN7rocprim17ROCPRIM_400000_NS6detail17trampoline_kernelINS0_14default_configENS1_35adjacent_difference_config_selectorILb0EsEEZNS1_24adjacent_difference_implIS3_Lb0ELb0EPsS7_N6thrust23THRUST_200600_302600_NS5minusIsEEEE10hipError_tPvRmT2_T3_mT4_P12ihipStream_tbEUlT_E_NS1_11comp_targetILNS1_3genE4ELNS1_11target_archE910ELNS1_3gpuE8ELNS1_3repE0EEENS1_30default_config_static_selectorELNS0_4arch9wavefront6targetE1EEEvT1_
    .private_segment_fixed_size: 0
    .sgpr_count:     6
    .sgpr_spill_count: 0
    .symbol:         _ZN7rocprim17ROCPRIM_400000_NS6detail17trampoline_kernelINS0_14default_configENS1_35adjacent_difference_config_selectorILb0EsEEZNS1_24adjacent_difference_implIS3_Lb0ELb0EPsS7_N6thrust23THRUST_200600_302600_NS5minusIsEEEE10hipError_tPvRmT2_T3_mT4_P12ihipStream_tbEUlT_E_NS1_11comp_targetILNS1_3genE4ELNS1_11target_archE910ELNS1_3gpuE8ELNS1_3repE0EEENS1_30default_config_static_selectorELNS0_4arch9wavefront6targetE1EEEvT1_.kd
    .uniform_work_group_size: 1
    .uses_dynamic_stack: false
    .vgpr_count:     0
    .vgpr_spill_count: 0
    .wavefront_size: 64
  - .agpr_count:     0
    .args:
      - .offset:         0
        .size:           56
        .value_kind:     by_value
    .group_segment_fixed_size: 0
    .kernarg_segment_align: 8
    .kernarg_segment_size: 56
    .language:       OpenCL C
    .language_version:
      - 2
      - 0
    .max_flat_workgroup_size: 64
    .name:           _ZN7rocprim17ROCPRIM_400000_NS6detail17trampoline_kernelINS0_14default_configENS1_35adjacent_difference_config_selectorILb0EsEEZNS1_24adjacent_difference_implIS3_Lb0ELb0EPsS7_N6thrust23THRUST_200600_302600_NS5minusIsEEEE10hipError_tPvRmT2_T3_mT4_P12ihipStream_tbEUlT_E_NS1_11comp_targetILNS1_3genE3ELNS1_11target_archE908ELNS1_3gpuE7ELNS1_3repE0EEENS1_30default_config_static_selectorELNS0_4arch9wavefront6targetE1EEEvT1_
    .private_segment_fixed_size: 0
    .sgpr_count:     6
    .sgpr_spill_count: 0
    .symbol:         _ZN7rocprim17ROCPRIM_400000_NS6detail17trampoline_kernelINS0_14default_configENS1_35adjacent_difference_config_selectorILb0EsEEZNS1_24adjacent_difference_implIS3_Lb0ELb0EPsS7_N6thrust23THRUST_200600_302600_NS5minusIsEEEE10hipError_tPvRmT2_T3_mT4_P12ihipStream_tbEUlT_E_NS1_11comp_targetILNS1_3genE3ELNS1_11target_archE908ELNS1_3gpuE7ELNS1_3repE0EEENS1_30default_config_static_selectorELNS0_4arch9wavefront6targetE1EEEvT1_.kd
    .uniform_work_group_size: 1
    .uses_dynamic_stack: false
    .vgpr_count:     0
    .vgpr_spill_count: 0
    .wavefront_size: 64
  - .agpr_count:     0
    .args:
      - .offset:         0
        .size:           56
        .value_kind:     by_value
    .group_segment_fixed_size: 0
    .kernarg_segment_align: 8
    .kernarg_segment_size: 56
    .language:       OpenCL C
    .language_version:
      - 2
      - 0
    .max_flat_workgroup_size: 64
    .name:           _ZN7rocprim17ROCPRIM_400000_NS6detail17trampoline_kernelINS0_14default_configENS1_35adjacent_difference_config_selectorILb0EsEEZNS1_24adjacent_difference_implIS3_Lb0ELb0EPsS7_N6thrust23THRUST_200600_302600_NS5minusIsEEEE10hipError_tPvRmT2_T3_mT4_P12ihipStream_tbEUlT_E_NS1_11comp_targetILNS1_3genE2ELNS1_11target_archE906ELNS1_3gpuE6ELNS1_3repE0EEENS1_30default_config_static_selectorELNS0_4arch9wavefront6targetE1EEEvT1_
    .private_segment_fixed_size: 0
    .sgpr_count:     6
    .sgpr_spill_count: 0
    .symbol:         _ZN7rocprim17ROCPRIM_400000_NS6detail17trampoline_kernelINS0_14default_configENS1_35adjacent_difference_config_selectorILb0EsEEZNS1_24adjacent_difference_implIS3_Lb0ELb0EPsS7_N6thrust23THRUST_200600_302600_NS5minusIsEEEE10hipError_tPvRmT2_T3_mT4_P12ihipStream_tbEUlT_E_NS1_11comp_targetILNS1_3genE2ELNS1_11target_archE906ELNS1_3gpuE6ELNS1_3repE0EEENS1_30default_config_static_selectorELNS0_4arch9wavefront6targetE1EEEvT1_.kd
    .uniform_work_group_size: 1
    .uses_dynamic_stack: false
    .vgpr_count:     0
    .vgpr_spill_count: 0
    .wavefront_size: 64
  - .agpr_count:     0
    .args:
      - .offset:         0
        .size:           56
        .value_kind:     by_value
    .group_segment_fixed_size: 0
    .kernarg_segment_align: 8
    .kernarg_segment_size: 56
    .language:       OpenCL C
    .language_version:
      - 2
      - 0
    .max_flat_workgroup_size: 64
    .name:           _ZN7rocprim17ROCPRIM_400000_NS6detail17trampoline_kernelINS0_14default_configENS1_35adjacent_difference_config_selectorILb0EsEEZNS1_24adjacent_difference_implIS3_Lb0ELb0EPsS7_N6thrust23THRUST_200600_302600_NS5minusIsEEEE10hipError_tPvRmT2_T3_mT4_P12ihipStream_tbEUlT_E_NS1_11comp_targetILNS1_3genE9ELNS1_11target_archE1100ELNS1_3gpuE3ELNS1_3repE0EEENS1_30default_config_static_selectorELNS0_4arch9wavefront6targetE1EEEvT1_
    .private_segment_fixed_size: 0
    .sgpr_count:     6
    .sgpr_spill_count: 0
    .symbol:         _ZN7rocprim17ROCPRIM_400000_NS6detail17trampoline_kernelINS0_14default_configENS1_35adjacent_difference_config_selectorILb0EsEEZNS1_24adjacent_difference_implIS3_Lb0ELb0EPsS7_N6thrust23THRUST_200600_302600_NS5minusIsEEEE10hipError_tPvRmT2_T3_mT4_P12ihipStream_tbEUlT_E_NS1_11comp_targetILNS1_3genE9ELNS1_11target_archE1100ELNS1_3gpuE3ELNS1_3repE0EEENS1_30default_config_static_selectorELNS0_4arch9wavefront6targetE1EEEvT1_.kd
    .uniform_work_group_size: 1
    .uses_dynamic_stack: false
    .vgpr_count:     0
    .vgpr_spill_count: 0
    .wavefront_size: 64
  - .agpr_count:     0
    .args:
      - .offset:         0
        .size:           56
        .value_kind:     by_value
    .group_segment_fixed_size: 0
    .kernarg_segment_align: 8
    .kernarg_segment_size: 56
    .language:       OpenCL C
    .language_version:
      - 2
      - 0
    .max_flat_workgroup_size: 1024
    .name:           _ZN7rocprim17ROCPRIM_400000_NS6detail17trampoline_kernelINS0_14default_configENS1_35adjacent_difference_config_selectorILb0EsEEZNS1_24adjacent_difference_implIS3_Lb0ELb0EPsS7_N6thrust23THRUST_200600_302600_NS5minusIsEEEE10hipError_tPvRmT2_T3_mT4_P12ihipStream_tbEUlT_E_NS1_11comp_targetILNS1_3genE8ELNS1_11target_archE1030ELNS1_3gpuE2ELNS1_3repE0EEENS1_30default_config_static_selectorELNS0_4arch9wavefront6targetE1EEEvT1_
    .private_segment_fixed_size: 0
    .sgpr_count:     6
    .sgpr_spill_count: 0
    .symbol:         _ZN7rocprim17ROCPRIM_400000_NS6detail17trampoline_kernelINS0_14default_configENS1_35adjacent_difference_config_selectorILb0EsEEZNS1_24adjacent_difference_implIS3_Lb0ELb0EPsS7_N6thrust23THRUST_200600_302600_NS5minusIsEEEE10hipError_tPvRmT2_T3_mT4_P12ihipStream_tbEUlT_E_NS1_11comp_targetILNS1_3genE8ELNS1_11target_archE1030ELNS1_3gpuE2ELNS1_3repE0EEENS1_30default_config_static_selectorELNS0_4arch9wavefront6targetE1EEEvT1_.kd
    .uniform_work_group_size: 1
    .uses_dynamic_stack: false
    .vgpr_count:     0
    .vgpr_spill_count: 0
    .wavefront_size: 64
  - .agpr_count:     0
    .args:
      - .offset:         0
        .size:           56
        .value_kind:     by_value
    .group_segment_fixed_size: 0
    .kernarg_segment_align: 8
    .kernarg_segment_size: 56
    .language:       OpenCL C
    .language_version:
      - 2
      - 0
    .max_flat_workgroup_size: 128
    .name:           _ZN7rocprim17ROCPRIM_400000_NS6detail17trampoline_kernelINS0_14default_configENS1_25transform_config_selectorIsLb0EEEZNS1_14transform_implILb0ES3_S5_NS0_18transform_iteratorINS0_17counting_iteratorImlEEZNS1_24adjacent_difference_implIS3_Lb1ELb0EPsSB_N6thrust23THRUST_200600_302600_NS5minusIsEEEE10hipError_tPvRmT2_T3_mT4_P12ihipStream_tbEUlmE_sEESB_NS0_8identityIvEEEESG_SJ_SK_mSL_SN_bEUlT_E_NS1_11comp_targetILNS1_3genE0ELNS1_11target_archE4294967295ELNS1_3gpuE0ELNS1_3repE0EEENS1_30default_config_static_selectorELNS0_4arch9wavefront6targetE1EEEvT1_
    .private_segment_fixed_size: 0
    .sgpr_count:     6
    .sgpr_spill_count: 0
    .symbol:         _ZN7rocprim17ROCPRIM_400000_NS6detail17trampoline_kernelINS0_14default_configENS1_25transform_config_selectorIsLb0EEEZNS1_14transform_implILb0ES3_S5_NS0_18transform_iteratorINS0_17counting_iteratorImlEEZNS1_24adjacent_difference_implIS3_Lb1ELb0EPsSB_N6thrust23THRUST_200600_302600_NS5minusIsEEEE10hipError_tPvRmT2_T3_mT4_P12ihipStream_tbEUlmE_sEESB_NS0_8identityIvEEEESG_SJ_SK_mSL_SN_bEUlT_E_NS1_11comp_targetILNS1_3genE0ELNS1_11target_archE4294967295ELNS1_3gpuE0ELNS1_3repE0EEENS1_30default_config_static_selectorELNS0_4arch9wavefront6targetE1EEEvT1_.kd
    .uniform_work_group_size: 1
    .uses_dynamic_stack: false
    .vgpr_count:     0
    .vgpr_spill_count: 0
    .wavefront_size: 64
  - .agpr_count:     0
    .args:
      - .offset:         0
        .size:           56
        .value_kind:     by_value
      - .offset:         56
        .size:           4
        .value_kind:     hidden_block_count_x
      - .offset:         60
        .size:           4
        .value_kind:     hidden_block_count_y
      - .offset:         64
        .size:           4
        .value_kind:     hidden_block_count_z
      - .offset:         68
        .size:           2
        .value_kind:     hidden_group_size_x
      - .offset:         70
        .size:           2
        .value_kind:     hidden_group_size_y
      - .offset:         72
        .size:           2
        .value_kind:     hidden_group_size_z
      - .offset:         74
        .size:           2
        .value_kind:     hidden_remainder_x
      - .offset:         76
        .size:           2
        .value_kind:     hidden_remainder_y
      - .offset:         78
        .size:           2
        .value_kind:     hidden_remainder_z
      - .offset:         96
        .size:           8
        .value_kind:     hidden_global_offset_x
      - .offset:         104
        .size:           8
        .value_kind:     hidden_global_offset_y
      - .offset:         112
        .size:           8
        .value_kind:     hidden_global_offset_z
      - .offset:         120
        .size:           2
        .value_kind:     hidden_grid_dims
    .group_segment_fixed_size: 0
    .kernarg_segment_align: 8
    .kernarg_segment_size: 312
    .language:       OpenCL C
    .language_version:
      - 2
      - 0
    .max_flat_workgroup_size: 256
    .name:           _ZN7rocprim17ROCPRIM_400000_NS6detail17trampoline_kernelINS0_14default_configENS1_25transform_config_selectorIsLb0EEEZNS1_14transform_implILb0ES3_S5_NS0_18transform_iteratorINS0_17counting_iteratorImlEEZNS1_24adjacent_difference_implIS3_Lb1ELb0EPsSB_N6thrust23THRUST_200600_302600_NS5minusIsEEEE10hipError_tPvRmT2_T3_mT4_P12ihipStream_tbEUlmE_sEESB_NS0_8identityIvEEEESG_SJ_SK_mSL_SN_bEUlT_E_NS1_11comp_targetILNS1_3genE5ELNS1_11target_archE942ELNS1_3gpuE9ELNS1_3repE0EEENS1_30default_config_static_selectorELNS0_4arch9wavefront6targetE1EEEvT1_
    .private_segment_fixed_size: 0
    .sgpr_count:     34
    .sgpr_spill_count: 0
    .symbol:         _ZN7rocprim17ROCPRIM_400000_NS6detail17trampoline_kernelINS0_14default_configENS1_25transform_config_selectorIsLb0EEEZNS1_14transform_implILb0ES3_S5_NS0_18transform_iteratorINS0_17counting_iteratorImlEEZNS1_24adjacent_difference_implIS3_Lb1ELb0EPsSB_N6thrust23THRUST_200600_302600_NS5minusIsEEEE10hipError_tPvRmT2_T3_mT4_P12ihipStream_tbEUlmE_sEESB_NS0_8identityIvEEEESG_SJ_SK_mSL_SN_bEUlT_E_NS1_11comp_targetILNS1_3genE5ELNS1_11target_archE942ELNS1_3gpuE9ELNS1_3repE0EEENS1_30default_config_static_selectorELNS0_4arch9wavefront6targetE1EEEvT1_.kd
    .uniform_work_group_size: 1
    .uses_dynamic_stack: false
    .vgpr_count:     19
    .vgpr_spill_count: 0
    .wavefront_size: 64
  - .agpr_count:     0
    .args:
      - .offset:         0
        .size:           56
        .value_kind:     by_value
    .group_segment_fixed_size: 0
    .kernarg_segment_align: 8
    .kernarg_segment_size: 56
    .language:       OpenCL C
    .language_version:
      - 2
      - 0
    .max_flat_workgroup_size: 64
    .name:           _ZN7rocprim17ROCPRIM_400000_NS6detail17trampoline_kernelINS0_14default_configENS1_25transform_config_selectorIsLb0EEEZNS1_14transform_implILb0ES3_S5_NS0_18transform_iteratorINS0_17counting_iteratorImlEEZNS1_24adjacent_difference_implIS3_Lb1ELb0EPsSB_N6thrust23THRUST_200600_302600_NS5minusIsEEEE10hipError_tPvRmT2_T3_mT4_P12ihipStream_tbEUlmE_sEESB_NS0_8identityIvEEEESG_SJ_SK_mSL_SN_bEUlT_E_NS1_11comp_targetILNS1_3genE4ELNS1_11target_archE910ELNS1_3gpuE8ELNS1_3repE0EEENS1_30default_config_static_selectorELNS0_4arch9wavefront6targetE1EEEvT1_
    .private_segment_fixed_size: 0
    .sgpr_count:     6
    .sgpr_spill_count: 0
    .symbol:         _ZN7rocprim17ROCPRIM_400000_NS6detail17trampoline_kernelINS0_14default_configENS1_25transform_config_selectorIsLb0EEEZNS1_14transform_implILb0ES3_S5_NS0_18transform_iteratorINS0_17counting_iteratorImlEEZNS1_24adjacent_difference_implIS3_Lb1ELb0EPsSB_N6thrust23THRUST_200600_302600_NS5minusIsEEEE10hipError_tPvRmT2_T3_mT4_P12ihipStream_tbEUlmE_sEESB_NS0_8identityIvEEEESG_SJ_SK_mSL_SN_bEUlT_E_NS1_11comp_targetILNS1_3genE4ELNS1_11target_archE910ELNS1_3gpuE8ELNS1_3repE0EEENS1_30default_config_static_selectorELNS0_4arch9wavefront6targetE1EEEvT1_.kd
    .uniform_work_group_size: 1
    .uses_dynamic_stack: false
    .vgpr_count:     0
    .vgpr_spill_count: 0
    .wavefront_size: 64
  - .agpr_count:     0
    .args:
      - .offset:         0
        .size:           56
        .value_kind:     by_value
    .group_segment_fixed_size: 0
    .kernarg_segment_align: 8
    .kernarg_segment_size: 56
    .language:       OpenCL C
    .language_version:
      - 2
      - 0
    .max_flat_workgroup_size: 128
    .name:           _ZN7rocprim17ROCPRIM_400000_NS6detail17trampoline_kernelINS0_14default_configENS1_25transform_config_selectorIsLb0EEEZNS1_14transform_implILb0ES3_S5_NS0_18transform_iteratorINS0_17counting_iteratorImlEEZNS1_24adjacent_difference_implIS3_Lb1ELb0EPsSB_N6thrust23THRUST_200600_302600_NS5minusIsEEEE10hipError_tPvRmT2_T3_mT4_P12ihipStream_tbEUlmE_sEESB_NS0_8identityIvEEEESG_SJ_SK_mSL_SN_bEUlT_E_NS1_11comp_targetILNS1_3genE3ELNS1_11target_archE908ELNS1_3gpuE7ELNS1_3repE0EEENS1_30default_config_static_selectorELNS0_4arch9wavefront6targetE1EEEvT1_
    .private_segment_fixed_size: 0
    .sgpr_count:     6
    .sgpr_spill_count: 0
    .symbol:         _ZN7rocprim17ROCPRIM_400000_NS6detail17trampoline_kernelINS0_14default_configENS1_25transform_config_selectorIsLb0EEEZNS1_14transform_implILb0ES3_S5_NS0_18transform_iteratorINS0_17counting_iteratorImlEEZNS1_24adjacent_difference_implIS3_Lb1ELb0EPsSB_N6thrust23THRUST_200600_302600_NS5minusIsEEEE10hipError_tPvRmT2_T3_mT4_P12ihipStream_tbEUlmE_sEESB_NS0_8identityIvEEEESG_SJ_SK_mSL_SN_bEUlT_E_NS1_11comp_targetILNS1_3genE3ELNS1_11target_archE908ELNS1_3gpuE7ELNS1_3repE0EEENS1_30default_config_static_selectorELNS0_4arch9wavefront6targetE1EEEvT1_.kd
    .uniform_work_group_size: 1
    .uses_dynamic_stack: false
    .vgpr_count:     0
    .vgpr_spill_count: 0
    .wavefront_size: 64
  - .agpr_count:     0
    .args:
      - .offset:         0
        .size:           56
        .value_kind:     by_value
    .group_segment_fixed_size: 0
    .kernarg_segment_align: 8
    .kernarg_segment_size: 56
    .language:       OpenCL C
    .language_version:
      - 2
      - 0
    .max_flat_workgroup_size: 512
    .name:           _ZN7rocprim17ROCPRIM_400000_NS6detail17trampoline_kernelINS0_14default_configENS1_25transform_config_selectorIsLb0EEEZNS1_14transform_implILb0ES3_S5_NS0_18transform_iteratorINS0_17counting_iteratorImlEEZNS1_24adjacent_difference_implIS3_Lb1ELb0EPsSB_N6thrust23THRUST_200600_302600_NS5minusIsEEEE10hipError_tPvRmT2_T3_mT4_P12ihipStream_tbEUlmE_sEESB_NS0_8identityIvEEEESG_SJ_SK_mSL_SN_bEUlT_E_NS1_11comp_targetILNS1_3genE2ELNS1_11target_archE906ELNS1_3gpuE6ELNS1_3repE0EEENS1_30default_config_static_selectorELNS0_4arch9wavefront6targetE1EEEvT1_
    .private_segment_fixed_size: 0
    .sgpr_count:     6
    .sgpr_spill_count: 0
    .symbol:         _ZN7rocprim17ROCPRIM_400000_NS6detail17trampoline_kernelINS0_14default_configENS1_25transform_config_selectorIsLb0EEEZNS1_14transform_implILb0ES3_S5_NS0_18transform_iteratorINS0_17counting_iteratorImlEEZNS1_24adjacent_difference_implIS3_Lb1ELb0EPsSB_N6thrust23THRUST_200600_302600_NS5minusIsEEEE10hipError_tPvRmT2_T3_mT4_P12ihipStream_tbEUlmE_sEESB_NS0_8identityIvEEEESG_SJ_SK_mSL_SN_bEUlT_E_NS1_11comp_targetILNS1_3genE2ELNS1_11target_archE906ELNS1_3gpuE6ELNS1_3repE0EEENS1_30default_config_static_selectorELNS0_4arch9wavefront6targetE1EEEvT1_.kd
    .uniform_work_group_size: 1
    .uses_dynamic_stack: false
    .vgpr_count:     0
    .vgpr_spill_count: 0
    .wavefront_size: 64
  - .agpr_count:     0
    .args:
      - .offset:         0
        .size:           56
        .value_kind:     by_value
    .group_segment_fixed_size: 0
    .kernarg_segment_align: 8
    .kernarg_segment_size: 56
    .language:       OpenCL C
    .language_version:
      - 2
      - 0
    .max_flat_workgroup_size: 1024
    .name:           _ZN7rocprim17ROCPRIM_400000_NS6detail17trampoline_kernelINS0_14default_configENS1_25transform_config_selectorIsLb0EEEZNS1_14transform_implILb0ES3_S5_NS0_18transform_iteratorINS0_17counting_iteratorImlEEZNS1_24adjacent_difference_implIS3_Lb1ELb0EPsSB_N6thrust23THRUST_200600_302600_NS5minusIsEEEE10hipError_tPvRmT2_T3_mT4_P12ihipStream_tbEUlmE_sEESB_NS0_8identityIvEEEESG_SJ_SK_mSL_SN_bEUlT_E_NS1_11comp_targetILNS1_3genE10ELNS1_11target_archE1201ELNS1_3gpuE5ELNS1_3repE0EEENS1_30default_config_static_selectorELNS0_4arch9wavefront6targetE1EEEvT1_
    .private_segment_fixed_size: 0
    .sgpr_count:     6
    .sgpr_spill_count: 0
    .symbol:         _ZN7rocprim17ROCPRIM_400000_NS6detail17trampoline_kernelINS0_14default_configENS1_25transform_config_selectorIsLb0EEEZNS1_14transform_implILb0ES3_S5_NS0_18transform_iteratorINS0_17counting_iteratorImlEEZNS1_24adjacent_difference_implIS3_Lb1ELb0EPsSB_N6thrust23THRUST_200600_302600_NS5minusIsEEEE10hipError_tPvRmT2_T3_mT4_P12ihipStream_tbEUlmE_sEESB_NS0_8identityIvEEEESG_SJ_SK_mSL_SN_bEUlT_E_NS1_11comp_targetILNS1_3genE10ELNS1_11target_archE1201ELNS1_3gpuE5ELNS1_3repE0EEENS1_30default_config_static_selectorELNS0_4arch9wavefront6targetE1EEEvT1_.kd
    .uniform_work_group_size: 1
    .uses_dynamic_stack: false
    .vgpr_count:     0
    .vgpr_spill_count: 0
    .wavefront_size: 64
  - .agpr_count:     0
    .args:
      - .offset:         0
        .size:           56
        .value_kind:     by_value
    .group_segment_fixed_size: 0
    .kernarg_segment_align: 8
    .kernarg_segment_size: 56
    .language:       OpenCL C
    .language_version:
      - 2
      - 0
    .max_flat_workgroup_size: 512
    .name:           _ZN7rocprim17ROCPRIM_400000_NS6detail17trampoline_kernelINS0_14default_configENS1_25transform_config_selectorIsLb0EEEZNS1_14transform_implILb0ES3_S5_NS0_18transform_iteratorINS0_17counting_iteratorImlEEZNS1_24adjacent_difference_implIS3_Lb1ELb0EPsSB_N6thrust23THRUST_200600_302600_NS5minusIsEEEE10hipError_tPvRmT2_T3_mT4_P12ihipStream_tbEUlmE_sEESB_NS0_8identityIvEEEESG_SJ_SK_mSL_SN_bEUlT_E_NS1_11comp_targetILNS1_3genE10ELNS1_11target_archE1200ELNS1_3gpuE4ELNS1_3repE0EEENS1_30default_config_static_selectorELNS0_4arch9wavefront6targetE1EEEvT1_
    .private_segment_fixed_size: 0
    .sgpr_count:     6
    .sgpr_spill_count: 0
    .symbol:         _ZN7rocprim17ROCPRIM_400000_NS6detail17trampoline_kernelINS0_14default_configENS1_25transform_config_selectorIsLb0EEEZNS1_14transform_implILb0ES3_S5_NS0_18transform_iteratorINS0_17counting_iteratorImlEEZNS1_24adjacent_difference_implIS3_Lb1ELb0EPsSB_N6thrust23THRUST_200600_302600_NS5minusIsEEEE10hipError_tPvRmT2_T3_mT4_P12ihipStream_tbEUlmE_sEESB_NS0_8identityIvEEEESG_SJ_SK_mSL_SN_bEUlT_E_NS1_11comp_targetILNS1_3genE10ELNS1_11target_archE1200ELNS1_3gpuE4ELNS1_3repE0EEENS1_30default_config_static_selectorELNS0_4arch9wavefront6targetE1EEEvT1_.kd
    .uniform_work_group_size: 1
    .uses_dynamic_stack: false
    .vgpr_count:     0
    .vgpr_spill_count: 0
    .wavefront_size: 64
  - .agpr_count:     0
    .args:
      - .offset:         0
        .size:           56
        .value_kind:     by_value
    .group_segment_fixed_size: 0
    .kernarg_segment_align: 8
    .kernarg_segment_size: 56
    .language:       OpenCL C
    .language_version:
      - 2
      - 0
    .max_flat_workgroup_size: 1024
    .name:           _ZN7rocprim17ROCPRIM_400000_NS6detail17trampoline_kernelINS0_14default_configENS1_25transform_config_selectorIsLb0EEEZNS1_14transform_implILb0ES3_S5_NS0_18transform_iteratorINS0_17counting_iteratorImlEEZNS1_24adjacent_difference_implIS3_Lb1ELb0EPsSB_N6thrust23THRUST_200600_302600_NS5minusIsEEEE10hipError_tPvRmT2_T3_mT4_P12ihipStream_tbEUlmE_sEESB_NS0_8identityIvEEEESG_SJ_SK_mSL_SN_bEUlT_E_NS1_11comp_targetILNS1_3genE9ELNS1_11target_archE1100ELNS1_3gpuE3ELNS1_3repE0EEENS1_30default_config_static_selectorELNS0_4arch9wavefront6targetE1EEEvT1_
    .private_segment_fixed_size: 0
    .sgpr_count:     6
    .sgpr_spill_count: 0
    .symbol:         _ZN7rocprim17ROCPRIM_400000_NS6detail17trampoline_kernelINS0_14default_configENS1_25transform_config_selectorIsLb0EEEZNS1_14transform_implILb0ES3_S5_NS0_18transform_iteratorINS0_17counting_iteratorImlEEZNS1_24adjacent_difference_implIS3_Lb1ELb0EPsSB_N6thrust23THRUST_200600_302600_NS5minusIsEEEE10hipError_tPvRmT2_T3_mT4_P12ihipStream_tbEUlmE_sEESB_NS0_8identityIvEEEESG_SJ_SK_mSL_SN_bEUlT_E_NS1_11comp_targetILNS1_3genE9ELNS1_11target_archE1100ELNS1_3gpuE3ELNS1_3repE0EEENS1_30default_config_static_selectorELNS0_4arch9wavefront6targetE1EEEvT1_.kd
    .uniform_work_group_size: 1
    .uses_dynamic_stack: false
    .vgpr_count:     0
    .vgpr_spill_count: 0
    .wavefront_size: 64
  - .agpr_count:     0
    .args:
      - .offset:         0
        .size:           56
        .value_kind:     by_value
    .group_segment_fixed_size: 0
    .kernarg_segment_align: 8
    .kernarg_segment_size: 56
    .language:       OpenCL C
    .language_version:
      - 2
      - 0
    .max_flat_workgroup_size: 1024
    .name:           _ZN7rocprim17ROCPRIM_400000_NS6detail17trampoline_kernelINS0_14default_configENS1_25transform_config_selectorIsLb0EEEZNS1_14transform_implILb0ES3_S5_NS0_18transform_iteratorINS0_17counting_iteratorImlEEZNS1_24adjacent_difference_implIS3_Lb1ELb0EPsSB_N6thrust23THRUST_200600_302600_NS5minusIsEEEE10hipError_tPvRmT2_T3_mT4_P12ihipStream_tbEUlmE_sEESB_NS0_8identityIvEEEESG_SJ_SK_mSL_SN_bEUlT_E_NS1_11comp_targetILNS1_3genE8ELNS1_11target_archE1030ELNS1_3gpuE2ELNS1_3repE0EEENS1_30default_config_static_selectorELNS0_4arch9wavefront6targetE1EEEvT1_
    .private_segment_fixed_size: 0
    .sgpr_count:     6
    .sgpr_spill_count: 0
    .symbol:         _ZN7rocprim17ROCPRIM_400000_NS6detail17trampoline_kernelINS0_14default_configENS1_25transform_config_selectorIsLb0EEEZNS1_14transform_implILb0ES3_S5_NS0_18transform_iteratorINS0_17counting_iteratorImlEEZNS1_24adjacent_difference_implIS3_Lb1ELb0EPsSB_N6thrust23THRUST_200600_302600_NS5minusIsEEEE10hipError_tPvRmT2_T3_mT4_P12ihipStream_tbEUlmE_sEESB_NS0_8identityIvEEEESG_SJ_SK_mSL_SN_bEUlT_E_NS1_11comp_targetILNS1_3genE8ELNS1_11target_archE1030ELNS1_3gpuE2ELNS1_3repE0EEENS1_30default_config_static_selectorELNS0_4arch9wavefront6targetE1EEEvT1_.kd
    .uniform_work_group_size: 1
    .uses_dynamic_stack: false
    .vgpr_count:     0
    .vgpr_spill_count: 0
    .wavefront_size: 64
  - .agpr_count:     0
    .args:
      - .offset:         0
        .size:           56
        .value_kind:     by_value
    .group_segment_fixed_size: 0
    .kernarg_segment_align: 8
    .kernarg_segment_size: 56
    .language:       OpenCL C
    .language_version:
      - 2
      - 0
    .max_flat_workgroup_size: 32
    .name:           _ZN7rocprim17ROCPRIM_400000_NS6detail17trampoline_kernelINS0_14default_configENS1_35adjacent_difference_config_selectorILb1EsEEZNS1_24adjacent_difference_implIS3_Lb1ELb0EPsS7_N6thrust23THRUST_200600_302600_NS5minusIsEEEE10hipError_tPvRmT2_T3_mT4_P12ihipStream_tbEUlT_E_NS1_11comp_targetILNS1_3genE0ELNS1_11target_archE4294967295ELNS1_3gpuE0ELNS1_3repE0EEENS1_30default_config_static_selectorELNS0_4arch9wavefront6targetE1EEEvT1_
    .private_segment_fixed_size: 0
    .sgpr_count:     6
    .sgpr_spill_count: 0
    .symbol:         _ZN7rocprim17ROCPRIM_400000_NS6detail17trampoline_kernelINS0_14default_configENS1_35adjacent_difference_config_selectorILb1EsEEZNS1_24adjacent_difference_implIS3_Lb1ELb0EPsS7_N6thrust23THRUST_200600_302600_NS5minusIsEEEE10hipError_tPvRmT2_T3_mT4_P12ihipStream_tbEUlT_E_NS1_11comp_targetILNS1_3genE0ELNS1_11target_archE4294967295ELNS1_3gpuE0ELNS1_3repE0EEENS1_30default_config_static_selectorELNS0_4arch9wavefront6targetE1EEEvT1_.kd
    .uniform_work_group_size: 1
    .uses_dynamic_stack: false
    .vgpr_count:     0
    .vgpr_spill_count: 0
    .wavefront_size: 64
  - .agpr_count:     0
    .args:
      - .offset:         0
        .size:           56
        .value_kind:     by_value
    .group_segment_fixed_size: 0
    .kernarg_segment_align: 8
    .kernarg_segment_size: 56
    .language:       OpenCL C
    .language_version:
      - 2
      - 0
    .max_flat_workgroup_size: 512
    .name:           _ZN7rocprim17ROCPRIM_400000_NS6detail17trampoline_kernelINS0_14default_configENS1_35adjacent_difference_config_selectorILb1EsEEZNS1_24adjacent_difference_implIS3_Lb1ELb0EPsS7_N6thrust23THRUST_200600_302600_NS5minusIsEEEE10hipError_tPvRmT2_T3_mT4_P12ihipStream_tbEUlT_E_NS1_11comp_targetILNS1_3genE10ELNS1_11target_archE1201ELNS1_3gpuE5ELNS1_3repE0EEENS1_30default_config_static_selectorELNS0_4arch9wavefront6targetE1EEEvT1_
    .private_segment_fixed_size: 0
    .sgpr_count:     6
    .sgpr_spill_count: 0
    .symbol:         _ZN7rocprim17ROCPRIM_400000_NS6detail17trampoline_kernelINS0_14default_configENS1_35adjacent_difference_config_selectorILb1EsEEZNS1_24adjacent_difference_implIS3_Lb1ELb0EPsS7_N6thrust23THRUST_200600_302600_NS5minusIsEEEE10hipError_tPvRmT2_T3_mT4_P12ihipStream_tbEUlT_E_NS1_11comp_targetILNS1_3genE10ELNS1_11target_archE1201ELNS1_3gpuE5ELNS1_3repE0EEENS1_30default_config_static_selectorELNS0_4arch9wavefront6targetE1EEEvT1_.kd
    .uniform_work_group_size: 1
    .uses_dynamic_stack: false
    .vgpr_count:     0
    .vgpr_spill_count: 0
    .wavefront_size: 64
  - .agpr_count:     0
    .args:
      - .offset:         0
        .size:           56
        .value_kind:     by_value
    .group_segment_fixed_size: 3968
    .kernarg_segment_align: 8
    .kernarg_segment_size: 56
    .language:       OpenCL C
    .language_version:
      - 2
      - 0
    .max_flat_workgroup_size: 64
    .name:           _ZN7rocprim17ROCPRIM_400000_NS6detail17trampoline_kernelINS0_14default_configENS1_35adjacent_difference_config_selectorILb1EsEEZNS1_24adjacent_difference_implIS3_Lb1ELb0EPsS7_N6thrust23THRUST_200600_302600_NS5minusIsEEEE10hipError_tPvRmT2_T3_mT4_P12ihipStream_tbEUlT_E_NS1_11comp_targetILNS1_3genE5ELNS1_11target_archE942ELNS1_3gpuE9ELNS1_3repE0EEENS1_30default_config_static_selectorELNS0_4arch9wavefront6targetE1EEEvT1_
    .private_segment_fixed_size: 0
    .sgpr_count:     35
    .sgpr_spill_count: 0
    .symbol:         _ZN7rocprim17ROCPRIM_400000_NS6detail17trampoline_kernelINS0_14default_configENS1_35adjacent_difference_config_selectorILb1EsEEZNS1_24adjacent_difference_implIS3_Lb1ELb0EPsS7_N6thrust23THRUST_200600_302600_NS5minusIsEEEE10hipError_tPvRmT2_T3_mT4_P12ihipStream_tbEUlT_E_NS1_11comp_targetILNS1_3genE5ELNS1_11target_archE942ELNS1_3gpuE9ELNS1_3repE0EEENS1_30default_config_static_selectorELNS0_4arch9wavefront6targetE1EEEvT1_.kd
    .uniform_work_group_size: 1
    .uses_dynamic_stack: false
    .vgpr_count:     56
    .vgpr_spill_count: 0
    .wavefront_size: 64
  - .agpr_count:     0
    .args:
      - .offset:         0
        .size:           56
        .value_kind:     by_value
    .group_segment_fixed_size: 0
    .kernarg_segment_align: 8
    .kernarg_segment_size: 56
    .language:       OpenCL C
    .language_version:
      - 2
      - 0
    .max_flat_workgroup_size: 64
    .name:           _ZN7rocprim17ROCPRIM_400000_NS6detail17trampoline_kernelINS0_14default_configENS1_35adjacent_difference_config_selectorILb1EsEEZNS1_24adjacent_difference_implIS3_Lb1ELb0EPsS7_N6thrust23THRUST_200600_302600_NS5minusIsEEEE10hipError_tPvRmT2_T3_mT4_P12ihipStream_tbEUlT_E_NS1_11comp_targetILNS1_3genE4ELNS1_11target_archE910ELNS1_3gpuE8ELNS1_3repE0EEENS1_30default_config_static_selectorELNS0_4arch9wavefront6targetE1EEEvT1_
    .private_segment_fixed_size: 0
    .sgpr_count:     6
    .sgpr_spill_count: 0
    .symbol:         _ZN7rocprim17ROCPRIM_400000_NS6detail17trampoline_kernelINS0_14default_configENS1_35adjacent_difference_config_selectorILb1EsEEZNS1_24adjacent_difference_implIS3_Lb1ELb0EPsS7_N6thrust23THRUST_200600_302600_NS5minusIsEEEE10hipError_tPvRmT2_T3_mT4_P12ihipStream_tbEUlT_E_NS1_11comp_targetILNS1_3genE4ELNS1_11target_archE910ELNS1_3gpuE8ELNS1_3repE0EEENS1_30default_config_static_selectorELNS0_4arch9wavefront6targetE1EEEvT1_.kd
    .uniform_work_group_size: 1
    .uses_dynamic_stack: false
    .vgpr_count:     0
    .vgpr_spill_count: 0
    .wavefront_size: 64
  - .agpr_count:     0
    .args:
      - .offset:         0
        .size:           56
        .value_kind:     by_value
    .group_segment_fixed_size: 0
    .kernarg_segment_align: 8
    .kernarg_segment_size: 56
    .language:       OpenCL C
    .language_version:
      - 2
      - 0
    .max_flat_workgroup_size: 32
    .name:           _ZN7rocprim17ROCPRIM_400000_NS6detail17trampoline_kernelINS0_14default_configENS1_35adjacent_difference_config_selectorILb1EsEEZNS1_24adjacent_difference_implIS3_Lb1ELb0EPsS7_N6thrust23THRUST_200600_302600_NS5minusIsEEEE10hipError_tPvRmT2_T3_mT4_P12ihipStream_tbEUlT_E_NS1_11comp_targetILNS1_3genE3ELNS1_11target_archE908ELNS1_3gpuE7ELNS1_3repE0EEENS1_30default_config_static_selectorELNS0_4arch9wavefront6targetE1EEEvT1_
    .private_segment_fixed_size: 0
    .sgpr_count:     6
    .sgpr_spill_count: 0
    .symbol:         _ZN7rocprim17ROCPRIM_400000_NS6detail17trampoline_kernelINS0_14default_configENS1_35adjacent_difference_config_selectorILb1EsEEZNS1_24adjacent_difference_implIS3_Lb1ELb0EPsS7_N6thrust23THRUST_200600_302600_NS5minusIsEEEE10hipError_tPvRmT2_T3_mT4_P12ihipStream_tbEUlT_E_NS1_11comp_targetILNS1_3genE3ELNS1_11target_archE908ELNS1_3gpuE7ELNS1_3repE0EEENS1_30default_config_static_selectorELNS0_4arch9wavefront6targetE1EEEvT1_.kd
    .uniform_work_group_size: 1
    .uses_dynamic_stack: false
    .vgpr_count:     0
    .vgpr_spill_count: 0
    .wavefront_size: 64
  - .agpr_count:     0
    .args:
      - .offset:         0
        .size:           56
        .value_kind:     by_value
    .group_segment_fixed_size: 0
    .kernarg_segment_align: 8
    .kernarg_segment_size: 56
    .language:       OpenCL C
    .language_version:
      - 2
      - 0
    .max_flat_workgroup_size: 64
    .name:           _ZN7rocprim17ROCPRIM_400000_NS6detail17trampoline_kernelINS0_14default_configENS1_35adjacent_difference_config_selectorILb1EsEEZNS1_24adjacent_difference_implIS3_Lb1ELb0EPsS7_N6thrust23THRUST_200600_302600_NS5minusIsEEEE10hipError_tPvRmT2_T3_mT4_P12ihipStream_tbEUlT_E_NS1_11comp_targetILNS1_3genE2ELNS1_11target_archE906ELNS1_3gpuE6ELNS1_3repE0EEENS1_30default_config_static_selectorELNS0_4arch9wavefront6targetE1EEEvT1_
    .private_segment_fixed_size: 0
    .sgpr_count:     6
    .sgpr_spill_count: 0
    .symbol:         _ZN7rocprim17ROCPRIM_400000_NS6detail17trampoline_kernelINS0_14default_configENS1_35adjacent_difference_config_selectorILb1EsEEZNS1_24adjacent_difference_implIS3_Lb1ELb0EPsS7_N6thrust23THRUST_200600_302600_NS5minusIsEEEE10hipError_tPvRmT2_T3_mT4_P12ihipStream_tbEUlT_E_NS1_11comp_targetILNS1_3genE2ELNS1_11target_archE906ELNS1_3gpuE6ELNS1_3repE0EEENS1_30default_config_static_selectorELNS0_4arch9wavefront6targetE1EEEvT1_.kd
    .uniform_work_group_size: 1
    .uses_dynamic_stack: false
    .vgpr_count:     0
    .vgpr_spill_count: 0
    .wavefront_size: 64
  - .agpr_count:     0
    .args:
      - .offset:         0
        .size:           56
        .value_kind:     by_value
    .group_segment_fixed_size: 0
    .kernarg_segment_align: 8
    .kernarg_segment_size: 56
    .language:       OpenCL C
    .language_version:
      - 2
      - 0
    .max_flat_workgroup_size: 128
    .name:           _ZN7rocprim17ROCPRIM_400000_NS6detail17trampoline_kernelINS0_14default_configENS1_35adjacent_difference_config_selectorILb1EsEEZNS1_24adjacent_difference_implIS3_Lb1ELb0EPsS7_N6thrust23THRUST_200600_302600_NS5minusIsEEEE10hipError_tPvRmT2_T3_mT4_P12ihipStream_tbEUlT_E_NS1_11comp_targetILNS1_3genE9ELNS1_11target_archE1100ELNS1_3gpuE3ELNS1_3repE0EEENS1_30default_config_static_selectorELNS0_4arch9wavefront6targetE1EEEvT1_
    .private_segment_fixed_size: 0
    .sgpr_count:     6
    .sgpr_spill_count: 0
    .symbol:         _ZN7rocprim17ROCPRIM_400000_NS6detail17trampoline_kernelINS0_14default_configENS1_35adjacent_difference_config_selectorILb1EsEEZNS1_24adjacent_difference_implIS3_Lb1ELb0EPsS7_N6thrust23THRUST_200600_302600_NS5minusIsEEEE10hipError_tPvRmT2_T3_mT4_P12ihipStream_tbEUlT_E_NS1_11comp_targetILNS1_3genE9ELNS1_11target_archE1100ELNS1_3gpuE3ELNS1_3repE0EEENS1_30default_config_static_selectorELNS0_4arch9wavefront6targetE1EEEvT1_.kd
    .uniform_work_group_size: 1
    .uses_dynamic_stack: false
    .vgpr_count:     0
    .vgpr_spill_count: 0
    .wavefront_size: 64
  - .agpr_count:     0
    .args:
      - .offset:         0
        .size:           56
        .value_kind:     by_value
    .group_segment_fixed_size: 0
    .kernarg_segment_align: 8
    .kernarg_segment_size: 56
    .language:       OpenCL C
    .language_version:
      - 2
      - 0
    .max_flat_workgroup_size: 512
    .name:           _ZN7rocprim17ROCPRIM_400000_NS6detail17trampoline_kernelINS0_14default_configENS1_35adjacent_difference_config_selectorILb1EsEEZNS1_24adjacent_difference_implIS3_Lb1ELb0EPsS7_N6thrust23THRUST_200600_302600_NS5minusIsEEEE10hipError_tPvRmT2_T3_mT4_P12ihipStream_tbEUlT_E_NS1_11comp_targetILNS1_3genE8ELNS1_11target_archE1030ELNS1_3gpuE2ELNS1_3repE0EEENS1_30default_config_static_selectorELNS0_4arch9wavefront6targetE1EEEvT1_
    .private_segment_fixed_size: 0
    .sgpr_count:     6
    .sgpr_spill_count: 0
    .symbol:         _ZN7rocprim17ROCPRIM_400000_NS6detail17trampoline_kernelINS0_14default_configENS1_35adjacent_difference_config_selectorILb1EsEEZNS1_24adjacent_difference_implIS3_Lb1ELb0EPsS7_N6thrust23THRUST_200600_302600_NS5minusIsEEEE10hipError_tPvRmT2_T3_mT4_P12ihipStream_tbEUlT_E_NS1_11comp_targetILNS1_3genE8ELNS1_11target_archE1030ELNS1_3gpuE2ELNS1_3repE0EEENS1_30default_config_static_selectorELNS0_4arch9wavefront6targetE1EEEvT1_.kd
    .uniform_work_group_size: 1
    .uses_dynamic_stack: false
    .vgpr_count:     0
    .vgpr_spill_count: 0
    .wavefront_size: 64
  - .agpr_count:     0
    .args:
      - .offset:         0
        .size:           56
        .value_kind:     by_value
    .group_segment_fixed_size: 0
    .kernarg_segment_align: 8
    .kernarg_segment_size: 56
    .language:       OpenCL C
    .language_version:
      - 2
      - 0
    .max_flat_workgroup_size: 64
    .name:           _ZN7rocprim17ROCPRIM_400000_NS6detail17trampoline_kernelINS0_14default_configENS1_35adjacent_difference_config_selectorILb0EsEEZNS1_24adjacent_difference_implIS3_Lb0ELb0EPsS7_N6thrust23THRUST_200600_302600_NS4plusIsEEEE10hipError_tPvRmT2_T3_mT4_P12ihipStream_tbEUlT_E_NS1_11comp_targetILNS1_3genE0ELNS1_11target_archE4294967295ELNS1_3gpuE0ELNS1_3repE0EEENS1_30default_config_static_selectorELNS0_4arch9wavefront6targetE1EEEvT1_
    .private_segment_fixed_size: 0
    .sgpr_count:     6
    .sgpr_spill_count: 0
    .symbol:         _ZN7rocprim17ROCPRIM_400000_NS6detail17trampoline_kernelINS0_14default_configENS1_35adjacent_difference_config_selectorILb0EsEEZNS1_24adjacent_difference_implIS3_Lb0ELb0EPsS7_N6thrust23THRUST_200600_302600_NS4plusIsEEEE10hipError_tPvRmT2_T3_mT4_P12ihipStream_tbEUlT_E_NS1_11comp_targetILNS1_3genE0ELNS1_11target_archE4294967295ELNS1_3gpuE0ELNS1_3repE0EEENS1_30default_config_static_selectorELNS0_4arch9wavefront6targetE1EEEvT1_.kd
    .uniform_work_group_size: 1
    .uses_dynamic_stack: false
    .vgpr_count:     0
    .vgpr_spill_count: 0
    .wavefront_size: 64
  - .agpr_count:     0
    .args:
      - .offset:         0
        .size:           56
        .value_kind:     by_value
    .group_segment_fixed_size: 0
    .kernarg_segment_align: 8
    .kernarg_segment_size: 56
    .language:       OpenCL C
    .language_version:
      - 2
      - 0
    .max_flat_workgroup_size: 128
    .name:           _ZN7rocprim17ROCPRIM_400000_NS6detail17trampoline_kernelINS0_14default_configENS1_35adjacent_difference_config_selectorILb0EsEEZNS1_24adjacent_difference_implIS3_Lb0ELb0EPsS7_N6thrust23THRUST_200600_302600_NS4plusIsEEEE10hipError_tPvRmT2_T3_mT4_P12ihipStream_tbEUlT_E_NS1_11comp_targetILNS1_3genE10ELNS1_11target_archE1201ELNS1_3gpuE5ELNS1_3repE0EEENS1_30default_config_static_selectorELNS0_4arch9wavefront6targetE1EEEvT1_
    .private_segment_fixed_size: 0
    .sgpr_count:     6
    .sgpr_spill_count: 0
    .symbol:         _ZN7rocprim17ROCPRIM_400000_NS6detail17trampoline_kernelINS0_14default_configENS1_35adjacent_difference_config_selectorILb0EsEEZNS1_24adjacent_difference_implIS3_Lb0ELb0EPsS7_N6thrust23THRUST_200600_302600_NS4plusIsEEEE10hipError_tPvRmT2_T3_mT4_P12ihipStream_tbEUlT_E_NS1_11comp_targetILNS1_3genE10ELNS1_11target_archE1201ELNS1_3gpuE5ELNS1_3repE0EEENS1_30default_config_static_selectorELNS0_4arch9wavefront6targetE1EEEvT1_.kd
    .uniform_work_group_size: 1
    .uses_dynamic_stack: false
    .vgpr_count:     0
    .vgpr_spill_count: 0
    .wavefront_size: 64
  - .agpr_count:     0
    .args:
      - .offset:         0
        .size:           56
        .value_kind:     by_value
    .group_segment_fixed_size: 8704
    .kernarg_segment_align: 8
    .kernarg_segment_size: 56
    .language:       OpenCL C
    .language_version:
      - 2
      - 0
    .max_flat_workgroup_size: 256
    .name:           _ZN7rocprim17ROCPRIM_400000_NS6detail17trampoline_kernelINS0_14default_configENS1_35adjacent_difference_config_selectorILb0EsEEZNS1_24adjacent_difference_implIS3_Lb0ELb0EPsS7_N6thrust23THRUST_200600_302600_NS4plusIsEEEE10hipError_tPvRmT2_T3_mT4_P12ihipStream_tbEUlT_E_NS1_11comp_targetILNS1_3genE5ELNS1_11target_archE942ELNS1_3gpuE9ELNS1_3repE0EEENS1_30default_config_static_selectorELNS0_4arch9wavefront6targetE1EEEvT1_
    .private_segment_fixed_size: 0
    .sgpr_count:     29
    .sgpr_spill_count: 0
    .symbol:         _ZN7rocprim17ROCPRIM_400000_NS6detail17trampoline_kernelINS0_14default_configENS1_35adjacent_difference_config_selectorILb0EsEEZNS1_24adjacent_difference_implIS3_Lb0ELb0EPsS7_N6thrust23THRUST_200600_302600_NS4plusIsEEEE10hipError_tPvRmT2_T3_mT4_P12ihipStream_tbEUlT_E_NS1_11comp_targetILNS1_3genE5ELNS1_11target_archE942ELNS1_3gpuE9ELNS1_3repE0EEENS1_30default_config_static_selectorELNS0_4arch9wavefront6targetE1EEEvT1_.kd
    .uniform_work_group_size: 1
    .uses_dynamic_stack: false
    .vgpr_count:     32
    .vgpr_spill_count: 0
    .wavefront_size: 64
  - .agpr_count:     0
    .args:
      - .offset:         0
        .size:           56
        .value_kind:     by_value
    .group_segment_fixed_size: 0
    .kernarg_segment_align: 8
    .kernarg_segment_size: 56
    .language:       OpenCL C
    .language_version:
      - 2
      - 0
    .max_flat_workgroup_size: 64
    .name:           _ZN7rocprim17ROCPRIM_400000_NS6detail17trampoline_kernelINS0_14default_configENS1_35adjacent_difference_config_selectorILb0EsEEZNS1_24adjacent_difference_implIS3_Lb0ELb0EPsS7_N6thrust23THRUST_200600_302600_NS4plusIsEEEE10hipError_tPvRmT2_T3_mT4_P12ihipStream_tbEUlT_E_NS1_11comp_targetILNS1_3genE4ELNS1_11target_archE910ELNS1_3gpuE8ELNS1_3repE0EEENS1_30default_config_static_selectorELNS0_4arch9wavefront6targetE1EEEvT1_
    .private_segment_fixed_size: 0
    .sgpr_count:     6
    .sgpr_spill_count: 0
    .symbol:         _ZN7rocprim17ROCPRIM_400000_NS6detail17trampoline_kernelINS0_14default_configENS1_35adjacent_difference_config_selectorILb0EsEEZNS1_24adjacent_difference_implIS3_Lb0ELb0EPsS7_N6thrust23THRUST_200600_302600_NS4plusIsEEEE10hipError_tPvRmT2_T3_mT4_P12ihipStream_tbEUlT_E_NS1_11comp_targetILNS1_3genE4ELNS1_11target_archE910ELNS1_3gpuE8ELNS1_3repE0EEENS1_30default_config_static_selectorELNS0_4arch9wavefront6targetE1EEEvT1_.kd
    .uniform_work_group_size: 1
    .uses_dynamic_stack: false
    .vgpr_count:     0
    .vgpr_spill_count: 0
    .wavefront_size: 64
  - .agpr_count:     0
    .args:
      - .offset:         0
        .size:           56
        .value_kind:     by_value
    .group_segment_fixed_size: 0
    .kernarg_segment_align: 8
    .kernarg_segment_size: 56
    .language:       OpenCL C
    .language_version:
      - 2
      - 0
    .max_flat_workgroup_size: 64
    .name:           _ZN7rocprim17ROCPRIM_400000_NS6detail17trampoline_kernelINS0_14default_configENS1_35adjacent_difference_config_selectorILb0EsEEZNS1_24adjacent_difference_implIS3_Lb0ELb0EPsS7_N6thrust23THRUST_200600_302600_NS4plusIsEEEE10hipError_tPvRmT2_T3_mT4_P12ihipStream_tbEUlT_E_NS1_11comp_targetILNS1_3genE3ELNS1_11target_archE908ELNS1_3gpuE7ELNS1_3repE0EEENS1_30default_config_static_selectorELNS0_4arch9wavefront6targetE1EEEvT1_
    .private_segment_fixed_size: 0
    .sgpr_count:     6
    .sgpr_spill_count: 0
    .symbol:         _ZN7rocprim17ROCPRIM_400000_NS6detail17trampoline_kernelINS0_14default_configENS1_35adjacent_difference_config_selectorILb0EsEEZNS1_24adjacent_difference_implIS3_Lb0ELb0EPsS7_N6thrust23THRUST_200600_302600_NS4plusIsEEEE10hipError_tPvRmT2_T3_mT4_P12ihipStream_tbEUlT_E_NS1_11comp_targetILNS1_3genE3ELNS1_11target_archE908ELNS1_3gpuE7ELNS1_3repE0EEENS1_30default_config_static_selectorELNS0_4arch9wavefront6targetE1EEEvT1_.kd
    .uniform_work_group_size: 1
    .uses_dynamic_stack: false
    .vgpr_count:     0
    .vgpr_spill_count: 0
    .wavefront_size: 64
  - .agpr_count:     0
    .args:
      - .offset:         0
        .size:           56
        .value_kind:     by_value
    .group_segment_fixed_size: 0
    .kernarg_segment_align: 8
    .kernarg_segment_size: 56
    .language:       OpenCL C
    .language_version:
      - 2
      - 0
    .max_flat_workgroup_size: 64
    .name:           _ZN7rocprim17ROCPRIM_400000_NS6detail17trampoline_kernelINS0_14default_configENS1_35adjacent_difference_config_selectorILb0EsEEZNS1_24adjacent_difference_implIS3_Lb0ELb0EPsS7_N6thrust23THRUST_200600_302600_NS4plusIsEEEE10hipError_tPvRmT2_T3_mT4_P12ihipStream_tbEUlT_E_NS1_11comp_targetILNS1_3genE2ELNS1_11target_archE906ELNS1_3gpuE6ELNS1_3repE0EEENS1_30default_config_static_selectorELNS0_4arch9wavefront6targetE1EEEvT1_
    .private_segment_fixed_size: 0
    .sgpr_count:     6
    .sgpr_spill_count: 0
    .symbol:         _ZN7rocprim17ROCPRIM_400000_NS6detail17trampoline_kernelINS0_14default_configENS1_35adjacent_difference_config_selectorILb0EsEEZNS1_24adjacent_difference_implIS3_Lb0ELb0EPsS7_N6thrust23THRUST_200600_302600_NS4plusIsEEEE10hipError_tPvRmT2_T3_mT4_P12ihipStream_tbEUlT_E_NS1_11comp_targetILNS1_3genE2ELNS1_11target_archE906ELNS1_3gpuE6ELNS1_3repE0EEENS1_30default_config_static_selectorELNS0_4arch9wavefront6targetE1EEEvT1_.kd
    .uniform_work_group_size: 1
    .uses_dynamic_stack: false
    .vgpr_count:     0
    .vgpr_spill_count: 0
    .wavefront_size: 64
  - .agpr_count:     0
    .args:
      - .offset:         0
        .size:           56
        .value_kind:     by_value
    .group_segment_fixed_size: 0
    .kernarg_segment_align: 8
    .kernarg_segment_size: 56
    .language:       OpenCL C
    .language_version:
      - 2
      - 0
    .max_flat_workgroup_size: 64
    .name:           _ZN7rocprim17ROCPRIM_400000_NS6detail17trampoline_kernelINS0_14default_configENS1_35adjacent_difference_config_selectorILb0EsEEZNS1_24adjacent_difference_implIS3_Lb0ELb0EPsS7_N6thrust23THRUST_200600_302600_NS4plusIsEEEE10hipError_tPvRmT2_T3_mT4_P12ihipStream_tbEUlT_E_NS1_11comp_targetILNS1_3genE9ELNS1_11target_archE1100ELNS1_3gpuE3ELNS1_3repE0EEENS1_30default_config_static_selectorELNS0_4arch9wavefront6targetE1EEEvT1_
    .private_segment_fixed_size: 0
    .sgpr_count:     6
    .sgpr_spill_count: 0
    .symbol:         _ZN7rocprim17ROCPRIM_400000_NS6detail17trampoline_kernelINS0_14default_configENS1_35adjacent_difference_config_selectorILb0EsEEZNS1_24adjacent_difference_implIS3_Lb0ELb0EPsS7_N6thrust23THRUST_200600_302600_NS4plusIsEEEE10hipError_tPvRmT2_T3_mT4_P12ihipStream_tbEUlT_E_NS1_11comp_targetILNS1_3genE9ELNS1_11target_archE1100ELNS1_3gpuE3ELNS1_3repE0EEENS1_30default_config_static_selectorELNS0_4arch9wavefront6targetE1EEEvT1_.kd
    .uniform_work_group_size: 1
    .uses_dynamic_stack: false
    .vgpr_count:     0
    .vgpr_spill_count: 0
    .wavefront_size: 64
  - .agpr_count:     0
    .args:
      - .offset:         0
        .size:           56
        .value_kind:     by_value
    .group_segment_fixed_size: 0
    .kernarg_segment_align: 8
    .kernarg_segment_size: 56
    .language:       OpenCL C
    .language_version:
      - 2
      - 0
    .max_flat_workgroup_size: 1024
    .name:           _ZN7rocprim17ROCPRIM_400000_NS6detail17trampoline_kernelINS0_14default_configENS1_35adjacent_difference_config_selectorILb0EsEEZNS1_24adjacent_difference_implIS3_Lb0ELb0EPsS7_N6thrust23THRUST_200600_302600_NS4plusIsEEEE10hipError_tPvRmT2_T3_mT4_P12ihipStream_tbEUlT_E_NS1_11comp_targetILNS1_3genE8ELNS1_11target_archE1030ELNS1_3gpuE2ELNS1_3repE0EEENS1_30default_config_static_selectorELNS0_4arch9wavefront6targetE1EEEvT1_
    .private_segment_fixed_size: 0
    .sgpr_count:     6
    .sgpr_spill_count: 0
    .symbol:         _ZN7rocprim17ROCPRIM_400000_NS6detail17trampoline_kernelINS0_14default_configENS1_35adjacent_difference_config_selectorILb0EsEEZNS1_24adjacent_difference_implIS3_Lb0ELb0EPsS7_N6thrust23THRUST_200600_302600_NS4plusIsEEEE10hipError_tPvRmT2_T3_mT4_P12ihipStream_tbEUlT_E_NS1_11comp_targetILNS1_3genE8ELNS1_11target_archE1030ELNS1_3gpuE2ELNS1_3repE0EEENS1_30default_config_static_selectorELNS0_4arch9wavefront6targetE1EEEvT1_.kd
    .uniform_work_group_size: 1
    .uses_dynamic_stack: false
    .vgpr_count:     0
    .vgpr_spill_count: 0
    .wavefront_size: 64
  - .agpr_count:     0
    .args:
      - .offset:         0
        .size:           56
        .value_kind:     by_value
    .group_segment_fixed_size: 0
    .kernarg_segment_align: 8
    .kernarg_segment_size: 56
    .language:       OpenCL C
    .language_version:
      - 2
      - 0
    .max_flat_workgroup_size: 128
    .name:           _ZN7rocprim17ROCPRIM_400000_NS6detail17trampoline_kernelINS0_14default_configENS1_25transform_config_selectorIsLb0EEEZNS1_14transform_implILb0ES3_S5_NS0_18transform_iteratorINS0_17counting_iteratorImlEEZNS1_24adjacent_difference_implIS3_Lb1ELb0EPsSB_N6thrust23THRUST_200600_302600_NS4plusIsEEEE10hipError_tPvRmT2_T3_mT4_P12ihipStream_tbEUlmE_sEESB_NS0_8identityIvEEEESG_SJ_SK_mSL_SN_bEUlT_E_NS1_11comp_targetILNS1_3genE0ELNS1_11target_archE4294967295ELNS1_3gpuE0ELNS1_3repE0EEENS1_30default_config_static_selectorELNS0_4arch9wavefront6targetE1EEEvT1_
    .private_segment_fixed_size: 0
    .sgpr_count:     6
    .sgpr_spill_count: 0
    .symbol:         _ZN7rocprim17ROCPRIM_400000_NS6detail17trampoline_kernelINS0_14default_configENS1_25transform_config_selectorIsLb0EEEZNS1_14transform_implILb0ES3_S5_NS0_18transform_iteratorINS0_17counting_iteratorImlEEZNS1_24adjacent_difference_implIS3_Lb1ELb0EPsSB_N6thrust23THRUST_200600_302600_NS4plusIsEEEE10hipError_tPvRmT2_T3_mT4_P12ihipStream_tbEUlmE_sEESB_NS0_8identityIvEEEESG_SJ_SK_mSL_SN_bEUlT_E_NS1_11comp_targetILNS1_3genE0ELNS1_11target_archE4294967295ELNS1_3gpuE0ELNS1_3repE0EEENS1_30default_config_static_selectorELNS0_4arch9wavefront6targetE1EEEvT1_.kd
    .uniform_work_group_size: 1
    .uses_dynamic_stack: false
    .vgpr_count:     0
    .vgpr_spill_count: 0
    .wavefront_size: 64
  - .agpr_count:     0
    .args:
      - .offset:         0
        .size:           56
        .value_kind:     by_value
      - .offset:         56
        .size:           4
        .value_kind:     hidden_block_count_x
      - .offset:         60
        .size:           4
        .value_kind:     hidden_block_count_y
      - .offset:         64
        .size:           4
        .value_kind:     hidden_block_count_z
      - .offset:         68
        .size:           2
        .value_kind:     hidden_group_size_x
      - .offset:         70
        .size:           2
        .value_kind:     hidden_group_size_y
      - .offset:         72
        .size:           2
        .value_kind:     hidden_group_size_z
      - .offset:         74
        .size:           2
        .value_kind:     hidden_remainder_x
      - .offset:         76
        .size:           2
        .value_kind:     hidden_remainder_y
      - .offset:         78
        .size:           2
        .value_kind:     hidden_remainder_z
      - .offset:         96
        .size:           8
        .value_kind:     hidden_global_offset_x
      - .offset:         104
        .size:           8
        .value_kind:     hidden_global_offset_y
      - .offset:         112
        .size:           8
        .value_kind:     hidden_global_offset_z
      - .offset:         120
        .size:           2
        .value_kind:     hidden_grid_dims
    .group_segment_fixed_size: 0
    .kernarg_segment_align: 8
    .kernarg_segment_size: 312
    .language:       OpenCL C
    .language_version:
      - 2
      - 0
    .max_flat_workgroup_size: 256
    .name:           _ZN7rocprim17ROCPRIM_400000_NS6detail17trampoline_kernelINS0_14default_configENS1_25transform_config_selectorIsLb0EEEZNS1_14transform_implILb0ES3_S5_NS0_18transform_iteratorINS0_17counting_iteratorImlEEZNS1_24adjacent_difference_implIS3_Lb1ELb0EPsSB_N6thrust23THRUST_200600_302600_NS4plusIsEEEE10hipError_tPvRmT2_T3_mT4_P12ihipStream_tbEUlmE_sEESB_NS0_8identityIvEEEESG_SJ_SK_mSL_SN_bEUlT_E_NS1_11comp_targetILNS1_3genE5ELNS1_11target_archE942ELNS1_3gpuE9ELNS1_3repE0EEENS1_30default_config_static_selectorELNS0_4arch9wavefront6targetE1EEEvT1_
    .private_segment_fixed_size: 0
    .sgpr_count:     34
    .sgpr_spill_count: 0
    .symbol:         _ZN7rocprim17ROCPRIM_400000_NS6detail17trampoline_kernelINS0_14default_configENS1_25transform_config_selectorIsLb0EEEZNS1_14transform_implILb0ES3_S5_NS0_18transform_iteratorINS0_17counting_iteratorImlEEZNS1_24adjacent_difference_implIS3_Lb1ELb0EPsSB_N6thrust23THRUST_200600_302600_NS4plusIsEEEE10hipError_tPvRmT2_T3_mT4_P12ihipStream_tbEUlmE_sEESB_NS0_8identityIvEEEESG_SJ_SK_mSL_SN_bEUlT_E_NS1_11comp_targetILNS1_3genE5ELNS1_11target_archE942ELNS1_3gpuE9ELNS1_3repE0EEENS1_30default_config_static_selectorELNS0_4arch9wavefront6targetE1EEEvT1_.kd
    .uniform_work_group_size: 1
    .uses_dynamic_stack: false
    .vgpr_count:     19
    .vgpr_spill_count: 0
    .wavefront_size: 64
  - .agpr_count:     0
    .args:
      - .offset:         0
        .size:           56
        .value_kind:     by_value
    .group_segment_fixed_size: 0
    .kernarg_segment_align: 8
    .kernarg_segment_size: 56
    .language:       OpenCL C
    .language_version:
      - 2
      - 0
    .max_flat_workgroup_size: 64
    .name:           _ZN7rocprim17ROCPRIM_400000_NS6detail17trampoline_kernelINS0_14default_configENS1_25transform_config_selectorIsLb0EEEZNS1_14transform_implILb0ES3_S5_NS0_18transform_iteratorINS0_17counting_iteratorImlEEZNS1_24adjacent_difference_implIS3_Lb1ELb0EPsSB_N6thrust23THRUST_200600_302600_NS4plusIsEEEE10hipError_tPvRmT2_T3_mT4_P12ihipStream_tbEUlmE_sEESB_NS0_8identityIvEEEESG_SJ_SK_mSL_SN_bEUlT_E_NS1_11comp_targetILNS1_3genE4ELNS1_11target_archE910ELNS1_3gpuE8ELNS1_3repE0EEENS1_30default_config_static_selectorELNS0_4arch9wavefront6targetE1EEEvT1_
    .private_segment_fixed_size: 0
    .sgpr_count:     6
    .sgpr_spill_count: 0
    .symbol:         _ZN7rocprim17ROCPRIM_400000_NS6detail17trampoline_kernelINS0_14default_configENS1_25transform_config_selectorIsLb0EEEZNS1_14transform_implILb0ES3_S5_NS0_18transform_iteratorINS0_17counting_iteratorImlEEZNS1_24adjacent_difference_implIS3_Lb1ELb0EPsSB_N6thrust23THRUST_200600_302600_NS4plusIsEEEE10hipError_tPvRmT2_T3_mT4_P12ihipStream_tbEUlmE_sEESB_NS0_8identityIvEEEESG_SJ_SK_mSL_SN_bEUlT_E_NS1_11comp_targetILNS1_3genE4ELNS1_11target_archE910ELNS1_3gpuE8ELNS1_3repE0EEENS1_30default_config_static_selectorELNS0_4arch9wavefront6targetE1EEEvT1_.kd
    .uniform_work_group_size: 1
    .uses_dynamic_stack: false
    .vgpr_count:     0
    .vgpr_spill_count: 0
    .wavefront_size: 64
  - .agpr_count:     0
    .args:
      - .offset:         0
        .size:           56
        .value_kind:     by_value
    .group_segment_fixed_size: 0
    .kernarg_segment_align: 8
    .kernarg_segment_size: 56
    .language:       OpenCL C
    .language_version:
      - 2
      - 0
    .max_flat_workgroup_size: 128
    .name:           _ZN7rocprim17ROCPRIM_400000_NS6detail17trampoline_kernelINS0_14default_configENS1_25transform_config_selectorIsLb0EEEZNS1_14transform_implILb0ES3_S5_NS0_18transform_iteratorINS0_17counting_iteratorImlEEZNS1_24adjacent_difference_implIS3_Lb1ELb0EPsSB_N6thrust23THRUST_200600_302600_NS4plusIsEEEE10hipError_tPvRmT2_T3_mT4_P12ihipStream_tbEUlmE_sEESB_NS0_8identityIvEEEESG_SJ_SK_mSL_SN_bEUlT_E_NS1_11comp_targetILNS1_3genE3ELNS1_11target_archE908ELNS1_3gpuE7ELNS1_3repE0EEENS1_30default_config_static_selectorELNS0_4arch9wavefront6targetE1EEEvT1_
    .private_segment_fixed_size: 0
    .sgpr_count:     6
    .sgpr_spill_count: 0
    .symbol:         _ZN7rocprim17ROCPRIM_400000_NS6detail17trampoline_kernelINS0_14default_configENS1_25transform_config_selectorIsLb0EEEZNS1_14transform_implILb0ES3_S5_NS0_18transform_iteratorINS0_17counting_iteratorImlEEZNS1_24adjacent_difference_implIS3_Lb1ELb0EPsSB_N6thrust23THRUST_200600_302600_NS4plusIsEEEE10hipError_tPvRmT2_T3_mT4_P12ihipStream_tbEUlmE_sEESB_NS0_8identityIvEEEESG_SJ_SK_mSL_SN_bEUlT_E_NS1_11comp_targetILNS1_3genE3ELNS1_11target_archE908ELNS1_3gpuE7ELNS1_3repE0EEENS1_30default_config_static_selectorELNS0_4arch9wavefront6targetE1EEEvT1_.kd
    .uniform_work_group_size: 1
    .uses_dynamic_stack: false
    .vgpr_count:     0
    .vgpr_spill_count: 0
    .wavefront_size: 64
  - .agpr_count:     0
    .args:
      - .offset:         0
        .size:           56
        .value_kind:     by_value
    .group_segment_fixed_size: 0
    .kernarg_segment_align: 8
    .kernarg_segment_size: 56
    .language:       OpenCL C
    .language_version:
      - 2
      - 0
    .max_flat_workgroup_size: 512
    .name:           _ZN7rocprim17ROCPRIM_400000_NS6detail17trampoline_kernelINS0_14default_configENS1_25transform_config_selectorIsLb0EEEZNS1_14transform_implILb0ES3_S5_NS0_18transform_iteratorINS0_17counting_iteratorImlEEZNS1_24adjacent_difference_implIS3_Lb1ELb0EPsSB_N6thrust23THRUST_200600_302600_NS4plusIsEEEE10hipError_tPvRmT2_T3_mT4_P12ihipStream_tbEUlmE_sEESB_NS0_8identityIvEEEESG_SJ_SK_mSL_SN_bEUlT_E_NS1_11comp_targetILNS1_3genE2ELNS1_11target_archE906ELNS1_3gpuE6ELNS1_3repE0EEENS1_30default_config_static_selectorELNS0_4arch9wavefront6targetE1EEEvT1_
    .private_segment_fixed_size: 0
    .sgpr_count:     6
    .sgpr_spill_count: 0
    .symbol:         _ZN7rocprim17ROCPRIM_400000_NS6detail17trampoline_kernelINS0_14default_configENS1_25transform_config_selectorIsLb0EEEZNS1_14transform_implILb0ES3_S5_NS0_18transform_iteratorINS0_17counting_iteratorImlEEZNS1_24adjacent_difference_implIS3_Lb1ELb0EPsSB_N6thrust23THRUST_200600_302600_NS4plusIsEEEE10hipError_tPvRmT2_T3_mT4_P12ihipStream_tbEUlmE_sEESB_NS0_8identityIvEEEESG_SJ_SK_mSL_SN_bEUlT_E_NS1_11comp_targetILNS1_3genE2ELNS1_11target_archE906ELNS1_3gpuE6ELNS1_3repE0EEENS1_30default_config_static_selectorELNS0_4arch9wavefront6targetE1EEEvT1_.kd
    .uniform_work_group_size: 1
    .uses_dynamic_stack: false
    .vgpr_count:     0
    .vgpr_spill_count: 0
    .wavefront_size: 64
  - .agpr_count:     0
    .args:
      - .offset:         0
        .size:           56
        .value_kind:     by_value
    .group_segment_fixed_size: 0
    .kernarg_segment_align: 8
    .kernarg_segment_size: 56
    .language:       OpenCL C
    .language_version:
      - 2
      - 0
    .max_flat_workgroup_size: 1024
    .name:           _ZN7rocprim17ROCPRIM_400000_NS6detail17trampoline_kernelINS0_14default_configENS1_25transform_config_selectorIsLb0EEEZNS1_14transform_implILb0ES3_S5_NS0_18transform_iteratorINS0_17counting_iteratorImlEEZNS1_24adjacent_difference_implIS3_Lb1ELb0EPsSB_N6thrust23THRUST_200600_302600_NS4plusIsEEEE10hipError_tPvRmT2_T3_mT4_P12ihipStream_tbEUlmE_sEESB_NS0_8identityIvEEEESG_SJ_SK_mSL_SN_bEUlT_E_NS1_11comp_targetILNS1_3genE10ELNS1_11target_archE1201ELNS1_3gpuE5ELNS1_3repE0EEENS1_30default_config_static_selectorELNS0_4arch9wavefront6targetE1EEEvT1_
    .private_segment_fixed_size: 0
    .sgpr_count:     6
    .sgpr_spill_count: 0
    .symbol:         _ZN7rocprim17ROCPRIM_400000_NS6detail17trampoline_kernelINS0_14default_configENS1_25transform_config_selectorIsLb0EEEZNS1_14transform_implILb0ES3_S5_NS0_18transform_iteratorINS0_17counting_iteratorImlEEZNS1_24adjacent_difference_implIS3_Lb1ELb0EPsSB_N6thrust23THRUST_200600_302600_NS4plusIsEEEE10hipError_tPvRmT2_T3_mT4_P12ihipStream_tbEUlmE_sEESB_NS0_8identityIvEEEESG_SJ_SK_mSL_SN_bEUlT_E_NS1_11comp_targetILNS1_3genE10ELNS1_11target_archE1201ELNS1_3gpuE5ELNS1_3repE0EEENS1_30default_config_static_selectorELNS0_4arch9wavefront6targetE1EEEvT1_.kd
    .uniform_work_group_size: 1
    .uses_dynamic_stack: false
    .vgpr_count:     0
    .vgpr_spill_count: 0
    .wavefront_size: 64
  - .agpr_count:     0
    .args:
      - .offset:         0
        .size:           56
        .value_kind:     by_value
    .group_segment_fixed_size: 0
    .kernarg_segment_align: 8
    .kernarg_segment_size: 56
    .language:       OpenCL C
    .language_version:
      - 2
      - 0
    .max_flat_workgroup_size: 512
    .name:           _ZN7rocprim17ROCPRIM_400000_NS6detail17trampoline_kernelINS0_14default_configENS1_25transform_config_selectorIsLb0EEEZNS1_14transform_implILb0ES3_S5_NS0_18transform_iteratorINS0_17counting_iteratorImlEEZNS1_24adjacent_difference_implIS3_Lb1ELb0EPsSB_N6thrust23THRUST_200600_302600_NS4plusIsEEEE10hipError_tPvRmT2_T3_mT4_P12ihipStream_tbEUlmE_sEESB_NS0_8identityIvEEEESG_SJ_SK_mSL_SN_bEUlT_E_NS1_11comp_targetILNS1_3genE10ELNS1_11target_archE1200ELNS1_3gpuE4ELNS1_3repE0EEENS1_30default_config_static_selectorELNS0_4arch9wavefront6targetE1EEEvT1_
    .private_segment_fixed_size: 0
    .sgpr_count:     6
    .sgpr_spill_count: 0
    .symbol:         _ZN7rocprim17ROCPRIM_400000_NS6detail17trampoline_kernelINS0_14default_configENS1_25transform_config_selectorIsLb0EEEZNS1_14transform_implILb0ES3_S5_NS0_18transform_iteratorINS0_17counting_iteratorImlEEZNS1_24adjacent_difference_implIS3_Lb1ELb0EPsSB_N6thrust23THRUST_200600_302600_NS4plusIsEEEE10hipError_tPvRmT2_T3_mT4_P12ihipStream_tbEUlmE_sEESB_NS0_8identityIvEEEESG_SJ_SK_mSL_SN_bEUlT_E_NS1_11comp_targetILNS1_3genE10ELNS1_11target_archE1200ELNS1_3gpuE4ELNS1_3repE0EEENS1_30default_config_static_selectorELNS0_4arch9wavefront6targetE1EEEvT1_.kd
    .uniform_work_group_size: 1
    .uses_dynamic_stack: false
    .vgpr_count:     0
    .vgpr_spill_count: 0
    .wavefront_size: 64
  - .agpr_count:     0
    .args:
      - .offset:         0
        .size:           56
        .value_kind:     by_value
    .group_segment_fixed_size: 0
    .kernarg_segment_align: 8
    .kernarg_segment_size: 56
    .language:       OpenCL C
    .language_version:
      - 2
      - 0
    .max_flat_workgroup_size: 1024
    .name:           _ZN7rocprim17ROCPRIM_400000_NS6detail17trampoline_kernelINS0_14default_configENS1_25transform_config_selectorIsLb0EEEZNS1_14transform_implILb0ES3_S5_NS0_18transform_iteratorINS0_17counting_iteratorImlEEZNS1_24adjacent_difference_implIS3_Lb1ELb0EPsSB_N6thrust23THRUST_200600_302600_NS4plusIsEEEE10hipError_tPvRmT2_T3_mT4_P12ihipStream_tbEUlmE_sEESB_NS0_8identityIvEEEESG_SJ_SK_mSL_SN_bEUlT_E_NS1_11comp_targetILNS1_3genE9ELNS1_11target_archE1100ELNS1_3gpuE3ELNS1_3repE0EEENS1_30default_config_static_selectorELNS0_4arch9wavefront6targetE1EEEvT1_
    .private_segment_fixed_size: 0
    .sgpr_count:     6
    .sgpr_spill_count: 0
    .symbol:         _ZN7rocprim17ROCPRIM_400000_NS6detail17trampoline_kernelINS0_14default_configENS1_25transform_config_selectorIsLb0EEEZNS1_14transform_implILb0ES3_S5_NS0_18transform_iteratorINS0_17counting_iteratorImlEEZNS1_24adjacent_difference_implIS3_Lb1ELb0EPsSB_N6thrust23THRUST_200600_302600_NS4plusIsEEEE10hipError_tPvRmT2_T3_mT4_P12ihipStream_tbEUlmE_sEESB_NS0_8identityIvEEEESG_SJ_SK_mSL_SN_bEUlT_E_NS1_11comp_targetILNS1_3genE9ELNS1_11target_archE1100ELNS1_3gpuE3ELNS1_3repE0EEENS1_30default_config_static_selectorELNS0_4arch9wavefront6targetE1EEEvT1_.kd
    .uniform_work_group_size: 1
    .uses_dynamic_stack: false
    .vgpr_count:     0
    .vgpr_spill_count: 0
    .wavefront_size: 64
  - .agpr_count:     0
    .args:
      - .offset:         0
        .size:           56
        .value_kind:     by_value
    .group_segment_fixed_size: 0
    .kernarg_segment_align: 8
    .kernarg_segment_size: 56
    .language:       OpenCL C
    .language_version:
      - 2
      - 0
    .max_flat_workgroup_size: 1024
    .name:           _ZN7rocprim17ROCPRIM_400000_NS6detail17trampoline_kernelINS0_14default_configENS1_25transform_config_selectorIsLb0EEEZNS1_14transform_implILb0ES3_S5_NS0_18transform_iteratorINS0_17counting_iteratorImlEEZNS1_24adjacent_difference_implIS3_Lb1ELb0EPsSB_N6thrust23THRUST_200600_302600_NS4plusIsEEEE10hipError_tPvRmT2_T3_mT4_P12ihipStream_tbEUlmE_sEESB_NS0_8identityIvEEEESG_SJ_SK_mSL_SN_bEUlT_E_NS1_11comp_targetILNS1_3genE8ELNS1_11target_archE1030ELNS1_3gpuE2ELNS1_3repE0EEENS1_30default_config_static_selectorELNS0_4arch9wavefront6targetE1EEEvT1_
    .private_segment_fixed_size: 0
    .sgpr_count:     6
    .sgpr_spill_count: 0
    .symbol:         _ZN7rocprim17ROCPRIM_400000_NS6detail17trampoline_kernelINS0_14default_configENS1_25transform_config_selectorIsLb0EEEZNS1_14transform_implILb0ES3_S5_NS0_18transform_iteratorINS0_17counting_iteratorImlEEZNS1_24adjacent_difference_implIS3_Lb1ELb0EPsSB_N6thrust23THRUST_200600_302600_NS4plusIsEEEE10hipError_tPvRmT2_T3_mT4_P12ihipStream_tbEUlmE_sEESB_NS0_8identityIvEEEESG_SJ_SK_mSL_SN_bEUlT_E_NS1_11comp_targetILNS1_3genE8ELNS1_11target_archE1030ELNS1_3gpuE2ELNS1_3repE0EEENS1_30default_config_static_selectorELNS0_4arch9wavefront6targetE1EEEvT1_.kd
    .uniform_work_group_size: 1
    .uses_dynamic_stack: false
    .vgpr_count:     0
    .vgpr_spill_count: 0
    .wavefront_size: 64
  - .agpr_count:     0
    .args:
      - .offset:         0
        .size:           56
        .value_kind:     by_value
    .group_segment_fixed_size: 0
    .kernarg_segment_align: 8
    .kernarg_segment_size: 56
    .language:       OpenCL C
    .language_version:
      - 2
      - 0
    .max_flat_workgroup_size: 32
    .name:           _ZN7rocprim17ROCPRIM_400000_NS6detail17trampoline_kernelINS0_14default_configENS1_35adjacent_difference_config_selectorILb1EsEEZNS1_24adjacent_difference_implIS3_Lb1ELb0EPsS7_N6thrust23THRUST_200600_302600_NS4plusIsEEEE10hipError_tPvRmT2_T3_mT4_P12ihipStream_tbEUlT_E_NS1_11comp_targetILNS1_3genE0ELNS1_11target_archE4294967295ELNS1_3gpuE0ELNS1_3repE0EEENS1_30default_config_static_selectorELNS0_4arch9wavefront6targetE1EEEvT1_
    .private_segment_fixed_size: 0
    .sgpr_count:     6
    .sgpr_spill_count: 0
    .symbol:         _ZN7rocprim17ROCPRIM_400000_NS6detail17trampoline_kernelINS0_14default_configENS1_35adjacent_difference_config_selectorILb1EsEEZNS1_24adjacent_difference_implIS3_Lb1ELb0EPsS7_N6thrust23THRUST_200600_302600_NS4plusIsEEEE10hipError_tPvRmT2_T3_mT4_P12ihipStream_tbEUlT_E_NS1_11comp_targetILNS1_3genE0ELNS1_11target_archE4294967295ELNS1_3gpuE0ELNS1_3repE0EEENS1_30default_config_static_selectorELNS0_4arch9wavefront6targetE1EEEvT1_.kd
    .uniform_work_group_size: 1
    .uses_dynamic_stack: false
    .vgpr_count:     0
    .vgpr_spill_count: 0
    .wavefront_size: 64
  - .agpr_count:     0
    .args:
      - .offset:         0
        .size:           56
        .value_kind:     by_value
    .group_segment_fixed_size: 0
    .kernarg_segment_align: 8
    .kernarg_segment_size: 56
    .language:       OpenCL C
    .language_version:
      - 2
      - 0
    .max_flat_workgroup_size: 512
    .name:           _ZN7rocprim17ROCPRIM_400000_NS6detail17trampoline_kernelINS0_14default_configENS1_35adjacent_difference_config_selectorILb1EsEEZNS1_24adjacent_difference_implIS3_Lb1ELb0EPsS7_N6thrust23THRUST_200600_302600_NS4plusIsEEEE10hipError_tPvRmT2_T3_mT4_P12ihipStream_tbEUlT_E_NS1_11comp_targetILNS1_3genE10ELNS1_11target_archE1201ELNS1_3gpuE5ELNS1_3repE0EEENS1_30default_config_static_selectorELNS0_4arch9wavefront6targetE1EEEvT1_
    .private_segment_fixed_size: 0
    .sgpr_count:     6
    .sgpr_spill_count: 0
    .symbol:         _ZN7rocprim17ROCPRIM_400000_NS6detail17trampoline_kernelINS0_14default_configENS1_35adjacent_difference_config_selectorILb1EsEEZNS1_24adjacent_difference_implIS3_Lb1ELb0EPsS7_N6thrust23THRUST_200600_302600_NS4plusIsEEEE10hipError_tPvRmT2_T3_mT4_P12ihipStream_tbEUlT_E_NS1_11comp_targetILNS1_3genE10ELNS1_11target_archE1201ELNS1_3gpuE5ELNS1_3repE0EEENS1_30default_config_static_selectorELNS0_4arch9wavefront6targetE1EEEvT1_.kd
    .uniform_work_group_size: 1
    .uses_dynamic_stack: false
    .vgpr_count:     0
    .vgpr_spill_count: 0
    .wavefront_size: 64
  - .agpr_count:     0
    .args:
      - .offset:         0
        .size:           56
        .value_kind:     by_value
    .group_segment_fixed_size: 3968
    .kernarg_segment_align: 8
    .kernarg_segment_size: 56
    .language:       OpenCL C
    .language_version:
      - 2
      - 0
    .max_flat_workgroup_size: 64
    .name:           _ZN7rocprim17ROCPRIM_400000_NS6detail17trampoline_kernelINS0_14default_configENS1_35adjacent_difference_config_selectorILb1EsEEZNS1_24adjacent_difference_implIS3_Lb1ELb0EPsS7_N6thrust23THRUST_200600_302600_NS4plusIsEEEE10hipError_tPvRmT2_T3_mT4_P12ihipStream_tbEUlT_E_NS1_11comp_targetILNS1_3genE5ELNS1_11target_archE942ELNS1_3gpuE9ELNS1_3repE0EEENS1_30default_config_static_selectorELNS0_4arch9wavefront6targetE1EEEvT1_
    .private_segment_fixed_size: 0
    .sgpr_count:     35
    .sgpr_spill_count: 0
    .symbol:         _ZN7rocprim17ROCPRIM_400000_NS6detail17trampoline_kernelINS0_14default_configENS1_35adjacent_difference_config_selectorILb1EsEEZNS1_24adjacent_difference_implIS3_Lb1ELb0EPsS7_N6thrust23THRUST_200600_302600_NS4plusIsEEEE10hipError_tPvRmT2_T3_mT4_P12ihipStream_tbEUlT_E_NS1_11comp_targetILNS1_3genE5ELNS1_11target_archE942ELNS1_3gpuE9ELNS1_3repE0EEENS1_30default_config_static_selectorELNS0_4arch9wavefront6targetE1EEEvT1_.kd
    .uniform_work_group_size: 1
    .uses_dynamic_stack: false
    .vgpr_count:     53
    .vgpr_spill_count: 0
    .wavefront_size: 64
  - .agpr_count:     0
    .args:
      - .offset:         0
        .size:           56
        .value_kind:     by_value
    .group_segment_fixed_size: 0
    .kernarg_segment_align: 8
    .kernarg_segment_size: 56
    .language:       OpenCL C
    .language_version:
      - 2
      - 0
    .max_flat_workgroup_size: 64
    .name:           _ZN7rocprim17ROCPRIM_400000_NS6detail17trampoline_kernelINS0_14default_configENS1_35adjacent_difference_config_selectorILb1EsEEZNS1_24adjacent_difference_implIS3_Lb1ELb0EPsS7_N6thrust23THRUST_200600_302600_NS4plusIsEEEE10hipError_tPvRmT2_T3_mT4_P12ihipStream_tbEUlT_E_NS1_11comp_targetILNS1_3genE4ELNS1_11target_archE910ELNS1_3gpuE8ELNS1_3repE0EEENS1_30default_config_static_selectorELNS0_4arch9wavefront6targetE1EEEvT1_
    .private_segment_fixed_size: 0
    .sgpr_count:     6
    .sgpr_spill_count: 0
    .symbol:         _ZN7rocprim17ROCPRIM_400000_NS6detail17trampoline_kernelINS0_14default_configENS1_35adjacent_difference_config_selectorILb1EsEEZNS1_24adjacent_difference_implIS3_Lb1ELb0EPsS7_N6thrust23THRUST_200600_302600_NS4plusIsEEEE10hipError_tPvRmT2_T3_mT4_P12ihipStream_tbEUlT_E_NS1_11comp_targetILNS1_3genE4ELNS1_11target_archE910ELNS1_3gpuE8ELNS1_3repE0EEENS1_30default_config_static_selectorELNS0_4arch9wavefront6targetE1EEEvT1_.kd
    .uniform_work_group_size: 1
    .uses_dynamic_stack: false
    .vgpr_count:     0
    .vgpr_spill_count: 0
    .wavefront_size: 64
  - .agpr_count:     0
    .args:
      - .offset:         0
        .size:           56
        .value_kind:     by_value
    .group_segment_fixed_size: 0
    .kernarg_segment_align: 8
    .kernarg_segment_size: 56
    .language:       OpenCL C
    .language_version:
      - 2
      - 0
    .max_flat_workgroup_size: 32
    .name:           _ZN7rocprim17ROCPRIM_400000_NS6detail17trampoline_kernelINS0_14default_configENS1_35adjacent_difference_config_selectorILb1EsEEZNS1_24adjacent_difference_implIS3_Lb1ELb0EPsS7_N6thrust23THRUST_200600_302600_NS4plusIsEEEE10hipError_tPvRmT2_T3_mT4_P12ihipStream_tbEUlT_E_NS1_11comp_targetILNS1_3genE3ELNS1_11target_archE908ELNS1_3gpuE7ELNS1_3repE0EEENS1_30default_config_static_selectorELNS0_4arch9wavefront6targetE1EEEvT1_
    .private_segment_fixed_size: 0
    .sgpr_count:     6
    .sgpr_spill_count: 0
    .symbol:         _ZN7rocprim17ROCPRIM_400000_NS6detail17trampoline_kernelINS0_14default_configENS1_35adjacent_difference_config_selectorILb1EsEEZNS1_24adjacent_difference_implIS3_Lb1ELb0EPsS7_N6thrust23THRUST_200600_302600_NS4plusIsEEEE10hipError_tPvRmT2_T3_mT4_P12ihipStream_tbEUlT_E_NS1_11comp_targetILNS1_3genE3ELNS1_11target_archE908ELNS1_3gpuE7ELNS1_3repE0EEENS1_30default_config_static_selectorELNS0_4arch9wavefront6targetE1EEEvT1_.kd
    .uniform_work_group_size: 1
    .uses_dynamic_stack: false
    .vgpr_count:     0
    .vgpr_spill_count: 0
    .wavefront_size: 64
  - .agpr_count:     0
    .args:
      - .offset:         0
        .size:           56
        .value_kind:     by_value
    .group_segment_fixed_size: 0
    .kernarg_segment_align: 8
    .kernarg_segment_size: 56
    .language:       OpenCL C
    .language_version:
      - 2
      - 0
    .max_flat_workgroup_size: 64
    .name:           _ZN7rocprim17ROCPRIM_400000_NS6detail17trampoline_kernelINS0_14default_configENS1_35adjacent_difference_config_selectorILb1EsEEZNS1_24adjacent_difference_implIS3_Lb1ELb0EPsS7_N6thrust23THRUST_200600_302600_NS4plusIsEEEE10hipError_tPvRmT2_T3_mT4_P12ihipStream_tbEUlT_E_NS1_11comp_targetILNS1_3genE2ELNS1_11target_archE906ELNS1_3gpuE6ELNS1_3repE0EEENS1_30default_config_static_selectorELNS0_4arch9wavefront6targetE1EEEvT1_
    .private_segment_fixed_size: 0
    .sgpr_count:     6
    .sgpr_spill_count: 0
    .symbol:         _ZN7rocprim17ROCPRIM_400000_NS6detail17trampoline_kernelINS0_14default_configENS1_35adjacent_difference_config_selectorILb1EsEEZNS1_24adjacent_difference_implIS3_Lb1ELb0EPsS7_N6thrust23THRUST_200600_302600_NS4plusIsEEEE10hipError_tPvRmT2_T3_mT4_P12ihipStream_tbEUlT_E_NS1_11comp_targetILNS1_3genE2ELNS1_11target_archE906ELNS1_3gpuE6ELNS1_3repE0EEENS1_30default_config_static_selectorELNS0_4arch9wavefront6targetE1EEEvT1_.kd
    .uniform_work_group_size: 1
    .uses_dynamic_stack: false
    .vgpr_count:     0
    .vgpr_spill_count: 0
    .wavefront_size: 64
  - .agpr_count:     0
    .args:
      - .offset:         0
        .size:           56
        .value_kind:     by_value
    .group_segment_fixed_size: 0
    .kernarg_segment_align: 8
    .kernarg_segment_size: 56
    .language:       OpenCL C
    .language_version:
      - 2
      - 0
    .max_flat_workgroup_size: 128
    .name:           _ZN7rocprim17ROCPRIM_400000_NS6detail17trampoline_kernelINS0_14default_configENS1_35adjacent_difference_config_selectorILb1EsEEZNS1_24adjacent_difference_implIS3_Lb1ELb0EPsS7_N6thrust23THRUST_200600_302600_NS4plusIsEEEE10hipError_tPvRmT2_T3_mT4_P12ihipStream_tbEUlT_E_NS1_11comp_targetILNS1_3genE9ELNS1_11target_archE1100ELNS1_3gpuE3ELNS1_3repE0EEENS1_30default_config_static_selectorELNS0_4arch9wavefront6targetE1EEEvT1_
    .private_segment_fixed_size: 0
    .sgpr_count:     6
    .sgpr_spill_count: 0
    .symbol:         _ZN7rocprim17ROCPRIM_400000_NS6detail17trampoline_kernelINS0_14default_configENS1_35adjacent_difference_config_selectorILb1EsEEZNS1_24adjacent_difference_implIS3_Lb1ELb0EPsS7_N6thrust23THRUST_200600_302600_NS4plusIsEEEE10hipError_tPvRmT2_T3_mT4_P12ihipStream_tbEUlT_E_NS1_11comp_targetILNS1_3genE9ELNS1_11target_archE1100ELNS1_3gpuE3ELNS1_3repE0EEENS1_30default_config_static_selectorELNS0_4arch9wavefront6targetE1EEEvT1_.kd
    .uniform_work_group_size: 1
    .uses_dynamic_stack: false
    .vgpr_count:     0
    .vgpr_spill_count: 0
    .wavefront_size: 64
  - .agpr_count:     0
    .args:
      - .offset:         0
        .size:           56
        .value_kind:     by_value
    .group_segment_fixed_size: 0
    .kernarg_segment_align: 8
    .kernarg_segment_size: 56
    .language:       OpenCL C
    .language_version:
      - 2
      - 0
    .max_flat_workgroup_size: 512
    .name:           _ZN7rocprim17ROCPRIM_400000_NS6detail17trampoline_kernelINS0_14default_configENS1_35adjacent_difference_config_selectorILb1EsEEZNS1_24adjacent_difference_implIS3_Lb1ELb0EPsS7_N6thrust23THRUST_200600_302600_NS4plusIsEEEE10hipError_tPvRmT2_T3_mT4_P12ihipStream_tbEUlT_E_NS1_11comp_targetILNS1_3genE8ELNS1_11target_archE1030ELNS1_3gpuE2ELNS1_3repE0EEENS1_30default_config_static_selectorELNS0_4arch9wavefront6targetE1EEEvT1_
    .private_segment_fixed_size: 0
    .sgpr_count:     6
    .sgpr_spill_count: 0
    .symbol:         _ZN7rocprim17ROCPRIM_400000_NS6detail17trampoline_kernelINS0_14default_configENS1_35adjacent_difference_config_selectorILb1EsEEZNS1_24adjacent_difference_implIS3_Lb1ELb0EPsS7_N6thrust23THRUST_200600_302600_NS4plusIsEEEE10hipError_tPvRmT2_T3_mT4_P12ihipStream_tbEUlT_E_NS1_11comp_targetILNS1_3genE8ELNS1_11target_archE1030ELNS1_3gpuE2ELNS1_3repE0EEENS1_30default_config_static_selectorELNS0_4arch9wavefront6targetE1EEEvT1_.kd
    .uniform_work_group_size: 1
    .uses_dynamic_stack: false
    .vgpr_count:     0
    .vgpr_spill_count: 0
    .wavefront_size: 64
  - .agpr_count:     0
    .args:
      - .offset:         0
        .size:           56
        .value_kind:     by_value
    .group_segment_fixed_size: 0
    .kernarg_segment_align: 8
    .kernarg_segment_size: 56
    .language:       OpenCL C
    .language_version:
      - 2
      - 0
    .max_flat_workgroup_size: 128
    .name:           _ZN7rocprim17ROCPRIM_400000_NS6detail17trampoline_kernelINS0_14default_configENS1_35adjacent_difference_config_selectorILb0EiEEZNS1_24adjacent_difference_implIS3_Lb0ELb0EPiS7_N6thrust23THRUST_200600_302600_NS5minusIiEEEE10hipError_tPvRmT2_T3_mT4_P12ihipStream_tbEUlT_E_NS1_11comp_targetILNS1_3genE0ELNS1_11target_archE4294967295ELNS1_3gpuE0ELNS1_3repE0EEENS1_30default_config_static_selectorELNS0_4arch9wavefront6targetE1EEEvT1_
    .private_segment_fixed_size: 0
    .sgpr_count:     6
    .sgpr_spill_count: 0
    .symbol:         _ZN7rocprim17ROCPRIM_400000_NS6detail17trampoline_kernelINS0_14default_configENS1_35adjacent_difference_config_selectorILb0EiEEZNS1_24adjacent_difference_implIS3_Lb0ELb0EPiS7_N6thrust23THRUST_200600_302600_NS5minusIiEEEE10hipError_tPvRmT2_T3_mT4_P12ihipStream_tbEUlT_E_NS1_11comp_targetILNS1_3genE0ELNS1_11target_archE4294967295ELNS1_3gpuE0ELNS1_3repE0EEENS1_30default_config_static_selectorELNS0_4arch9wavefront6targetE1EEEvT1_.kd
    .uniform_work_group_size: 1
    .uses_dynamic_stack: false
    .vgpr_count:     0
    .vgpr_spill_count: 0
    .wavefront_size: 64
  - .agpr_count:     0
    .args:
      - .offset:         0
        .size:           56
        .value_kind:     by_value
    .group_segment_fixed_size: 0
    .kernarg_segment_align: 8
    .kernarg_segment_size: 56
    .language:       OpenCL C
    .language_version:
      - 2
      - 0
    .max_flat_workgroup_size: 128
    .name:           _ZN7rocprim17ROCPRIM_400000_NS6detail17trampoline_kernelINS0_14default_configENS1_35adjacent_difference_config_selectorILb0EiEEZNS1_24adjacent_difference_implIS3_Lb0ELb0EPiS7_N6thrust23THRUST_200600_302600_NS5minusIiEEEE10hipError_tPvRmT2_T3_mT4_P12ihipStream_tbEUlT_E_NS1_11comp_targetILNS1_3genE10ELNS1_11target_archE1201ELNS1_3gpuE5ELNS1_3repE0EEENS1_30default_config_static_selectorELNS0_4arch9wavefront6targetE1EEEvT1_
    .private_segment_fixed_size: 0
    .sgpr_count:     6
    .sgpr_spill_count: 0
    .symbol:         _ZN7rocprim17ROCPRIM_400000_NS6detail17trampoline_kernelINS0_14default_configENS1_35adjacent_difference_config_selectorILb0EiEEZNS1_24adjacent_difference_implIS3_Lb0ELb0EPiS7_N6thrust23THRUST_200600_302600_NS5minusIiEEEE10hipError_tPvRmT2_T3_mT4_P12ihipStream_tbEUlT_E_NS1_11comp_targetILNS1_3genE10ELNS1_11target_archE1201ELNS1_3gpuE5ELNS1_3repE0EEENS1_30default_config_static_selectorELNS0_4arch9wavefront6targetE1EEEvT1_.kd
    .uniform_work_group_size: 1
    .uses_dynamic_stack: false
    .vgpr_count:     0
    .vgpr_spill_count: 0
    .wavefront_size: 64
  - .agpr_count:     0
    .args:
      - .offset:         0
        .size:           56
        .value_kind:     by_value
    .group_segment_fixed_size: 7424
    .kernarg_segment_align: 8
    .kernarg_segment_size: 56
    .language:       OpenCL C
    .language_version:
      - 2
      - 0
    .max_flat_workgroup_size: 64
    .name:           _ZN7rocprim17ROCPRIM_400000_NS6detail17trampoline_kernelINS0_14default_configENS1_35adjacent_difference_config_selectorILb0EiEEZNS1_24adjacent_difference_implIS3_Lb0ELb0EPiS7_N6thrust23THRUST_200600_302600_NS5minusIiEEEE10hipError_tPvRmT2_T3_mT4_P12ihipStream_tbEUlT_E_NS1_11comp_targetILNS1_3genE5ELNS1_11target_archE942ELNS1_3gpuE9ELNS1_3repE0EEENS1_30default_config_static_selectorELNS0_4arch9wavefront6targetE1EEEvT1_
    .private_segment_fixed_size: 0
    .sgpr_count:     76
    .sgpr_spill_count: 0
    .symbol:         _ZN7rocprim17ROCPRIM_400000_NS6detail17trampoline_kernelINS0_14default_configENS1_35adjacent_difference_config_selectorILb0EiEEZNS1_24adjacent_difference_implIS3_Lb0ELb0EPiS7_N6thrust23THRUST_200600_302600_NS5minusIiEEEE10hipError_tPvRmT2_T3_mT4_P12ihipStream_tbEUlT_E_NS1_11comp_targetILNS1_3genE5ELNS1_11target_archE942ELNS1_3gpuE9ELNS1_3repE0EEENS1_30default_config_static_selectorELNS0_4arch9wavefront6targetE1EEEvT1_.kd
    .uniform_work_group_size: 1
    .uses_dynamic_stack: false
    .vgpr_count:     64
    .vgpr_spill_count: 0
    .wavefront_size: 64
  - .agpr_count:     0
    .args:
      - .offset:         0
        .size:           56
        .value_kind:     by_value
    .group_segment_fixed_size: 0
    .kernarg_segment_align: 8
    .kernarg_segment_size: 56
    .language:       OpenCL C
    .language_version:
      - 2
      - 0
    .max_flat_workgroup_size: 512
    .name:           _ZN7rocprim17ROCPRIM_400000_NS6detail17trampoline_kernelINS0_14default_configENS1_35adjacent_difference_config_selectorILb0EiEEZNS1_24adjacent_difference_implIS3_Lb0ELb0EPiS7_N6thrust23THRUST_200600_302600_NS5minusIiEEEE10hipError_tPvRmT2_T3_mT4_P12ihipStream_tbEUlT_E_NS1_11comp_targetILNS1_3genE4ELNS1_11target_archE910ELNS1_3gpuE8ELNS1_3repE0EEENS1_30default_config_static_selectorELNS0_4arch9wavefront6targetE1EEEvT1_
    .private_segment_fixed_size: 0
    .sgpr_count:     6
    .sgpr_spill_count: 0
    .symbol:         _ZN7rocprim17ROCPRIM_400000_NS6detail17trampoline_kernelINS0_14default_configENS1_35adjacent_difference_config_selectorILb0EiEEZNS1_24adjacent_difference_implIS3_Lb0ELb0EPiS7_N6thrust23THRUST_200600_302600_NS5minusIiEEEE10hipError_tPvRmT2_T3_mT4_P12ihipStream_tbEUlT_E_NS1_11comp_targetILNS1_3genE4ELNS1_11target_archE910ELNS1_3gpuE8ELNS1_3repE0EEENS1_30default_config_static_selectorELNS0_4arch9wavefront6targetE1EEEvT1_.kd
    .uniform_work_group_size: 1
    .uses_dynamic_stack: false
    .vgpr_count:     0
    .vgpr_spill_count: 0
    .wavefront_size: 64
  - .agpr_count:     0
    .args:
      - .offset:         0
        .size:           56
        .value_kind:     by_value
    .group_segment_fixed_size: 0
    .kernarg_segment_align: 8
    .kernarg_segment_size: 56
    .language:       OpenCL C
    .language_version:
      - 2
      - 0
    .max_flat_workgroup_size: 128
    .name:           _ZN7rocprim17ROCPRIM_400000_NS6detail17trampoline_kernelINS0_14default_configENS1_35adjacent_difference_config_selectorILb0EiEEZNS1_24adjacent_difference_implIS3_Lb0ELb0EPiS7_N6thrust23THRUST_200600_302600_NS5minusIiEEEE10hipError_tPvRmT2_T3_mT4_P12ihipStream_tbEUlT_E_NS1_11comp_targetILNS1_3genE3ELNS1_11target_archE908ELNS1_3gpuE7ELNS1_3repE0EEENS1_30default_config_static_selectorELNS0_4arch9wavefront6targetE1EEEvT1_
    .private_segment_fixed_size: 0
    .sgpr_count:     6
    .sgpr_spill_count: 0
    .symbol:         _ZN7rocprim17ROCPRIM_400000_NS6detail17trampoline_kernelINS0_14default_configENS1_35adjacent_difference_config_selectorILb0EiEEZNS1_24adjacent_difference_implIS3_Lb0ELb0EPiS7_N6thrust23THRUST_200600_302600_NS5minusIiEEEE10hipError_tPvRmT2_T3_mT4_P12ihipStream_tbEUlT_E_NS1_11comp_targetILNS1_3genE3ELNS1_11target_archE908ELNS1_3gpuE7ELNS1_3repE0EEENS1_30default_config_static_selectorELNS0_4arch9wavefront6targetE1EEEvT1_.kd
    .uniform_work_group_size: 1
    .uses_dynamic_stack: false
    .vgpr_count:     0
    .vgpr_spill_count: 0
    .wavefront_size: 64
  - .agpr_count:     0
    .args:
      - .offset:         0
        .size:           56
        .value_kind:     by_value
    .group_segment_fixed_size: 0
    .kernarg_segment_align: 8
    .kernarg_segment_size: 56
    .language:       OpenCL C
    .language_version:
      - 2
      - 0
    .max_flat_workgroup_size: 1024
    .name:           _ZN7rocprim17ROCPRIM_400000_NS6detail17trampoline_kernelINS0_14default_configENS1_35adjacent_difference_config_selectorILb0EiEEZNS1_24adjacent_difference_implIS3_Lb0ELb0EPiS7_N6thrust23THRUST_200600_302600_NS5minusIiEEEE10hipError_tPvRmT2_T3_mT4_P12ihipStream_tbEUlT_E_NS1_11comp_targetILNS1_3genE2ELNS1_11target_archE906ELNS1_3gpuE6ELNS1_3repE0EEENS1_30default_config_static_selectorELNS0_4arch9wavefront6targetE1EEEvT1_
    .private_segment_fixed_size: 0
    .sgpr_count:     6
    .sgpr_spill_count: 0
    .symbol:         _ZN7rocprim17ROCPRIM_400000_NS6detail17trampoline_kernelINS0_14default_configENS1_35adjacent_difference_config_selectorILb0EiEEZNS1_24adjacent_difference_implIS3_Lb0ELb0EPiS7_N6thrust23THRUST_200600_302600_NS5minusIiEEEE10hipError_tPvRmT2_T3_mT4_P12ihipStream_tbEUlT_E_NS1_11comp_targetILNS1_3genE2ELNS1_11target_archE906ELNS1_3gpuE6ELNS1_3repE0EEENS1_30default_config_static_selectorELNS0_4arch9wavefront6targetE1EEEvT1_.kd
    .uniform_work_group_size: 1
    .uses_dynamic_stack: false
    .vgpr_count:     0
    .vgpr_spill_count: 0
    .wavefront_size: 64
  - .agpr_count:     0
    .args:
      - .offset:         0
        .size:           56
        .value_kind:     by_value
    .group_segment_fixed_size: 0
    .kernarg_segment_align: 8
    .kernarg_segment_size: 56
    .language:       OpenCL C
    .language_version:
      - 2
      - 0
    .max_flat_workgroup_size: 1024
    .name:           _ZN7rocprim17ROCPRIM_400000_NS6detail17trampoline_kernelINS0_14default_configENS1_35adjacent_difference_config_selectorILb0EiEEZNS1_24adjacent_difference_implIS3_Lb0ELb0EPiS7_N6thrust23THRUST_200600_302600_NS5minusIiEEEE10hipError_tPvRmT2_T3_mT4_P12ihipStream_tbEUlT_E_NS1_11comp_targetILNS1_3genE9ELNS1_11target_archE1100ELNS1_3gpuE3ELNS1_3repE0EEENS1_30default_config_static_selectorELNS0_4arch9wavefront6targetE1EEEvT1_
    .private_segment_fixed_size: 0
    .sgpr_count:     6
    .sgpr_spill_count: 0
    .symbol:         _ZN7rocprim17ROCPRIM_400000_NS6detail17trampoline_kernelINS0_14default_configENS1_35adjacent_difference_config_selectorILb0EiEEZNS1_24adjacent_difference_implIS3_Lb0ELb0EPiS7_N6thrust23THRUST_200600_302600_NS5minusIiEEEE10hipError_tPvRmT2_T3_mT4_P12ihipStream_tbEUlT_E_NS1_11comp_targetILNS1_3genE9ELNS1_11target_archE1100ELNS1_3gpuE3ELNS1_3repE0EEENS1_30default_config_static_selectorELNS0_4arch9wavefront6targetE1EEEvT1_.kd
    .uniform_work_group_size: 1
    .uses_dynamic_stack: false
    .vgpr_count:     0
    .vgpr_spill_count: 0
    .wavefront_size: 64
  - .agpr_count:     0
    .args:
      - .offset:         0
        .size:           56
        .value_kind:     by_value
    .group_segment_fixed_size: 0
    .kernarg_segment_align: 8
    .kernarg_segment_size: 56
    .language:       OpenCL C
    .language_version:
      - 2
      - 0
    .max_flat_workgroup_size: 1024
    .name:           _ZN7rocprim17ROCPRIM_400000_NS6detail17trampoline_kernelINS0_14default_configENS1_35adjacent_difference_config_selectorILb0EiEEZNS1_24adjacent_difference_implIS3_Lb0ELb0EPiS7_N6thrust23THRUST_200600_302600_NS5minusIiEEEE10hipError_tPvRmT2_T3_mT4_P12ihipStream_tbEUlT_E_NS1_11comp_targetILNS1_3genE8ELNS1_11target_archE1030ELNS1_3gpuE2ELNS1_3repE0EEENS1_30default_config_static_selectorELNS0_4arch9wavefront6targetE1EEEvT1_
    .private_segment_fixed_size: 0
    .sgpr_count:     6
    .sgpr_spill_count: 0
    .symbol:         _ZN7rocprim17ROCPRIM_400000_NS6detail17trampoline_kernelINS0_14default_configENS1_35adjacent_difference_config_selectorILb0EiEEZNS1_24adjacent_difference_implIS3_Lb0ELb0EPiS7_N6thrust23THRUST_200600_302600_NS5minusIiEEEE10hipError_tPvRmT2_T3_mT4_P12ihipStream_tbEUlT_E_NS1_11comp_targetILNS1_3genE8ELNS1_11target_archE1030ELNS1_3gpuE2ELNS1_3repE0EEENS1_30default_config_static_selectorELNS0_4arch9wavefront6targetE1EEEvT1_.kd
    .uniform_work_group_size: 1
    .uses_dynamic_stack: false
    .vgpr_count:     0
    .vgpr_spill_count: 0
    .wavefront_size: 64
  - .agpr_count:     0
    .args:
      - .offset:         0
        .size:           56
        .value_kind:     by_value
    .group_segment_fixed_size: 0
    .kernarg_segment_align: 8
    .kernarg_segment_size: 56
    .language:       OpenCL C
    .language_version:
      - 2
      - 0
    .max_flat_workgroup_size: 128
    .name:           _ZN7rocprim17ROCPRIM_400000_NS6detail17trampoline_kernelINS0_14default_configENS1_25transform_config_selectorIiLb0EEEZNS1_14transform_implILb0ES3_S5_NS0_18transform_iteratorINS0_17counting_iteratorImlEEZNS1_24adjacent_difference_implIS3_Lb1ELb0EPiSB_N6thrust23THRUST_200600_302600_NS5minusIiEEEE10hipError_tPvRmT2_T3_mT4_P12ihipStream_tbEUlmE_iEESB_NS0_8identityIvEEEESG_SJ_SK_mSL_SN_bEUlT_E_NS1_11comp_targetILNS1_3genE0ELNS1_11target_archE4294967295ELNS1_3gpuE0ELNS1_3repE0EEENS1_30default_config_static_selectorELNS0_4arch9wavefront6targetE1EEEvT1_
    .private_segment_fixed_size: 0
    .sgpr_count:     6
    .sgpr_spill_count: 0
    .symbol:         _ZN7rocprim17ROCPRIM_400000_NS6detail17trampoline_kernelINS0_14default_configENS1_25transform_config_selectorIiLb0EEEZNS1_14transform_implILb0ES3_S5_NS0_18transform_iteratorINS0_17counting_iteratorImlEEZNS1_24adjacent_difference_implIS3_Lb1ELb0EPiSB_N6thrust23THRUST_200600_302600_NS5minusIiEEEE10hipError_tPvRmT2_T3_mT4_P12ihipStream_tbEUlmE_iEESB_NS0_8identityIvEEEESG_SJ_SK_mSL_SN_bEUlT_E_NS1_11comp_targetILNS1_3genE0ELNS1_11target_archE4294967295ELNS1_3gpuE0ELNS1_3repE0EEENS1_30default_config_static_selectorELNS0_4arch9wavefront6targetE1EEEvT1_.kd
    .uniform_work_group_size: 1
    .uses_dynamic_stack: false
    .vgpr_count:     0
    .vgpr_spill_count: 0
    .wavefront_size: 64
  - .agpr_count:     0
    .args:
      - .offset:         0
        .size:           56
        .value_kind:     by_value
      - .offset:         56
        .size:           4
        .value_kind:     hidden_block_count_x
      - .offset:         60
        .size:           4
        .value_kind:     hidden_block_count_y
      - .offset:         64
        .size:           4
        .value_kind:     hidden_block_count_z
      - .offset:         68
        .size:           2
        .value_kind:     hidden_group_size_x
      - .offset:         70
        .size:           2
        .value_kind:     hidden_group_size_y
      - .offset:         72
        .size:           2
        .value_kind:     hidden_group_size_z
      - .offset:         74
        .size:           2
        .value_kind:     hidden_remainder_x
      - .offset:         76
        .size:           2
        .value_kind:     hidden_remainder_y
      - .offset:         78
        .size:           2
        .value_kind:     hidden_remainder_z
      - .offset:         96
        .size:           8
        .value_kind:     hidden_global_offset_x
      - .offset:         104
        .size:           8
        .value_kind:     hidden_global_offset_y
      - .offset:         112
        .size:           8
        .value_kind:     hidden_global_offset_z
      - .offset:         120
        .size:           2
        .value_kind:     hidden_grid_dims
    .group_segment_fixed_size: 0
    .kernarg_segment_align: 8
    .kernarg_segment_size: 312
    .language:       OpenCL C
    .language_version:
      - 2
      - 0
    .max_flat_workgroup_size: 512
    .name:           _ZN7rocprim17ROCPRIM_400000_NS6detail17trampoline_kernelINS0_14default_configENS1_25transform_config_selectorIiLb0EEEZNS1_14transform_implILb0ES3_S5_NS0_18transform_iteratorINS0_17counting_iteratorImlEEZNS1_24adjacent_difference_implIS3_Lb1ELb0EPiSB_N6thrust23THRUST_200600_302600_NS5minusIiEEEE10hipError_tPvRmT2_T3_mT4_P12ihipStream_tbEUlmE_iEESB_NS0_8identityIvEEEESG_SJ_SK_mSL_SN_bEUlT_E_NS1_11comp_targetILNS1_3genE5ELNS1_11target_archE942ELNS1_3gpuE9ELNS1_3repE0EEENS1_30default_config_static_selectorELNS0_4arch9wavefront6targetE1EEEvT1_
    .private_segment_fixed_size: 0
    .sgpr_count:     28
    .sgpr_spill_count: 0
    .symbol:         _ZN7rocprim17ROCPRIM_400000_NS6detail17trampoline_kernelINS0_14default_configENS1_25transform_config_selectorIiLb0EEEZNS1_14transform_implILb0ES3_S5_NS0_18transform_iteratorINS0_17counting_iteratorImlEEZNS1_24adjacent_difference_implIS3_Lb1ELb0EPiSB_N6thrust23THRUST_200600_302600_NS5minusIiEEEE10hipError_tPvRmT2_T3_mT4_P12ihipStream_tbEUlmE_iEESB_NS0_8identityIvEEEESG_SJ_SK_mSL_SN_bEUlT_E_NS1_11comp_targetILNS1_3genE5ELNS1_11target_archE942ELNS1_3gpuE9ELNS1_3repE0EEENS1_30default_config_static_selectorELNS0_4arch9wavefront6targetE1EEEvT1_.kd
    .uniform_work_group_size: 1
    .uses_dynamic_stack: false
    .vgpr_count:     13
    .vgpr_spill_count: 0
    .wavefront_size: 64
  - .agpr_count:     0
    .args:
      - .offset:         0
        .size:           56
        .value_kind:     by_value
    .group_segment_fixed_size: 0
    .kernarg_segment_align: 8
    .kernarg_segment_size: 56
    .language:       OpenCL C
    .language_version:
      - 2
      - 0
    .max_flat_workgroup_size: 1024
    .name:           _ZN7rocprim17ROCPRIM_400000_NS6detail17trampoline_kernelINS0_14default_configENS1_25transform_config_selectorIiLb0EEEZNS1_14transform_implILb0ES3_S5_NS0_18transform_iteratorINS0_17counting_iteratorImlEEZNS1_24adjacent_difference_implIS3_Lb1ELb0EPiSB_N6thrust23THRUST_200600_302600_NS5minusIiEEEE10hipError_tPvRmT2_T3_mT4_P12ihipStream_tbEUlmE_iEESB_NS0_8identityIvEEEESG_SJ_SK_mSL_SN_bEUlT_E_NS1_11comp_targetILNS1_3genE4ELNS1_11target_archE910ELNS1_3gpuE8ELNS1_3repE0EEENS1_30default_config_static_selectorELNS0_4arch9wavefront6targetE1EEEvT1_
    .private_segment_fixed_size: 0
    .sgpr_count:     6
    .sgpr_spill_count: 0
    .symbol:         _ZN7rocprim17ROCPRIM_400000_NS6detail17trampoline_kernelINS0_14default_configENS1_25transform_config_selectorIiLb0EEEZNS1_14transform_implILb0ES3_S5_NS0_18transform_iteratorINS0_17counting_iteratorImlEEZNS1_24adjacent_difference_implIS3_Lb1ELb0EPiSB_N6thrust23THRUST_200600_302600_NS5minusIiEEEE10hipError_tPvRmT2_T3_mT4_P12ihipStream_tbEUlmE_iEESB_NS0_8identityIvEEEESG_SJ_SK_mSL_SN_bEUlT_E_NS1_11comp_targetILNS1_3genE4ELNS1_11target_archE910ELNS1_3gpuE8ELNS1_3repE0EEENS1_30default_config_static_selectorELNS0_4arch9wavefront6targetE1EEEvT1_.kd
    .uniform_work_group_size: 1
    .uses_dynamic_stack: false
    .vgpr_count:     0
    .vgpr_spill_count: 0
    .wavefront_size: 64
  - .agpr_count:     0
    .args:
      - .offset:         0
        .size:           56
        .value_kind:     by_value
    .group_segment_fixed_size: 0
    .kernarg_segment_align: 8
    .kernarg_segment_size: 56
    .language:       OpenCL C
    .language_version:
      - 2
      - 0
    .max_flat_workgroup_size: 128
    .name:           _ZN7rocprim17ROCPRIM_400000_NS6detail17trampoline_kernelINS0_14default_configENS1_25transform_config_selectorIiLb0EEEZNS1_14transform_implILb0ES3_S5_NS0_18transform_iteratorINS0_17counting_iteratorImlEEZNS1_24adjacent_difference_implIS3_Lb1ELb0EPiSB_N6thrust23THRUST_200600_302600_NS5minusIiEEEE10hipError_tPvRmT2_T3_mT4_P12ihipStream_tbEUlmE_iEESB_NS0_8identityIvEEEESG_SJ_SK_mSL_SN_bEUlT_E_NS1_11comp_targetILNS1_3genE3ELNS1_11target_archE908ELNS1_3gpuE7ELNS1_3repE0EEENS1_30default_config_static_selectorELNS0_4arch9wavefront6targetE1EEEvT1_
    .private_segment_fixed_size: 0
    .sgpr_count:     6
    .sgpr_spill_count: 0
    .symbol:         _ZN7rocprim17ROCPRIM_400000_NS6detail17trampoline_kernelINS0_14default_configENS1_25transform_config_selectorIiLb0EEEZNS1_14transform_implILb0ES3_S5_NS0_18transform_iteratorINS0_17counting_iteratorImlEEZNS1_24adjacent_difference_implIS3_Lb1ELb0EPiSB_N6thrust23THRUST_200600_302600_NS5minusIiEEEE10hipError_tPvRmT2_T3_mT4_P12ihipStream_tbEUlmE_iEESB_NS0_8identityIvEEEESG_SJ_SK_mSL_SN_bEUlT_E_NS1_11comp_targetILNS1_3genE3ELNS1_11target_archE908ELNS1_3gpuE7ELNS1_3repE0EEENS1_30default_config_static_selectorELNS0_4arch9wavefront6targetE1EEEvT1_.kd
    .uniform_work_group_size: 1
    .uses_dynamic_stack: false
    .vgpr_count:     0
    .vgpr_spill_count: 0
    .wavefront_size: 64
  - .agpr_count:     0
    .args:
      - .offset:         0
        .size:           56
        .value_kind:     by_value
    .group_segment_fixed_size: 0
    .kernarg_segment_align: 8
    .kernarg_segment_size: 56
    .language:       OpenCL C
    .language_version:
      - 2
      - 0
    .max_flat_workgroup_size: 1024
    .name:           _ZN7rocprim17ROCPRIM_400000_NS6detail17trampoline_kernelINS0_14default_configENS1_25transform_config_selectorIiLb0EEEZNS1_14transform_implILb0ES3_S5_NS0_18transform_iteratorINS0_17counting_iteratorImlEEZNS1_24adjacent_difference_implIS3_Lb1ELb0EPiSB_N6thrust23THRUST_200600_302600_NS5minusIiEEEE10hipError_tPvRmT2_T3_mT4_P12ihipStream_tbEUlmE_iEESB_NS0_8identityIvEEEESG_SJ_SK_mSL_SN_bEUlT_E_NS1_11comp_targetILNS1_3genE2ELNS1_11target_archE906ELNS1_3gpuE6ELNS1_3repE0EEENS1_30default_config_static_selectorELNS0_4arch9wavefront6targetE1EEEvT1_
    .private_segment_fixed_size: 0
    .sgpr_count:     6
    .sgpr_spill_count: 0
    .symbol:         _ZN7rocprim17ROCPRIM_400000_NS6detail17trampoline_kernelINS0_14default_configENS1_25transform_config_selectorIiLb0EEEZNS1_14transform_implILb0ES3_S5_NS0_18transform_iteratorINS0_17counting_iteratorImlEEZNS1_24adjacent_difference_implIS3_Lb1ELb0EPiSB_N6thrust23THRUST_200600_302600_NS5minusIiEEEE10hipError_tPvRmT2_T3_mT4_P12ihipStream_tbEUlmE_iEESB_NS0_8identityIvEEEESG_SJ_SK_mSL_SN_bEUlT_E_NS1_11comp_targetILNS1_3genE2ELNS1_11target_archE906ELNS1_3gpuE6ELNS1_3repE0EEENS1_30default_config_static_selectorELNS0_4arch9wavefront6targetE1EEEvT1_.kd
    .uniform_work_group_size: 1
    .uses_dynamic_stack: false
    .vgpr_count:     0
    .vgpr_spill_count: 0
    .wavefront_size: 64
  - .agpr_count:     0
    .args:
      - .offset:         0
        .size:           56
        .value_kind:     by_value
    .group_segment_fixed_size: 0
    .kernarg_segment_align: 8
    .kernarg_segment_size: 56
    .language:       OpenCL C
    .language_version:
      - 2
      - 0
    .max_flat_workgroup_size: 1024
    .name:           _ZN7rocprim17ROCPRIM_400000_NS6detail17trampoline_kernelINS0_14default_configENS1_25transform_config_selectorIiLb0EEEZNS1_14transform_implILb0ES3_S5_NS0_18transform_iteratorINS0_17counting_iteratorImlEEZNS1_24adjacent_difference_implIS3_Lb1ELb0EPiSB_N6thrust23THRUST_200600_302600_NS5minusIiEEEE10hipError_tPvRmT2_T3_mT4_P12ihipStream_tbEUlmE_iEESB_NS0_8identityIvEEEESG_SJ_SK_mSL_SN_bEUlT_E_NS1_11comp_targetILNS1_3genE10ELNS1_11target_archE1201ELNS1_3gpuE5ELNS1_3repE0EEENS1_30default_config_static_selectorELNS0_4arch9wavefront6targetE1EEEvT1_
    .private_segment_fixed_size: 0
    .sgpr_count:     6
    .sgpr_spill_count: 0
    .symbol:         _ZN7rocprim17ROCPRIM_400000_NS6detail17trampoline_kernelINS0_14default_configENS1_25transform_config_selectorIiLb0EEEZNS1_14transform_implILb0ES3_S5_NS0_18transform_iteratorINS0_17counting_iteratorImlEEZNS1_24adjacent_difference_implIS3_Lb1ELb0EPiSB_N6thrust23THRUST_200600_302600_NS5minusIiEEEE10hipError_tPvRmT2_T3_mT4_P12ihipStream_tbEUlmE_iEESB_NS0_8identityIvEEEESG_SJ_SK_mSL_SN_bEUlT_E_NS1_11comp_targetILNS1_3genE10ELNS1_11target_archE1201ELNS1_3gpuE5ELNS1_3repE0EEENS1_30default_config_static_selectorELNS0_4arch9wavefront6targetE1EEEvT1_.kd
    .uniform_work_group_size: 1
    .uses_dynamic_stack: false
    .vgpr_count:     0
    .vgpr_spill_count: 0
    .wavefront_size: 64
  - .agpr_count:     0
    .args:
      - .offset:         0
        .size:           56
        .value_kind:     by_value
    .group_segment_fixed_size: 0
    .kernarg_segment_align: 8
    .kernarg_segment_size: 56
    .language:       OpenCL C
    .language_version:
      - 2
      - 0
    .max_flat_workgroup_size: 512
    .name:           _ZN7rocprim17ROCPRIM_400000_NS6detail17trampoline_kernelINS0_14default_configENS1_25transform_config_selectorIiLb0EEEZNS1_14transform_implILb0ES3_S5_NS0_18transform_iteratorINS0_17counting_iteratorImlEEZNS1_24adjacent_difference_implIS3_Lb1ELb0EPiSB_N6thrust23THRUST_200600_302600_NS5minusIiEEEE10hipError_tPvRmT2_T3_mT4_P12ihipStream_tbEUlmE_iEESB_NS0_8identityIvEEEESG_SJ_SK_mSL_SN_bEUlT_E_NS1_11comp_targetILNS1_3genE10ELNS1_11target_archE1200ELNS1_3gpuE4ELNS1_3repE0EEENS1_30default_config_static_selectorELNS0_4arch9wavefront6targetE1EEEvT1_
    .private_segment_fixed_size: 0
    .sgpr_count:     6
    .sgpr_spill_count: 0
    .symbol:         _ZN7rocprim17ROCPRIM_400000_NS6detail17trampoline_kernelINS0_14default_configENS1_25transform_config_selectorIiLb0EEEZNS1_14transform_implILb0ES3_S5_NS0_18transform_iteratorINS0_17counting_iteratorImlEEZNS1_24adjacent_difference_implIS3_Lb1ELb0EPiSB_N6thrust23THRUST_200600_302600_NS5minusIiEEEE10hipError_tPvRmT2_T3_mT4_P12ihipStream_tbEUlmE_iEESB_NS0_8identityIvEEEESG_SJ_SK_mSL_SN_bEUlT_E_NS1_11comp_targetILNS1_3genE10ELNS1_11target_archE1200ELNS1_3gpuE4ELNS1_3repE0EEENS1_30default_config_static_selectorELNS0_4arch9wavefront6targetE1EEEvT1_.kd
    .uniform_work_group_size: 1
    .uses_dynamic_stack: false
    .vgpr_count:     0
    .vgpr_spill_count: 0
    .wavefront_size: 64
  - .agpr_count:     0
    .args:
      - .offset:         0
        .size:           56
        .value_kind:     by_value
    .group_segment_fixed_size: 0
    .kernarg_segment_align: 8
    .kernarg_segment_size: 56
    .language:       OpenCL C
    .language_version:
      - 2
      - 0
    .max_flat_workgroup_size: 64
    .name:           _ZN7rocprim17ROCPRIM_400000_NS6detail17trampoline_kernelINS0_14default_configENS1_25transform_config_selectorIiLb0EEEZNS1_14transform_implILb0ES3_S5_NS0_18transform_iteratorINS0_17counting_iteratorImlEEZNS1_24adjacent_difference_implIS3_Lb1ELb0EPiSB_N6thrust23THRUST_200600_302600_NS5minusIiEEEE10hipError_tPvRmT2_T3_mT4_P12ihipStream_tbEUlmE_iEESB_NS0_8identityIvEEEESG_SJ_SK_mSL_SN_bEUlT_E_NS1_11comp_targetILNS1_3genE9ELNS1_11target_archE1100ELNS1_3gpuE3ELNS1_3repE0EEENS1_30default_config_static_selectorELNS0_4arch9wavefront6targetE1EEEvT1_
    .private_segment_fixed_size: 0
    .sgpr_count:     6
    .sgpr_spill_count: 0
    .symbol:         _ZN7rocprim17ROCPRIM_400000_NS6detail17trampoline_kernelINS0_14default_configENS1_25transform_config_selectorIiLb0EEEZNS1_14transform_implILb0ES3_S5_NS0_18transform_iteratorINS0_17counting_iteratorImlEEZNS1_24adjacent_difference_implIS3_Lb1ELb0EPiSB_N6thrust23THRUST_200600_302600_NS5minusIiEEEE10hipError_tPvRmT2_T3_mT4_P12ihipStream_tbEUlmE_iEESB_NS0_8identityIvEEEESG_SJ_SK_mSL_SN_bEUlT_E_NS1_11comp_targetILNS1_3genE9ELNS1_11target_archE1100ELNS1_3gpuE3ELNS1_3repE0EEENS1_30default_config_static_selectorELNS0_4arch9wavefront6targetE1EEEvT1_.kd
    .uniform_work_group_size: 1
    .uses_dynamic_stack: false
    .vgpr_count:     0
    .vgpr_spill_count: 0
    .wavefront_size: 64
  - .agpr_count:     0
    .args:
      - .offset:         0
        .size:           56
        .value_kind:     by_value
    .group_segment_fixed_size: 0
    .kernarg_segment_align: 8
    .kernarg_segment_size: 56
    .language:       OpenCL C
    .language_version:
      - 2
      - 0
    .max_flat_workgroup_size: 256
    .name:           _ZN7rocprim17ROCPRIM_400000_NS6detail17trampoline_kernelINS0_14default_configENS1_25transform_config_selectorIiLb0EEEZNS1_14transform_implILb0ES3_S5_NS0_18transform_iteratorINS0_17counting_iteratorImlEEZNS1_24adjacent_difference_implIS3_Lb1ELb0EPiSB_N6thrust23THRUST_200600_302600_NS5minusIiEEEE10hipError_tPvRmT2_T3_mT4_P12ihipStream_tbEUlmE_iEESB_NS0_8identityIvEEEESG_SJ_SK_mSL_SN_bEUlT_E_NS1_11comp_targetILNS1_3genE8ELNS1_11target_archE1030ELNS1_3gpuE2ELNS1_3repE0EEENS1_30default_config_static_selectorELNS0_4arch9wavefront6targetE1EEEvT1_
    .private_segment_fixed_size: 0
    .sgpr_count:     6
    .sgpr_spill_count: 0
    .symbol:         _ZN7rocprim17ROCPRIM_400000_NS6detail17trampoline_kernelINS0_14default_configENS1_25transform_config_selectorIiLb0EEEZNS1_14transform_implILb0ES3_S5_NS0_18transform_iteratorINS0_17counting_iteratorImlEEZNS1_24adjacent_difference_implIS3_Lb1ELb0EPiSB_N6thrust23THRUST_200600_302600_NS5minusIiEEEE10hipError_tPvRmT2_T3_mT4_P12ihipStream_tbEUlmE_iEESB_NS0_8identityIvEEEESG_SJ_SK_mSL_SN_bEUlT_E_NS1_11comp_targetILNS1_3genE8ELNS1_11target_archE1030ELNS1_3gpuE2ELNS1_3repE0EEENS1_30default_config_static_selectorELNS0_4arch9wavefront6targetE1EEEvT1_.kd
    .uniform_work_group_size: 1
    .uses_dynamic_stack: false
    .vgpr_count:     0
    .vgpr_spill_count: 0
    .wavefront_size: 64
  - .agpr_count:     0
    .args:
      - .offset:         0
        .size:           56
        .value_kind:     by_value
    .group_segment_fixed_size: 0
    .kernarg_segment_align: 8
    .kernarg_segment_size: 56
    .language:       OpenCL C
    .language_version:
      - 2
      - 0
    .max_flat_workgroup_size: 1024
    .name:           _ZN7rocprim17ROCPRIM_400000_NS6detail17trampoline_kernelINS0_14default_configENS1_35adjacent_difference_config_selectorILb1EiEEZNS1_24adjacent_difference_implIS3_Lb1ELb0EPiS7_N6thrust23THRUST_200600_302600_NS5minusIiEEEE10hipError_tPvRmT2_T3_mT4_P12ihipStream_tbEUlT_E_NS1_11comp_targetILNS1_3genE0ELNS1_11target_archE4294967295ELNS1_3gpuE0ELNS1_3repE0EEENS1_30default_config_static_selectorELNS0_4arch9wavefront6targetE1EEEvT1_
    .private_segment_fixed_size: 0
    .sgpr_count:     6
    .sgpr_spill_count: 0
    .symbol:         _ZN7rocprim17ROCPRIM_400000_NS6detail17trampoline_kernelINS0_14default_configENS1_35adjacent_difference_config_selectorILb1EiEEZNS1_24adjacent_difference_implIS3_Lb1ELb0EPiS7_N6thrust23THRUST_200600_302600_NS5minusIiEEEE10hipError_tPvRmT2_T3_mT4_P12ihipStream_tbEUlT_E_NS1_11comp_targetILNS1_3genE0ELNS1_11target_archE4294967295ELNS1_3gpuE0ELNS1_3repE0EEENS1_30default_config_static_selectorELNS0_4arch9wavefront6targetE1EEEvT1_.kd
    .uniform_work_group_size: 1
    .uses_dynamic_stack: false
    .vgpr_count:     0
    .vgpr_spill_count: 0
    .wavefront_size: 64
  - .agpr_count:     0
    .args:
      - .offset:         0
        .size:           56
        .value_kind:     by_value
    .group_segment_fixed_size: 0
    .kernarg_segment_align: 8
    .kernarg_segment_size: 56
    .language:       OpenCL C
    .language_version:
      - 2
      - 0
    .max_flat_workgroup_size: 32
    .name:           _ZN7rocprim17ROCPRIM_400000_NS6detail17trampoline_kernelINS0_14default_configENS1_35adjacent_difference_config_selectorILb1EiEEZNS1_24adjacent_difference_implIS3_Lb1ELb0EPiS7_N6thrust23THRUST_200600_302600_NS5minusIiEEEE10hipError_tPvRmT2_T3_mT4_P12ihipStream_tbEUlT_E_NS1_11comp_targetILNS1_3genE10ELNS1_11target_archE1201ELNS1_3gpuE5ELNS1_3repE0EEENS1_30default_config_static_selectorELNS0_4arch9wavefront6targetE1EEEvT1_
    .private_segment_fixed_size: 0
    .sgpr_count:     6
    .sgpr_spill_count: 0
    .symbol:         _ZN7rocprim17ROCPRIM_400000_NS6detail17trampoline_kernelINS0_14default_configENS1_35adjacent_difference_config_selectorILb1EiEEZNS1_24adjacent_difference_implIS3_Lb1ELb0EPiS7_N6thrust23THRUST_200600_302600_NS5minusIiEEEE10hipError_tPvRmT2_T3_mT4_P12ihipStream_tbEUlT_E_NS1_11comp_targetILNS1_3genE10ELNS1_11target_archE1201ELNS1_3gpuE5ELNS1_3repE0EEENS1_30default_config_static_selectorELNS0_4arch9wavefront6targetE1EEEvT1_.kd
    .uniform_work_group_size: 1
    .uses_dynamic_stack: false
    .vgpr_count:     0
    .vgpr_spill_count: 0
    .wavefront_size: 64
  - .agpr_count:     0
    .args:
      - .offset:         0
        .size:           56
        .value_kind:     by_value
    .group_segment_fixed_size: 10240
    .kernarg_segment_align: 8
    .kernarg_segment_size: 56
    .language:       OpenCL C
    .language_version:
      - 2
      - 0
    .max_flat_workgroup_size: 512
    .name:           _ZN7rocprim17ROCPRIM_400000_NS6detail17trampoline_kernelINS0_14default_configENS1_35adjacent_difference_config_selectorILb1EiEEZNS1_24adjacent_difference_implIS3_Lb1ELb0EPiS7_N6thrust23THRUST_200600_302600_NS5minusIiEEEE10hipError_tPvRmT2_T3_mT4_P12ihipStream_tbEUlT_E_NS1_11comp_targetILNS1_3genE5ELNS1_11target_archE942ELNS1_3gpuE9ELNS1_3repE0EEENS1_30default_config_static_selectorELNS0_4arch9wavefront6targetE1EEEvT1_
    .private_segment_fixed_size: 0
    .sgpr_count:     35
    .sgpr_spill_count: 0
    .symbol:         _ZN7rocprim17ROCPRIM_400000_NS6detail17trampoline_kernelINS0_14default_configENS1_35adjacent_difference_config_selectorILb1EiEEZNS1_24adjacent_difference_implIS3_Lb1ELb0EPiS7_N6thrust23THRUST_200600_302600_NS5minusIiEEEE10hipError_tPvRmT2_T3_mT4_P12ihipStream_tbEUlT_E_NS1_11comp_targetILNS1_3genE5ELNS1_11target_archE942ELNS1_3gpuE9ELNS1_3repE0EEENS1_30default_config_static_selectorELNS0_4arch9wavefront6targetE1EEEvT1_.kd
    .uniform_work_group_size: 1
    .uses_dynamic_stack: false
    .vgpr_count:     26
    .vgpr_spill_count: 0
    .wavefront_size: 64
  - .agpr_count:     0
    .args:
      - .offset:         0
        .size:           56
        .value_kind:     by_value
    .group_segment_fixed_size: 0
    .kernarg_segment_align: 8
    .kernarg_segment_size: 56
    .language:       OpenCL C
    .language_version:
      - 2
      - 0
    .max_flat_workgroup_size: 512
    .name:           _ZN7rocprim17ROCPRIM_400000_NS6detail17trampoline_kernelINS0_14default_configENS1_35adjacent_difference_config_selectorILb1EiEEZNS1_24adjacent_difference_implIS3_Lb1ELb0EPiS7_N6thrust23THRUST_200600_302600_NS5minusIiEEEE10hipError_tPvRmT2_T3_mT4_P12ihipStream_tbEUlT_E_NS1_11comp_targetILNS1_3genE4ELNS1_11target_archE910ELNS1_3gpuE8ELNS1_3repE0EEENS1_30default_config_static_selectorELNS0_4arch9wavefront6targetE1EEEvT1_
    .private_segment_fixed_size: 0
    .sgpr_count:     6
    .sgpr_spill_count: 0
    .symbol:         _ZN7rocprim17ROCPRIM_400000_NS6detail17trampoline_kernelINS0_14default_configENS1_35adjacent_difference_config_selectorILb1EiEEZNS1_24adjacent_difference_implIS3_Lb1ELb0EPiS7_N6thrust23THRUST_200600_302600_NS5minusIiEEEE10hipError_tPvRmT2_T3_mT4_P12ihipStream_tbEUlT_E_NS1_11comp_targetILNS1_3genE4ELNS1_11target_archE910ELNS1_3gpuE8ELNS1_3repE0EEENS1_30default_config_static_selectorELNS0_4arch9wavefront6targetE1EEEvT1_.kd
    .uniform_work_group_size: 1
    .uses_dynamic_stack: false
    .vgpr_count:     0
    .vgpr_spill_count: 0
    .wavefront_size: 64
  - .agpr_count:     0
    .args:
      - .offset:         0
        .size:           56
        .value_kind:     by_value
    .group_segment_fixed_size: 0
    .kernarg_segment_align: 8
    .kernarg_segment_size: 56
    .language:       OpenCL C
    .language_version:
      - 2
      - 0
    .max_flat_workgroup_size: 1024
    .name:           _ZN7rocprim17ROCPRIM_400000_NS6detail17trampoline_kernelINS0_14default_configENS1_35adjacent_difference_config_selectorILb1EiEEZNS1_24adjacent_difference_implIS3_Lb1ELb0EPiS7_N6thrust23THRUST_200600_302600_NS5minusIiEEEE10hipError_tPvRmT2_T3_mT4_P12ihipStream_tbEUlT_E_NS1_11comp_targetILNS1_3genE3ELNS1_11target_archE908ELNS1_3gpuE7ELNS1_3repE0EEENS1_30default_config_static_selectorELNS0_4arch9wavefront6targetE1EEEvT1_
    .private_segment_fixed_size: 0
    .sgpr_count:     6
    .sgpr_spill_count: 0
    .symbol:         _ZN7rocprim17ROCPRIM_400000_NS6detail17trampoline_kernelINS0_14default_configENS1_35adjacent_difference_config_selectorILb1EiEEZNS1_24adjacent_difference_implIS3_Lb1ELb0EPiS7_N6thrust23THRUST_200600_302600_NS5minusIiEEEE10hipError_tPvRmT2_T3_mT4_P12ihipStream_tbEUlT_E_NS1_11comp_targetILNS1_3genE3ELNS1_11target_archE908ELNS1_3gpuE7ELNS1_3repE0EEENS1_30default_config_static_selectorELNS0_4arch9wavefront6targetE1EEEvT1_.kd
    .uniform_work_group_size: 1
    .uses_dynamic_stack: false
    .vgpr_count:     0
    .vgpr_spill_count: 0
    .wavefront_size: 64
  - .agpr_count:     0
    .args:
      - .offset:         0
        .size:           56
        .value_kind:     by_value
    .group_segment_fixed_size: 0
    .kernarg_segment_align: 8
    .kernarg_segment_size: 56
    .language:       OpenCL C
    .language_version:
      - 2
      - 0
    .max_flat_workgroup_size: 256
    .name:           _ZN7rocprim17ROCPRIM_400000_NS6detail17trampoline_kernelINS0_14default_configENS1_35adjacent_difference_config_selectorILb1EiEEZNS1_24adjacent_difference_implIS3_Lb1ELb0EPiS7_N6thrust23THRUST_200600_302600_NS5minusIiEEEE10hipError_tPvRmT2_T3_mT4_P12ihipStream_tbEUlT_E_NS1_11comp_targetILNS1_3genE2ELNS1_11target_archE906ELNS1_3gpuE6ELNS1_3repE0EEENS1_30default_config_static_selectorELNS0_4arch9wavefront6targetE1EEEvT1_
    .private_segment_fixed_size: 0
    .sgpr_count:     6
    .sgpr_spill_count: 0
    .symbol:         _ZN7rocprim17ROCPRIM_400000_NS6detail17trampoline_kernelINS0_14default_configENS1_35adjacent_difference_config_selectorILb1EiEEZNS1_24adjacent_difference_implIS3_Lb1ELb0EPiS7_N6thrust23THRUST_200600_302600_NS5minusIiEEEE10hipError_tPvRmT2_T3_mT4_P12ihipStream_tbEUlT_E_NS1_11comp_targetILNS1_3genE2ELNS1_11target_archE906ELNS1_3gpuE6ELNS1_3repE0EEENS1_30default_config_static_selectorELNS0_4arch9wavefront6targetE1EEEvT1_.kd
    .uniform_work_group_size: 1
    .uses_dynamic_stack: false
    .vgpr_count:     0
    .vgpr_spill_count: 0
    .wavefront_size: 64
  - .agpr_count:     0
    .args:
      - .offset:         0
        .size:           56
        .value_kind:     by_value
    .group_segment_fixed_size: 0
    .kernarg_segment_align: 8
    .kernarg_segment_size: 56
    .language:       OpenCL C
    .language_version:
      - 2
      - 0
    .max_flat_workgroup_size: 128
    .name:           _ZN7rocprim17ROCPRIM_400000_NS6detail17trampoline_kernelINS0_14default_configENS1_35adjacent_difference_config_selectorILb1EiEEZNS1_24adjacent_difference_implIS3_Lb1ELb0EPiS7_N6thrust23THRUST_200600_302600_NS5minusIiEEEE10hipError_tPvRmT2_T3_mT4_P12ihipStream_tbEUlT_E_NS1_11comp_targetILNS1_3genE9ELNS1_11target_archE1100ELNS1_3gpuE3ELNS1_3repE0EEENS1_30default_config_static_selectorELNS0_4arch9wavefront6targetE1EEEvT1_
    .private_segment_fixed_size: 0
    .sgpr_count:     6
    .sgpr_spill_count: 0
    .symbol:         _ZN7rocprim17ROCPRIM_400000_NS6detail17trampoline_kernelINS0_14default_configENS1_35adjacent_difference_config_selectorILb1EiEEZNS1_24adjacent_difference_implIS3_Lb1ELb0EPiS7_N6thrust23THRUST_200600_302600_NS5minusIiEEEE10hipError_tPvRmT2_T3_mT4_P12ihipStream_tbEUlT_E_NS1_11comp_targetILNS1_3genE9ELNS1_11target_archE1100ELNS1_3gpuE3ELNS1_3repE0EEENS1_30default_config_static_selectorELNS0_4arch9wavefront6targetE1EEEvT1_.kd
    .uniform_work_group_size: 1
    .uses_dynamic_stack: false
    .vgpr_count:     0
    .vgpr_spill_count: 0
    .wavefront_size: 64
  - .agpr_count:     0
    .args:
      - .offset:         0
        .size:           56
        .value_kind:     by_value
    .group_segment_fixed_size: 0
    .kernarg_segment_align: 8
    .kernarg_segment_size: 56
    .language:       OpenCL C
    .language_version:
      - 2
      - 0
    .max_flat_workgroup_size: 32
    .name:           _ZN7rocprim17ROCPRIM_400000_NS6detail17trampoline_kernelINS0_14default_configENS1_35adjacent_difference_config_selectorILb1EiEEZNS1_24adjacent_difference_implIS3_Lb1ELb0EPiS7_N6thrust23THRUST_200600_302600_NS5minusIiEEEE10hipError_tPvRmT2_T3_mT4_P12ihipStream_tbEUlT_E_NS1_11comp_targetILNS1_3genE8ELNS1_11target_archE1030ELNS1_3gpuE2ELNS1_3repE0EEENS1_30default_config_static_selectorELNS0_4arch9wavefront6targetE1EEEvT1_
    .private_segment_fixed_size: 0
    .sgpr_count:     6
    .sgpr_spill_count: 0
    .symbol:         _ZN7rocprim17ROCPRIM_400000_NS6detail17trampoline_kernelINS0_14default_configENS1_35adjacent_difference_config_selectorILb1EiEEZNS1_24adjacent_difference_implIS3_Lb1ELb0EPiS7_N6thrust23THRUST_200600_302600_NS5minusIiEEEE10hipError_tPvRmT2_T3_mT4_P12ihipStream_tbEUlT_E_NS1_11comp_targetILNS1_3genE8ELNS1_11target_archE1030ELNS1_3gpuE2ELNS1_3repE0EEENS1_30default_config_static_selectorELNS0_4arch9wavefront6targetE1EEEvT1_.kd
    .uniform_work_group_size: 1
    .uses_dynamic_stack: false
    .vgpr_count:     0
    .vgpr_spill_count: 0
    .wavefront_size: 64
  - .agpr_count:     0
    .args:
      - .offset:         0
        .size:           56
        .value_kind:     by_value
    .group_segment_fixed_size: 0
    .kernarg_segment_align: 8
    .kernarg_segment_size: 56
    .language:       OpenCL C
    .language_version:
      - 2
      - 0
    .max_flat_workgroup_size: 128
    .name:           _ZN7rocprim17ROCPRIM_400000_NS6detail17trampoline_kernelINS0_14default_configENS1_35adjacent_difference_config_selectorILb0EiEEZNS1_24adjacent_difference_implIS3_Lb0ELb0EPiS7_N6thrust23THRUST_200600_302600_NS4plusIiEEEE10hipError_tPvRmT2_T3_mT4_P12ihipStream_tbEUlT_E_NS1_11comp_targetILNS1_3genE0ELNS1_11target_archE4294967295ELNS1_3gpuE0ELNS1_3repE0EEENS1_30default_config_static_selectorELNS0_4arch9wavefront6targetE1EEEvT1_
    .private_segment_fixed_size: 0
    .sgpr_count:     6
    .sgpr_spill_count: 0
    .symbol:         _ZN7rocprim17ROCPRIM_400000_NS6detail17trampoline_kernelINS0_14default_configENS1_35adjacent_difference_config_selectorILb0EiEEZNS1_24adjacent_difference_implIS3_Lb0ELb0EPiS7_N6thrust23THRUST_200600_302600_NS4plusIiEEEE10hipError_tPvRmT2_T3_mT4_P12ihipStream_tbEUlT_E_NS1_11comp_targetILNS1_3genE0ELNS1_11target_archE4294967295ELNS1_3gpuE0ELNS1_3repE0EEENS1_30default_config_static_selectorELNS0_4arch9wavefront6targetE1EEEvT1_.kd
    .uniform_work_group_size: 1
    .uses_dynamic_stack: false
    .vgpr_count:     0
    .vgpr_spill_count: 0
    .wavefront_size: 64
  - .agpr_count:     0
    .args:
      - .offset:         0
        .size:           56
        .value_kind:     by_value
    .group_segment_fixed_size: 0
    .kernarg_segment_align: 8
    .kernarg_segment_size: 56
    .language:       OpenCL C
    .language_version:
      - 2
      - 0
    .max_flat_workgroup_size: 128
    .name:           _ZN7rocprim17ROCPRIM_400000_NS6detail17trampoline_kernelINS0_14default_configENS1_35adjacent_difference_config_selectorILb0EiEEZNS1_24adjacent_difference_implIS3_Lb0ELb0EPiS7_N6thrust23THRUST_200600_302600_NS4plusIiEEEE10hipError_tPvRmT2_T3_mT4_P12ihipStream_tbEUlT_E_NS1_11comp_targetILNS1_3genE10ELNS1_11target_archE1201ELNS1_3gpuE5ELNS1_3repE0EEENS1_30default_config_static_selectorELNS0_4arch9wavefront6targetE1EEEvT1_
    .private_segment_fixed_size: 0
    .sgpr_count:     6
    .sgpr_spill_count: 0
    .symbol:         _ZN7rocprim17ROCPRIM_400000_NS6detail17trampoline_kernelINS0_14default_configENS1_35adjacent_difference_config_selectorILb0EiEEZNS1_24adjacent_difference_implIS3_Lb0ELb0EPiS7_N6thrust23THRUST_200600_302600_NS4plusIiEEEE10hipError_tPvRmT2_T3_mT4_P12ihipStream_tbEUlT_E_NS1_11comp_targetILNS1_3genE10ELNS1_11target_archE1201ELNS1_3gpuE5ELNS1_3repE0EEENS1_30default_config_static_selectorELNS0_4arch9wavefront6targetE1EEEvT1_.kd
    .uniform_work_group_size: 1
    .uses_dynamic_stack: false
    .vgpr_count:     0
    .vgpr_spill_count: 0
    .wavefront_size: 64
  - .agpr_count:     0
    .args:
      - .offset:         0
        .size:           56
        .value_kind:     by_value
    .group_segment_fixed_size: 7424
    .kernarg_segment_align: 8
    .kernarg_segment_size: 56
    .language:       OpenCL C
    .language_version:
      - 2
      - 0
    .max_flat_workgroup_size: 64
    .name:           _ZN7rocprim17ROCPRIM_400000_NS6detail17trampoline_kernelINS0_14default_configENS1_35adjacent_difference_config_selectorILb0EiEEZNS1_24adjacent_difference_implIS3_Lb0ELb0EPiS7_N6thrust23THRUST_200600_302600_NS4plusIiEEEE10hipError_tPvRmT2_T3_mT4_P12ihipStream_tbEUlT_E_NS1_11comp_targetILNS1_3genE5ELNS1_11target_archE942ELNS1_3gpuE9ELNS1_3repE0EEENS1_30default_config_static_selectorELNS0_4arch9wavefront6targetE1EEEvT1_
    .private_segment_fixed_size: 0
    .sgpr_count:     29
    .sgpr_spill_count: 0
    .symbol:         _ZN7rocprim17ROCPRIM_400000_NS6detail17trampoline_kernelINS0_14default_configENS1_35adjacent_difference_config_selectorILb0EiEEZNS1_24adjacent_difference_implIS3_Lb0ELb0EPiS7_N6thrust23THRUST_200600_302600_NS4plusIiEEEE10hipError_tPvRmT2_T3_mT4_P12ihipStream_tbEUlT_E_NS1_11comp_targetILNS1_3genE5ELNS1_11target_archE942ELNS1_3gpuE9ELNS1_3repE0EEENS1_30default_config_static_selectorELNS0_4arch9wavefront6targetE1EEEvT1_.kd
    .uniform_work_group_size: 1
    .uses_dynamic_stack: false
    .vgpr_count:     64
    .vgpr_spill_count: 0
    .wavefront_size: 64
  - .agpr_count:     0
    .args:
      - .offset:         0
        .size:           56
        .value_kind:     by_value
    .group_segment_fixed_size: 0
    .kernarg_segment_align: 8
    .kernarg_segment_size: 56
    .language:       OpenCL C
    .language_version:
      - 2
      - 0
    .max_flat_workgroup_size: 512
    .name:           _ZN7rocprim17ROCPRIM_400000_NS6detail17trampoline_kernelINS0_14default_configENS1_35adjacent_difference_config_selectorILb0EiEEZNS1_24adjacent_difference_implIS3_Lb0ELb0EPiS7_N6thrust23THRUST_200600_302600_NS4plusIiEEEE10hipError_tPvRmT2_T3_mT4_P12ihipStream_tbEUlT_E_NS1_11comp_targetILNS1_3genE4ELNS1_11target_archE910ELNS1_3gpuE8ELNS1_3repE0EEENS1_30default_config_static_selectorELNS0_4arch9wavefront6targetE1EEEvT1_
    .private_segment_fixed_size: 0
    .sgpr_count:     6
    .sgpr_spill_count: 0
    .symbol:         _ZN7rocprim17ROCPRIM_400000_NS6detail17trampoline_kernelINS0_14default_configENS1_35adjacent_difference_config_selectorILb0EiEEZNS1_24adjacent_difference_implIS3_Lb0ELb0EPiS7_N6thrust23THRUST_200600_302600_NS4plusIiEEEE10hipError_tPvRmT2_T3_mT4_P12ihipStream_tbEUlT_E_NS1_11comp_targetILNS1_3genE4ELNS1_11target_archE910ELNS1_3gpuE8ELNS1_3repE0EEENS1_30default_config_static_selectorELNS0_4arch9wavefront6targetE1EEEvT1_.kd
    .uniform_work_group_size: 1
    .uses_dynamic_stack: false
    .vgpr_count:     0
    .vgpr_spill_count: 0
    .wavefront_size: 64
  - .agpr_count:     0
    .args:
      - .offset:         0
        .size:           56
        .value_kind:     by_value
    .group_segment_fixed_size: 0
    .kernarg_segment_align: 8
    .kernarg_segment_size: 56
    .language:       OpenCL C
    .language_version:
      - 2
      - 0
    .max_flat_workgroup_size: 128
    .name:           _ZN7rocprim17ROCPRIM_400000_NS6detail17trampoline_kernelINS0_14default_configENS1_35adjacent_difference_config_selectorILb0EiEEZNS1_24adjacent_difference_implIS3_Lb0ELb0EPiS7_N6thrust23THRUST_200600_302600_NS4plusIiEEEE10hipError_tPvRmT2_T3_mT4_P12ihipStream_tbEUlT_E_NS1_11comp_targetILNS1_3genE3ELNS1_11target_archE908ELNS1_3gpuE7ELNS1_3repE0EEENS1_30default_config_static_selectorELNS0_4arch9wavefront6targetE1EEEvT1_
    .private_segment_fixed_size: 0
    .sgpr_count:     6
    .sgpr_spill_count: 0
    .symbol:         _ZN7rocprim17ROCPRIM_400000_NS6detail17trampoline_kernelINS0_14default_configENS1_35adjacent_difference_config_selectorILb0EiEEZNS1_24adjacent_difference_implIS3_Lb0ELb0EPiS7_N6thrust23THRUST_200600_302600_NS4plusIiEEEE10hipError_tPvRmT2_T3_mT4_P12ihipStream_tbEUlT_E_NS1_11comp_targetILNS1_3genE3ELNS1_11target_archE908ELNS1_3gpuE7ELNS1_3repE0EEENS1_30default_config_static_selectorELNS0_4arch9wavefront6targetE1EEEvT1_.kd
    .uniform_work_group_size: 1
    .uses_dynamic_stack: false
    .vgpr_count:     0
    .vgpr_spill_count: 0
    .wavefront_size: 64
  - .agpr_count:     0
    .args:
      - .offset:         0
        .size:           56
        .value_kind:     by_value
    .group_segment_fixed_size: 0
    .kernarg_segment_align: 8
    .kernarg_segment_size: 56
    .language:       OpenCL C
    .language_version:
      - 2
      - 0
    .max_flat_workgroup_size: 1024
    .name:           _ZN7rocprim17ROCPRIM_400000_NS6detail17trampoline_kernelINS0_14default_configENS1_35adjacent_difference_config_selectorILb0EiEEZNS1_24adjacent_difference_implIS3_Lb0ELb0EPiS7_N6thrust23THRUST_200600_302600_NS4plusIiEEEE10hipError_tPvRmT2_T3_mT4_P12ihipStream_tbEUlT_E_NS1_11comp_targetILNS1_3genE2ELNS1_11target_archE906ELNS1_3gpuE6ELNS1_3repE0EEENS1_30default_config_static_selectorELNS0_4arch9wavefront6targetE1EEEvT1_
    .private_segment_fixed_size: 0
    .sgpr_count:     6
    .sgpr_spill_count: 0
    .symbol:         _ZN7rocprim17ROCPRIM_400000_NS6detail17trampoline_kernelINS0_14default_configENS1_35adjacent_difference_config_selectorILb0EiEEZNS1_24adjacent_difference_implIS3_Lb0ELb0EPiS7_N6thrust23THRUST_200600_302600_NS4plusIiEEEE10hipError_tPvRmT2_T3_mT4_P12ihipStream_tbEUlT_E_NS1_11comp_targetILNS1_3genE2ELNS1_11target_archE906ELNS1_3gpuE6ELNS1_3repE0EEENS1_30default_config_static_selectorELNS0_4arch9wavefront6targetE1EEEvT1_.kd
    .uniform_work_group_size: 1
    .uses_dynamic_stack: false
    .vgpr_count:     0
    .vgpr_spill_count: 0
    .wavefront_size: 64
  - .agpr_count:     0
    .args:
      - .offset:         0
        .size:           56
        .value_kind:     by_value
    .group_segment_fixed_size: 0
    .kernarg_segment_align: 8
    .kernarg_segment_size: 56
    .language:       OpenCL C
    .language_version:
      - 2
      - 0
    .max_flat_workgroup_size: 1024
    .name:           _ZN7rocprim17ROCPRIM_400000_NS6detail17trampoline_kernelINS0_14default_configENS1_35adjacent_difference_config_selectorILb0EiEEZNS1_24adjacent_difference_implIS3_Lb0ELb0EPiS7_N6thrust23THRUST_200600_302600_NS4plusIiEEEE10hipError_tPvRmT2_T3_mT4_P12ihipStream_tbEUlT_E_NS1_11comp_targetILNS1_3genE9ELNS1_11target_archE1100ELNS1_3gpuE3ELNS1_3repE0EEENS1_30default_config_static_selectorELNS0_4arch9wavefront6targetE1EEEvT1_
    .private_segment_fixed_size: 0
    .sgpr_count:     6
    .sgpr_spill_count: 0
    .symbol:         _ZN7rocprim17ROCPRIM_400000_NS6detail17trampoline_kernelINS0_14default_configENS1_35adjacent_difference_config_selectorILb0EiEEZNS1_24adjacent_difference_implIS3_Lb0ELb0EPiS7_N6thrust23THRUST_200600_302600_NS4plusIiEEEE10hipError_tPvRmT2_T3_mT4_P12ihipStream_tbEUlT_E_NS1_11comp_targetILNS1_3genE9ELNS1_11target_archE1100ELNS1_3gpuE3ELNS1_3repE0EEENS1_30default_config_static_selectorELNS0_4arch9wavefront6targetE1EEEvT1_.kd
    .uniform_work_group_size: 1
    .uses_dynamic_stack: false
    .vgpr_count:     0
    .vgpr_spill_count: 0
    .wavefront_size: 64
  - .agpr_count:     0
    .args:
      - .offset:         0
        .size:           56
        .value_kind:     by_value
    .group_segment_fixed_size: 0
    .kernarg_segment_align: 8
    .kernarg_segment_size: 56
    .language:       OpenCL C
    .language_version:
      - 2
      - 0
    .max_flat_workgroup_size: 1024
    .name:           _ZN7rocprim17ROCPRIM_400000_NS6detail17trampoline_kernelINS0_14default_configENS1_35adjacent_difference_config_selectorILb0EiEEZNS1_24adjacent_difference_implIS3_Lb0ELb0EPiS7_N6thrust23THRUST_200600_302600_NS4plusIiEEEE10hipError_tPvRmT2_T3_mT4_P12ihipStream_tbEUlT_E_NS1_11comp_targetILNS1_3genE8ELNS1_11target_archE1030ELNS1_3gpuE2ELNS1_3repE0EEENS1_30default_config_static_selectorELNS0_4arch9wavefront6targetE1EEEvT1_
    .private_segment_fixed_size: 0
    .sgpr_count:     6
    .sgpr_spill_count: 0
    .symbol:         _ZN7rocprim17ROCPRIM_400000_NS6detail17trampoline_kernelINS0_14default_configENS1_35adjacent_difference_config_selectorILb0EiEEZNS1_24adjacent_difference_implIS3_Lb0ELb0EPiS7_N6thrust23THRUST_200600_302600_NS4plusIiEEEE10hipError_tPvRmT2_T3_mT4_P12ihipStream_tbEUlT_E_NS1_11comp_targetILNS1_3genE8ELNS1_11target_archE1030ELNS1_3gpuE2ELNS1_3repE0EEENS1_30default_config_static_selectorELNS0_4arch9wavefront6targetE1EEEvT1_.kd
    .uniform_work_group_size: 1
    .uses_dynamic_stack: false
    .vgpr_count:     0
    .vgpr_spill_count: 0
    .wavefront_size: 64
  - .agpr_count:     0
    .args:
      - .offset:         0
        .size:           56
        .value_kind:     by_value
    .group_segment_fixed_size: 0
    .kernarg_segment_align: 8
    .kernarg_segment_size: 56
    .language:       OpenCL C
    .language_version:
      - 2
      - 0
    .max_flat_workgroup_size: 128
    .name:           _ZN7rocprim17ROCPRIM_400000_NS6detail17trampoline_kernelINS0_14default_configENS1_25transform_config_selectorIiLb0EEEZNS1_14transform_implILb0ES3_S5_NS0_18transform_iteratorINS0_17counting_iteratorImlEEZNS1_24adjacent_difference_implIS3_Lb1ELb0EPiSB_N6thrust23THRUST_200600_302600_NS4plusIiEEEE10hipError_tPvRmT2_T3_mT4_P12ihipStream_tbEUlmE_iEESB_NS0_8identityIvEEEESG_SJ_SK_mSL_SN_bEUlT_E_NS1_11comp_targetILNS1_3genE0ELNS1_11target_archE4294967295ELNS1_3gpuE0ELNS1_3repE0EEENS1_30default_config_static_selectorELNS0_4arch9wavefront6targetE1EEEvT1_
    .private_segment_fixed_size: 0
    .sgpr_count:     6
    .sgpr_spill_count: 0
    .symbol:         _ZN7rocprim17ROCPRIM_400000_NS6detail17trampoline_kernelINS0_14default_configENS1_25transform_config_selectorIiLb0EEEZNS1_14transform_implILb0ES3_S5_NS0_18transform_iteratorINS0_17counting_iteratorImlEEZNS1_24adjacent_difference_implIS3_Lb1ELb0EPiSB_N6thrust23THRUST_200600_302600_NS4plusIiEEEE10hipError_tPvRmT2_T3_mT4_P12ihipStream_tbEUlmE_iEESB_NS0_8identityIvEEEESG_SJ_SK_mSL_SN_bEUlT_E_NS1_11comp_targetILNS1_3genE0ELNS1_11target_archE4294967295ELNS1_3gpuE0ELNS1_3repE0EEENS1_30default_config_static_selectorELNS0_4arch9wavefront6targetE1EEEvT1_.kd
    .uniform_work_group_size: 1
    .uses_dynamic_stack: false
    .vgpr_count:     0
    .vgpr_spill_count: 0
    .wavefront_size: 64
  - .agpr_count:     0
    .args:
      - .offset:         0
        .size:           56
        .value_kind:     by_value
      - .offset:         56
        .size:           4
        .value_kind:     hidden_block_count_x
      - .offset:         60
        .size:           4
        .value_kind:     hidden_block_count_y
      - .offset:         64
        .size:           4
        .value_kind:     hidden_block_count_z
      - .offset:         68
        .size:           2
        .value_kind:     hidden_group_size_x
      - .offset:         70
        .size:           2
        .value_kind:     hidden_group_size_y
      - .offset:         72
        .size:           2
        .value_kind:     hidden_group_size_z
      - .offset:         74
        .size:           2
        .value_kind:     hidden_remainder_x
      - .offset:         76
        .size:           2
        .value_kind:     hidden_remainder_y
      - .offset:         78
        .size:           2
        .value_kind:     hidden_remainder_z
      - .offset:         96
        .size:           8
        .value_kind:     hidden_global_offset_x
      - .offset:         104
        .size:           8
        .value_kind:     hidden_global_offset_y
      - .offset:         112
        .size:           8
        .value_kind:     hidden_global_offset_z
      - .offset:         120
        .size:           2
        .value_kind:     hidden_grid_dims
    .group_segment_fixed_size: 0
    .kernarg_segment_align: 8
    .kernarg_segment_size: 312
    .language:       OpenCL C
    .language_version:
      - 2
      - 0
    .max_flat_workgroup_size: 512
    .name:           _ZN7rocprim17ROCPRIM_400000_NS6detail17trampoline_kernelINS0_14default_configENS1_25transform_config_selectorIiLb0EEEZNS1_14transform_implILb0ES3_S5_NS0_18transform_iteratorINS0_17counting_iteratorImlEEZNS1_24adjacent_difference_implIS3_Lb1ELb0EPiSB_N6thrust23THRUST_200600_302600_NS4plusIiEEEE10hipError_tPvRmT2_T3_mT4_P12ihipStream_tbEUlmE_iEESB_NS0_8identityIvEEEESG_SJ_SK_mSL_SN_bEUlT_E_NS1_11comp_targetILNS1_3genE5ELNS1_11target_archE942ELNS1_3gpuE9ELNS1_3repE0EEENS1_30default_config_static_selectorELNS0_4arch9wavefront6targetE1EEEvT1_
    .private_segment_fixed_size: 0
    .sgpr_count:     28
    .sgpr_spill_count: 0
    .symbol:         _ZN7rocprim17ROCPRIM_400000_NS6detail17trampoline_kernelINS0_14default_configENS1_25transform_config_selectorIiLb0EEEZNS1_14transform_implILb0ES3_S5_NS0_18transform_iteratorINS0_17counting_iteratorImlEEZNS1_24adjacent_difference_implIS3_Lb1ELb0EPiSB_N6thrust23THRUST_200600_302600_NS4plusIiEEEE10hipError_tPvRmT2_T3_mT4_P12ihipStream_tbEUlmE_iEESB_NS0_8identityIvEEEESG_SJ_SK_mSL_SN_bEUlT_E_NS1_11comp_targetILNS1_3genE5ELNS1_11target_archE942ELNS1_3gpuE9ELNS1_3repE0EEENS1_30default_config_static_selectorELNS0_4arch9wavefront6targetE1EEEvT1_.kd
    .uniform_work_group_size: 1
    .uses_dynamic_stack: false
    .vgpr_count:     13
    .vgpr_spill_count: 0
    .wavefront_size: 64
  - .agpr_count:     0
    .args:
      - .offset:         0
        .size:           56
        .value_kind:     by_value
    .group_segment_fixed_size: 0
    .kernarg_segment_align: 8
    .kernarg_segment_size: 56
    .language:       OpenCL C
    .language_version:
      - 2
      - 0
    .max_flat_workgroup_size: 1024
    .name:           _ZN7rocprim17ROCPRIM_400000_NS6detail17trampoline_kernelINS0_14default_configENS1_25transform_config_selectorIiLb0EEEZNS1_14transform_implILb0ES3_S5_NS0_18transform_iteratorINS0_17counting_iteratorImlEEZNS1_24adjacent_difference_implIS3_Lb1ELb0EPiSB_N6thrust23THRUST_200600_302600_NS4plusIiEEEE10hipError_tPvRmT2_T3_mT4_P12ihipStream_tbEUlmE_iEESB_NS0_8identityIvEEEESG_SJ_SK_mSL_SN_bEUlT_E_NS1_11comp_targetILNS1_3genE4ELNS1_11target_archE910ELNS1_3gpuE8ELNS1_3repE0EEENS1_30default_config_static_selectorELNS0_4arch9wavefront6targetE1EEEvT1_
    .private_segment_fixed_size: 0
    .sgpr_count:     6
    .sgpr_spill_count: 0
    .symbol:         _ZN7rocprim17ROCPRIM_400000_NS6detail17trampoline_kernelINS0_14default_configENS1_25transform_config_selectorIiLb0EEEZNS1_14transform_implILb0ES3_S5_NS0_18transform_iteratorINS0_17counting_iteratorImlEEZNS1_24adjacent_difference_implIS3_Lb1ELb0EPiSB_N6thrust23THRUST_200600_302600_NS4plusIiEEEE10hipError_tPvRmT2_T3_mT4_P12ihipStream_tbEUlmE_iEESB_NS0_8identityIvEEEESG_SJ_SK_mSL_SN_bEUlT_E_NS1_11comp_targetILNS1_3genE4ELNS1_11target_archE910ELNS1_3gpuE8ELNS1_3repE0EEENS1_30default_config_static_selectorELNS0_4arch9wavefront6targetE1EEEvT1_.kd
    .uniform_work_group_size: 1
    .uses_dynamic_stack: false
    .vgpr_count:     0
    .vgpr_spill_count: 0
    .wavefront_size: 64
  - .agpr_count:     0
    .args:
      - .offset:         0
        .size:           56
        .value_kind:     by_value
    .group_segment_fixed_size: 0
    .kernarg_segment_align: 8
    .kernarg_segment_size: 56
    .language:       OpenCL C
    .language_version:
      - 2
      - 0
    .max_flat_workgroup_size: 128
    .name:           _ZN7rocprim17ROCPRIM_400000_NS6detail17trampoline_kernelINS0_14default_configENS1_25transform_config_selectorIiLb0EEEZNS1_14transform_implILb0ES3_S5_NS0_18transform_iteratorINS0_17counting_iteratorImlEEZNS1_24adjacent_difference_implIS3_Lb1ELb0EPiSB_N6thrust23THRUST_200600_302600_NS4plusIiEEEE10hipError_tPvRmT2_T3_mT4_P12ihipStream_tbEUlmE_iEESB_NS0_8identityIvEEEESG_SJ_SK_mSL_SN_bEUlT_E_NS1_11comp_targetILNS1_3genE3ELNS1_11target_archE908ELNS1_3gpuE7ELNS1_3repE0EEENS1_30default_config_static_selectorELNS0_4arch9wavefront6targetE1EEEvT1_
    .private_segment_fixed_size: 0
    .sgpr_count:     6
    .sgpr_spill_count: 0
    .symbol:         _ZN7rocprim17ROCPRIM_400000_NS6detail17trampoline_kernelINS0_14default_configENS1_25transform_config_selectorIiLb0EEEZNS1_14transform_implILb0ES3_S5_NS0_18transform_iteratorINS0_17counting_iteratorImlEEZNS1_24adjacent_difference_implIS3_Lb1ELb0EPiSB_N6thrust23THRUST_200600_302600_NS4plusIiEEEE10hipError_tPvRmT2_T3_mT4_P12ihipStream_tbEUlmE_iEESB_NS0_8identityIvEEEESG_SJ_SK_mSL_SN_bEUlT_E_NS1_11comp_targetILNS1_3genE3ELNS1_11target_archE908ELNS1_3gpuE7ELNS1_3repE0EEENS1_30default_config_static_selectorELNS0_4arch9wavefront6targetE1EEEvT1_.kd
    .uniform_work_group_size: 1
    .uses_dynamic_stack: false
    .vgpr_count:     0
    .vgpr_spill_count: 0
    .wavefront_size: 64
  - .agpr_count:     0
    .args:
      - .offset:         0
        .size:           56
        .value_kind:     by_value
    .group_segment_fixed_size: 0
    .kernarg_segment_align: 8
    .kernarg_segment_size: 56
    .language:       OpenCL C
    .language_version:
      - 2
      - 0
    .max_flat_workgroup_size: 1024
    .name:           _ZN7rocprim17ROCPRIM_400000_NS6detail17trampoline_kernelINS0_14default_configENS1_25transform_config_selectorIiLb0EEEZNS1_14transform_implILb0ES3_S5_NS0_18transform_iteratorINS0_17counting_iteratorImlEEZNS1_24adjacent_difference_implIS3_Lb1ELb0EPiSB_N6thrust23THRUST_200600_302600_NS4plusIiEEEE10hipError_tPvRmT2_T3_mT4_P12ihipStream_tbEUlmE_iEESB_NS0_8identityIvEEEESG_SJ_SK_mSL_SN_bEUlT_E_NS1_11comp_targetILNS1_3genE2ELNS1_11target_archE906ELNS1_3gpuE6ELNS1_3repE0EEENS1_30default_config_static_selectorELNS0_4arch9wavefront6targetE1EEEvT1_
    .private_segment_fixed_size: 0
    .sgpr_count:     6
    .sgpr_spill_count: 0
    .symbol:         _ZN7rocprim17ROCPRIM_400000_NS6detail17trampoline_kernelINS0_14default_configENS1_25transform_config_selectorIiLb0EEEZNS1_14transform_implILb0ES3_S5_NS0_18transform_iteratorINS0_17counting_iteratorImlEEZNS1_24adjacent_difference_implIS3_Lb1ELb0EPiSB_N6thrust23THRUST_200600_302600_NS4plusIiEEEE10hipError_tPvRmT2_T3_mT4_P12ihipStream_tbEUlmE_iEESB_NS0_8identityIvEEEESG_SJ_SK_mSL_SN_bEUlT_E_NS1_11comp_targetILNS1_3genE2ELNS1_11target_archE906ELNS1_3gpuE6ELNS1_3repE0EEENS1_30default_config_static_selectorELNS0_4arch9wavefront6targetE1EEEvT1_.kd
    .uniform_work_group_size: 1
    .uses_dynamic_stack: false
    .vgpr_count:     0
    .vgpr_spill_count: 0
    .wavefront_size: 64
  - .agpr_count:     0
    .args:
      - .offset:         0
        .size:           56
        .value_kind:     by_value
    .group_segment_fixed_size: 0
    .kernarg_segment_align: 8
    .kernarg_segment_size: 56
    .language:       OpenCL C
    .language_version:
      - 2
      - 0
    .max_flat_workgroup_size: 1024
    .name:           _ZN7rocprim17ROCPRIM_400000_NS6detail17trampoline_kernelINS0_14default_configENS1_25transform_config_selectorIiLb0EEEZNS1_14transform_implILb0ES3_S5_NS0_18transform_iteratorINS0_17counting_iteratorImlEEZNS1_24adjacent_difference_implIS3_Lb1ELb0EPiSB_N6thrust23THRUST_200600_302600_NS4plusIiEEEE10hipError_tPvRmT2_T3_mT4_P12ihipStream_tbEUlmE_iEESB_NS0_8identityIvEEEESG_SJ_SK_mSL_SN_bEUlT_E_NS1_11comp_targetILNS1_3genE10ELNS1_11target_archE1201ELNS1_3gpuE5ELNS1_3repE0EEENS1_30default_config_static_selectorELNS0_4arch9wavefront6targetE1EEEvT1_
    .private_segment_fixed_size: 0
    .sgpr_count:     6
    .sgpr_spill_count: 0
    .symbol:         _ZN7rocprim17ROCPRIM_400000_NS6detail17trampoline_kernelINS0_14default_configENS1_25transform_config_selectorIiLb0EEEZNS1_14transform_implILb0ES3_S5_NS0_18transform_iteratorINS0_17counting_iteratorImlEEZNS1_24adjacent_difference_implIS3_Lb1ELb0EPiSB_N6thrust23THRUST_200600_302600_NS4plusIiEEEE10hipError_tPvRmT2_T3_mT4_P12ihipStream_tbEUlmE_iEESB_NS0_8identityIvEEEESG_SJ_SK_mSL_SN_bEUlT_E_NS1_11comp_targetILNS1_3genE10ELNS1_11target_archE1201ELNS1_3gpuE5ELNS1_3repE0EEENS1_30default_config_static_selectorELNS0_4arch9wavefront6targetE1EEEvT1_.kd
    .uniform_work_group_size: 1
    .uses_dynamic_stack: false
    .vgpr_count:     0
    .vgpr_spill_count: 0
    .wavefront_size: 64
  - .agpr_count:     0
    .args:
      - .offset:         0
        .size:           56
        .value_kind:     by_value
    .group_segment_fixed_size: 0
    .kernarg_segment_align: 8
    .kernarg_segment_size: 56
    .language:       OpenCL C
    .language_version:
      - 2
      - 0
    .max_flat_workgroup_size: 512
    .name:           _ZN7rocprim17ROCPRIM_400000_NS6detail17trampoline_kernelINS0_14default_configENS1_25transform_config_selectorIiLb0EEEZNS1_14transform_implILb0ES3_S5_NS0_18transform_iteratorINS0_17counting_iteratorImlEEZNS1_24adjacent_difference_implIS3_Lb1ELb0EPiSB_N6thrust23THRUST_200600_302600_NS4plusIiEEEE10hipError_tPvRmT2_T3_mT4_P12ihipStream_tbEUlmE_iEESB_NS0_8identityIvEEEESG_SJ_SK_mSL_SN_bEUlT_E_NS1_11comp_targetILNS1_3genE10ELNS1_11target_archE1200ELNS1_3gpuE4ELNS1_3repE0EEENS1_30default_config_static_selectorELNS0_4arch9wavefront6targetE1EEEvT1_
    .private_segment_fixed_size: 0
    .sgpr_count:     6
    .sgpr_spill_count: 0
    .symbol:         _ZN7rocprim17ROCPRIM_400000_NS6detail17trampoline_kernelINS0_14default_configENS1_25transform_config_selectorIiLb0EEEZNS1_14transform_implILb0ES3_S5_NS0_18transform_iteratorINS0_17counting_iteratorImlEEZNS1_24adjacent_difference_implIS3_Lb1ELb0EPiSB_N6thrust23THRUST_200600_302600_NS4plusIiEEEE10hipError_tPvRmT2_T3_mT4_P12ihipStream_tbEUlmE_iEESB_NS0_8identityIvEEEESG_SJ_SK_mSL_SN_bEUlT_E_NS1_11comp_targetILNS1_3genE10ELNS1_11target_archE1200ELNS1_3gpuE4ELNS1_3repE0EEENS1_30default_config_static_selectorELNS0_4arch9wavefront6targetE1EEEvT1_.kd
    .uniform_work_group_size: 1
    .uses_dynamic_stack: false
    .vgpr_count:     0
    .vgpr_spill_count: 0
    .wavefront_size: 64
  - .agpr_count:     0
    .args:
      - .offset:         0
        .size:           56
        .value_kind:     by_value
    .group_segment_fixed_size: 0
    .kernarg_segment_align: 8
    .kernarg_segment_size: 56
    .language:       OpenCL C
    .language_version:
      - 2
      - 0
    .max_flat_workgroup_size: 64
    .name:           _ZN7rocprim17ROCPRIM_400000_NS6detail17trampoline_kernelINS0_14default_configENS1_25transform_config_selectorIiLb0EEEZNS1_14transform_implILb0ES3_S5_NS0_18transform_iteratorINS0_17counting_iteratorImlEEZNS1_24adjacent_difference_implIS3_Lb1ELb0EPiSB_N6thrust23THRUST_200600_302600_NS4plusIiEEEE10hipError_tPvRmT2_T3_mT4_P12ihipStream_tbEUlmE_iEESB_NS0_8identityIvEEEESG_SJ_SK_mSL_SN_bEUlT_E_NS1_11comp_targetILNS1_3genE9ELNS1_11target_archE1100ELNS1_3gpuE3ELNS1_3repE0EEENS1_30default_config_static_selectorELNS0_4arch9wavefront6targetE1EEEvT1_
    .private_segment_fixed_size: 0
    .sgpr_count:     6
    .sgpr_spill_count: 0
    .symbol:         _ZN7rocprim17ROCPRIM_400000_NS6detail17trampoline_kernelINS0_14default_configENS1_25transform_config_selectorIiLb0EEEZNS1_14transform_implILb0ES3_S5_NS0_18transform_iteratorINS0_17counting_iteratorImlEEZNS1_24adjacent_difference_implIS3_Lb1ELb0EPiSB_N6thrust23THRUST_200600_302600_NS4plusIiEEEE10hipError_tPvRmT2_T3_mT4_P12ihipStream_tbEUlmE_iEESB_NS0_8identityIvEEEESG_SJ_SK_mSL_SN_bEUlT_E_NS1_11comp_targetILNS1_3genE9ELNS1_11target_archE1100ELNS1_3gpuE3ELNS1_3repE0EEENS1_30default_config_static_selectorELNS0_4arch9wavefront6targetE1EEEvT1_.kd
    .uniform_work_group_size: 1
    .uses_dynamic_stack: false
    .vgpr_count:     0
    .vgpr_spill_count: 0
    .wavefront_size: 64
  - .agpr_count:     0
    .args:
      - .offset:         0
        .size:           56
        .value_kind:     by_value
    .group_segment_fixed_size: 0
    .kernarg_segment_align: 8
    .kernarg_segment_size: 56
    .language:       OpenCL C
    .language_version:
      - 2
      - 0
    .max_flat_workgroup_size: 256
    .name:           _ZN7rocprim17ROCPRIM_400000_NS6detail17trampoline_kernelINS0_14default_configENS1_25transform_config_selectorIiLb0EEEZNS1_14transform_implILb0ES3_S5_NS0_18transform_iteratorINS0_17counting_iteratorImlEEZNS1_24adjacent_difference_implIS3_Lb1ELb0EPiSB_N6thrust23THRUST_200600_302600_NS4plusIiEEEE10hipError_tPvRmT2_T3_mT4_P12ihipStream_tbEUlmE_iEESB_NS0_8identityIvEEEESG_SJ_SK_mSL_SN_bEUlT_E_NS1_11comp_targetILNS1_3genE8ELNS1_11target_archE1030ELNS1_3gpuE2ELNS1_3repE0EEENS1_30default_config_static_selectorELNS0_4arch9wavefront6targetE1EEEvT1_
    .private_segment_fixed_size: 0
    .sgpr_count:     6
    .sgpr_spill_count: 0
    .symbol:         _ZN7rocprim17ROCPRIM_400000_NS6detail17trampoline_kernelINS0_14default_configENS1_25transform_config_selectorIiLb0EEEZNS1_14transform_implILb0ES3_S5_NS0_18transform_iteratorINS0_17counting_iteratorImlEEZNS1_24adjacent_difference_implIS3_Lb1ELb0EPiSB_N6thrust23THRUST_200600_302600_NS4plusIiEEEE10hipError_tPvRmT2_T3_mT4_P12ihipStream_tbEUlmE_iEESB_NS0_8identityIvEEEESG_SJ_SK_mSL_SN_bEUlT_E_NS1_11comp_targetILNS1_3genE8ELNS1_11target_archE1030ELNS1_3gpuE2ELNS1_3repE0EEENS1_30default_config_static_selectorELNS0_4arch9wavefront6targetE1EEEvT1_.kd
    .uniform_work_group_size: 1
    .uses_dynamic_stack: false
    .vgpr_count:     0
    .vgpr_spill_count: 0
    .wavefront_size: 64
  - .agpr_count:     0
    .args:
      - .offset:         0
        .size:           56
        .value_kind:     by_value
    .group_segment_fixed_size: 0
    .kernarg_segment_align: 8
    .kernarg_segment_size: 56
    .language:       OpenCL C
    .language_version:
      - 2
      - 0
    .max_flat_workgroup_size: 1024
    .name:           _ZN7rocprim17ROCPRIM_400000_NS6detail17trampoline_kernelINS0_14default_configENS1_35adjacent_difference_config_selectorILb1EiEEZNS1_24adjacent_difference_implIS3_Lb1ELb0EPiS7_N6thrust23THRUST_200600_302600_NS4plusIiEEEE10hipError_tPvRmT2_T3_mT4_P12ihipStream_tbEUlT_E_NS1_11comp_targetILNS1_3genE0ELNS1_11target_archE4294967295ELNS1_3gpuE0ELNS1_3repE0EEENS1_30default_config_static_selectorELNS0_4arch9wavefront6targetE1EEEvT1_
    .private_segment_fixed_size: 0
    .sgpr_count:     6
    .sgpr_spill_count: 0
    .symbol:         _ZN7rocprim17ROCPRIM_400000_NS6detail17trampoline_kernelINS0_14default_configENS1_35adjacent_difference_config_selectorILb1EiEEZNS1_24adjacent_difference_implIS3_Lb1ELb0EPiS7_N6thrust23THRUST_200600_302600_NS4plusIiEEEE10hipError_tPvRmT2_T3_mT4_P12ihipStream_tbEUlT_E_NS1_11comp_targetILNS1_3genE0ELNS1_11target_archE4294967295ELNS1_3gpuE0ELNS1_3repE0EEENS1_30default_config_static_selectorELNS0_4arch9wavefront6targetE1EEEvT1_.kd
    .uniform_work_group_size: 1
    .uses_dynamic_stack: false
    .vgpr_count:     0
    .vgpr_spill_count: 0
    .wavefront_size: 64
  - .agpr_count:     0
    .args:
      - .offset:         0
        .size:           56
        .value_kind:     by_value
    .group_segment_fixed_size: 0
    .kernarg_segment_align: 8
    .kernarg_segment_size: 56
    .language:       OpenCL C
    .language_version:
      - 2
      - 0
    .max_flat_workgroup_size: 32
    .name:           _ZN7rocprim17ROCPRIM_400000_NS6detail17trampoline_kernelINS0_14default_configENS1_35adjacent_difference_config_selectorILb1EiEEZNS1_24adjacent_difference_implIS3_Lb1ELb0EPiS7_N6thrust23THRUST_200600_302600_NS4plusIiEEEE10hipError_tPvRmT2_T3_mT4_P12ihipStream_tbEUlT_E_NS1_11comp_targetILNS1_3genE10ELNS1_11target_archE1201ELNS1_3gpuE5ELNS1_3repE0EEENS1_30default_config_static_selectorELNS0_4arch9wavefront6targetE1EEEvT1_
    .private_segment_fixed_size: 0
    .sgpr_count:     6
    .sgpr_spill_count: 0
    .symbol:         _ZN7rocprim17ROCPRIM_400000_NS6detail17trampoline_kernelINS0_14default_configENS1_35adjacent_difference_config_selectorILb1EiEEZNS1_24adjacent_difference_implIS3_Lb1ELb0EPiS7_N6thrust23THRUST_200600_302600_NS4plusIiEEEE10hipError_tPvRmT2_T3_mT4_P12ihipStream_tbEUlT_E_NS1_11comp_targetILNS1_3genE10ELNS1_11target_archE1201ELNS1_3gpuE5ELNS1_3repE0EEENS1_30default_config_static_selectorELNS0_4arch9wavefront6targetE1EEEvT1_.kd
    .uniform_work_group_size: 1
    .uses_dynamic_stack: false
    .vgpr_count:     0
    .vgpr_spill_count: 0
    .wavefront_size: 64
  - .agpr_count:     0
    .args:
      - .offset:         0
        .size:           56
        .value_kind:     by_value
    .group_segment_fixed_size: 10240
    .kernarg_segment_align: 8
    .kernarg_segment_size: 56
    .language:       OpenCL C
    .language_version:
      - 2
      - 0
    .max_flat_workgroup_size: 512
    .name:           _ZN7rocprim17ROCPRIM_400000_NS6detail17trampoline_kernelINS0_14default_configENS1_35adjacent_difference_config_selectorILb1EiEEZNS1_24adjacent_difference_implIS3_Lb1ELb0EPiS7_N6thrust23THRUST_200600_302600_NS4plusIiEEEE10hipError_tPvRmT2_T3_mT4_P12ihipStream_tbEUlT_E_NS1_11comp_targetILNS1_3genE5ELNS1_11target_archE942ELNS1_3gpuE9ELNS1_3repE0EEENS1_30default_config_static_selectorELNS0_4arch9wavefront6targetE1EEEvT1_
    .private_segment_fixed_size: 0
    .sgpr_count:     35
    .sgpr_spill_count: 0
    .symbol:         _ZN7rocprim17ROCPRIM_400000_NS6detail17trampoline_kernelINS0_14default_configENS1_35adjacent_difference_config_selectorILb1EiEEZNS1_24adjacent_difference_implIS3_Lb1ELb0EPiS7_N6thrust23THRUST_200600_302600_NS4plusIiEEEE10hipError_tPvRmT2_T3_mT4_P12ihipStream_tbEUlT_E_NS1_11comp_targetILNS1_3genE5ELNS1_11target_archE942ELNS1_3gpuE9ELNS1_3repE0EEENS1_30default_config_static_selectorELNS0_4arch9wavefront6targetE1EEEvT1_.kd
    .uniform_work_group_size: 1
    .uses_dynamic_stack: false
    .vgpr_count:     26
    .vgpr_spill_count: 0
    .wavefront_size: 64
  - .agpr_count:     0
    .args:
      - .offset:         0
        .size:           56
        .value_kind:     by_value
    .group_segment_fixed_size: 0
    .kernarg_segment_align: 8
    .kernarg_segment_size: 56
    .language:       OpenCL C
    .language_version:
      - 2
      - 0
    .max_flat_workgroup_size: 512
    .name:           _ZN7rocprim17ROCPRIM_400000_NS6detail17trampoline_kernelINS0_14default_configENS1_35adjacent_difference_config_selectorILb1EiEEZNS1_24adjacent_difference_implIS3_Lb1ELb0EPiS7_N6thrust23THRUST_200600_302600_NS4plusIiEEEE10hipError_tPvRmT2_T3_mT4_P12ihipStream_tbEUlT_E_NS1_11comp_targetILNS1_3genE4ELNS1_11target_archE910ELNS1_3gpuE8ELNS1_3repE0EEENS1_30default_config_static_selectorELNS0_4arch9wavefront6targetE1EEEvT1_
    .private_segment_fixed_size: 0
    .sgpr_count:     6
    .sgpr_spill_count: 0
    .symbol:         _ZN7rocprim17ROCPRIM_400000_NS6detail17trampoline_kernelINS0_14default_configENS1_35adjacent_difference_config_selectorILb1EiEEZNS1_24adjacent_difference_implIS3_Lb1ELb0EPiS7_N6thrust23THRUST_200600_302600_NS4plusIiEEEE10hipError_tPvRmT2_T3_mT4_P12ihipStream_tbEUlT_E_NS1_11comp_targetILNS1_3genE4ELNS1_11target_archE910ELNS1_3gpuE8ELNS1_3repE0EEENS1_30default_config_static_selectorELNS0_4arch9wavefront6targetE1EEEvT1_.kd
    .uniform_work_group_size: 1
    .uses_dynamic_stack: false
    .vgpr_count:     0
    .vgpr_spill_count: 0
    .wavefront_size: 64
  - .agpr_count:     0
    .args:
      - .offset:         0
        .size:           56
        .value_kind:     by_value
    .group_segment_fixed_size: 0
    .kernarg_segment_align: 8
    .kernarg_segment_size: 56
    .language:       OpenCL C
    .language_version:
      - 2
      - 0
    .max_flat_workgroup_size: 1024
    .name:           _ZN7rocprim17ROCPRIM_400000_NS6detail17trampoline_kernelINS0_14default_configENS1_35adjacent_difference_config_selectorILb1EiEEZNS1_24adjacent_difference_implIS3_Lb1ELb0EPiS7_N6thrust23THRUST_200600_302600_NS4plusIiEEEE10hipError_tPvRmT2_T3_mT4_P12ihipStream_tbEUlT_E_NS1_11comp_targetILNS1_3genE3ELNS1_11target_archE908ELNS1_3gpuE7ELNS1_3repE0EEENS1_30default_config_static_selectorELNS0_4arch9wavefront6targetE1EEEvT1_
    .private_segment_fixed_size: 0
    .sgpr_count:     6
    .sgpr_spill_count: 0
    .symbol:         _ZN7rocprim17ROCPRIM_400000_NS6detail17trampoline_kernelINS0_14default_configENS1_35adjacent_difference_config_selectorILb1EiEEZNS1_24adjacent_difference_implIS3_Lb1ELb0EPiS7_N6thrust23THRUST_200600_302600_NS4plusIiEEEE10hipError_tPvRmT2_T3_mT4_P12ihipStream_tbEUlT_E_NS1_11comp_targetILNS1_3genE3ELNS1_11target_archE908ELNS1_3gpuE7ELNS1_3repE0EEENS1_30default_config_static_selectorELNS0_4arch9wavefront6targetE1EEEvT1_.kd
    .uniform_work_group_size: 1
    .uses_dynamic_stack: false
    .vgpr_count:     0
    .vgpr_spill_count: 0
    .wavefront_size: 64
  - .agpr_count:     0
    .args:
      - .offset:         0
        .size:           56
        .value_kind:     by_value
    .group_segment_fixed_size: 0
    .kernarg_segment_align: 8
    .kernarg_segment_size: 56
    .language:       OpenCL C
    .language_version:
      - 2
      - 0
    .max_flat_workgroup_size: 256
    .name:           _ZN7rocprim17ROCPRIM_400000_NS6detail17trampoline_kernelINS0_14default_configENS1_35adjacent_difference_config_selectorILb1EiEEZNS1_24adjacent_difference_implIS3_Lb1ELb0EPiS7_N6thrust23THRUST_200600_302600_NS4plusIiEEEE10hipError_tPvRmT2_T3_mT4_P12ihipStream_tbEUlT_E_NS1_11comp_targetILNS1_3genE2ELNS1_11target_archE906ELNS1_3gpuE6ELNS1_3repE0EEENS1_30default_config_static_selectorELNS0_4arch9wavefront6targetE1EEEvT1_
    .private_segment_fixed_size: 0
    .sgpr_count:     6
    .sgpr_spill_count: 0
    .symbol:         _ZN7rocprim17ROCPRIM_400000_NS6detail17trampoline_kernelINS0_14default_configENS1_35adjacent_difference_config_selectorILb1EiEEZNS1_24adjacent_difference_implIS3_Lb1ELb0EPiS7_N6thrust23THRUST_200600_302600_NS4plusIiEEEE10hipError_tPvRmT2_T3_mT4_P12ihipStream_tbEUlT_E_NS1_11comp_targetILNS1_3genE2ELNS1_11target_archE906ELNS1_3gpuE6ELNS1_3repE0EEENS1_30default_config_static_selectorELNS0_4arch9wavefront6targetE1EEEvT1_.kd
    .uniform_work_group_size: 1
    .uses_dynamic_stack: false
    .vgpr_count:     0
    .vgpr_spill_count: 0
    .wavefront_size: 64
  - .agpr_count:     0
    .args:
      - .offset:         0
        .size:           56
        .value_kind:     by_value
    .group_segment_fixed_size: 0
    .kernarg_segment_align: 8
    .kernarg_segment_size: 56
    .language:       OpenCL C
    .language_version:
      - 2
      - 0
    .max_flat_workgroup_size: 128
    .name:           _ZN7rocprim17ROCPRIM_400000_NS6detail17trampoline_kernelINS0_14default_configENS1_35adjacent_difference_config_selectorILb1EiEEZNS1_24adjacent_difference_implIS3_Lb1ELb0EPiS7_N6thrust23THRUST_200600_302600_NS4plusIiEEEE10hipError_tPvRmT2_T3_mT4_P12ihipStream_tbEUlT_E_NS1_11comp_targetILNS1_3genE9ELNS1_11target_archE1100ELNS1_3gpuE3ELNS1_3repE0EEENS1_30default_config_static_selectorELNS0_4arch9wavefront6targetE1EEEvT1_
    .private_segment_fixed_size: 0
    .sgpr_count:     6
    .sgpr_spill_count: 0
    .symbol:         _ZN7rocprim17ROCPRIM_400000_NS6detail17trampoline_kernelINS0_14default_configENS1_35adjacent_difference_config_selectorILb1EiEEZNS1_24adjacent_difference_implIS3_Lb1ELb0EPiS7_N6thrust23THRUST_200600_302600_NS4plusIiEEEE10hipError_tPvRmT2_T3_mT4_P12ihipStream_tbEUlT_E_NS1_11comp_targetILNS1_3genE9ELNS1_11target_archE1100ELNS1_3gpuE3ELNS1_3repE0EEENS1_30default_config_static_selectorELNS0_4arch9wavefront6targetE1EEEvT1_.kd
    .uniform_work_group_size: 1
    .uses_dynamic_stack: false
    .vgpr_count:     0
    .vgpr_spill_count: 0
    .wavefront_size: 64
  - .agpr_count:     0
    .args:
      - .offset:         0
        .size:           56
        .value_kind:     by_value
    .group_segment_fixed_size: 0
    .kernarg_segment_align: 8
    .kernarg_segment_size: 56
    .language:       OpenCL C
    .language_version:
      - 2
      - 0
    .max_flat_workgroup_size: 32
    .name:           _ZN7rocprim17ROCPRIM_400000_NS6detail17trampoline_kernelINS0_14default_configENS1_35adjacent_difference_config_selectorILb1EiEEZNS1_24adjacent_difference_implIS3_Lb1ELb0EPiS7_N6thrust23THRUST_200600_302600_NS4plusIiEEEE10hipError_tPvRmT2_T3_mT4_P12ihipStream_tbEUlT_E_NS1_11comp_targetILNS1_3genE8ELNS1_11target_archE1030ELNS1_3gpuE2ELNS1_3repE0EEENS1_30default_config_static_selectorELNS0_4arch9wavefront6targetE1EEEvT1_
    .private_segment_fixed_size: 0
    .sgpr_count:     6
    .sgpr_spill_count: 0
    .symbol:         _ZN7rocprim17ROCPRIM_400000_NS6detail17trampoline_kernelINS0_14default_configENS1_35adjacent_difference_config_selectorILb1EiEEZNS1_24adjacent_difference_implIS3_Lb1ELb0EPiS7_N6thrust23THRUST_200600_302600_NS4plusIiEEEE10hipError_tPvRmT2_T3_mT4_P12ihipStream_tbEUlT_E_NS1_11comp_targetILNS1_3genE8ELNS1_11target_archE1030ELNS1_3gpuE2ELNS1_3repE0EEENS1_30default_config_static_selectorELNS0_4arch9wavefront6targetE1EEEvT1_.kd
    .uniform_work_group_size: 1
    .uses_dynamic_stack: false
    .vgpr_count:     0
    .vgpr_spill_count: 0
    .wavefront_size: 64
  - .agpr_count:     0
    .args:
      - .offset:         0
        .size:           16
        .value_kind:     by_value
      - .offset:         16
        .size:           8
        .value_kind:     by_value
      - .offset:         24
        .size:           8
        .value_kind:     by_value
    .group_segment_fixed_size: 0
    .kernarg_segment_align: 8
    .kernarg_segment_size: 32
    .language:       OpenCL C
    .language_version:
      - 2
      - 0
    .max_flat_workgroup_size: 256
    .name:           _ZN6thrust23THRUST_200600_302600_NS11hip_rocprim14__parallel_for6kernelILj256ENS1_20__uninitialized_fill7functorINS0_10device_ptrIfEEfEEmLj1EEEvT0_T1_SA_
    .private_segment_fixed_size: 0
    .sgpr_count:     14
    .sgpr_spill_count: 0
    .symbol:         _ZN6thrust23THRUST_200600_302600_NS11hip_rocprim14__parallel_for6kernelILj256ENS1_20__uninitialized_fill7functorINS0_10device_ptrIfEEfEEmLj1EEEvT0_T1_SA_.kd
    .uniform_work_group_size: 1
    .uses_dynamic_stack: false
    .vgpr_count:     4
    .vgpr_spill_count: 0
    .wavefront_size: 64
  - .agpr_count:     0
    .args:
      - .offset:         0
        .size:           56
        .value_kind:     by_value
    .group_segment_fixed_size: 0
    .kernarg_segment_align: 8
    .kernarg_segment_size: 56
    .language:       OpenCL C
    .language_version:
      - 2
      - 0
    .max_flat_workgroup_size: 128
    .name:           _ZN7rocprim17ROCPRIM_400000_NS6detail17trampoline_kernelINS0_14default_configENS1_35adjacent_difference_config_selectorILb0EfEEZNS1_24adjacent_difference_implIS3_Lb0ELb0EPfS7_N6thrust23THRUST_200600_302600_NS5minusIfEEEE10hipError_tPvRmT2_T3_mT4_P12ihipStream_tbEUlT_E_NS1_11comp_targetILNS1_3genE0ELNS1_11target_archE4294967295ELNS1_3gpuE0ELNS1_3repE0EEENS1_30default_config_static_selectorELNS0_4arch9wavefront6targetE1EEEvT1_
    .private_segment_fixed_size: 0
    .sgpr_count:     6
    .sgpr_spill_count: 0
    .symbol:         _ZN7rocprim17ROCPRIM_400000_NS6detail17trampoline_kernelINS0_14default_configENS1_35adjacent_difference_config_selectorILb0EfEEZNS1_24adjacent_difference_implIS3_Lb0ELb0EPfS7_N6thrust23THRUST_200600_302600_NS5minusIfEEEE10hipError_tPvRmT2_T3_mT4_P12ihipStream_tbEUlT_E_NS1_11comp_targetILNS1_3genE0ELNS1_11target_archE4294967295ELNS1_3gpuE0ELNS1_3repE0EEENS1_30default_config_static_selectorELNS0_4arch9wavefront6targetE1EEEvT1_.kd
    .uniform_work_group_size: 1
    .uses_dynamic_stack: false
    .vgpr_count:     0
    .vgpr_spill_count: 0
    .wavefront_size: 64
  - .agpr_count:     0
    .args:
      - .offset:         0
        .size:           56
        .value_kind:     by_value
    .group_segment_fixed_size: 0
    .kernarg_segment_align: 8
    .kernarg_segment_size: 56
    .language:       OpenCL C
    .language_version:
      - 2
      - 0
    .max_flat_workgroup_size: 1024
    .name:           _ZN7rocprim17ROCPRIM_400000_NS6detail17trampoline_kernelINS0_14default_configENS1_35adjacent_difference_config_selectorILb0EfEEZNS1_24adjacent_difference_implIS3_Lb0ELb0EPfS7_N6thrust23THRUST_200600_302600_NS5minusIfEEEE10hipError_tPvRmT2_T3_mT4_P12ihipStream_tbEUlT_E_NS1_11comp_targetILNS1_3genE10ELNS1_11target_archE1201ELNS1_3gpuE5ELNS1_3repE0EEENS1_30default_config_static_selectorELNS0_4arch9wavefront6targetE1EEEvT1_
    .private_segment_fixed_size: 0
    .sgpr_count:     6
    .sgpr_spill_count: 0
    .symbol:         _ZN7rocprim17ROCPRIM_400000_NS6detail17trampoline_kernelINS0_14default_configENS1_35adjacent_difference_config_selectorILb0EfEEZNS1_24adjacent_difference_implIS3_Lb0ELb0EPfS7_N6thrust23THRUST_200600_302600_NS5minusIfEEEE10hipError_tPvRmT2_T3_mT4_P12ihipStream_tbEUlT_E_NS1_11comp_targetILNS1_3genE10ELNS1_11target_archE1201ELNS1_3gpuE5ELNS1_3repE0EEENS1_30default_config_static_selectorELNS0_4arch9wavefront6targetE1EEEvT1_.kd
    .uniform_work_group_size: 1
    .uses_dynamic_stack: false
    .vgpr_count:     0
    .vgpr_spill_count: 0
    .wavefront_size: 64
  - .agpr_count:     0
    .args:
      - .offset:         0
        .size:           56
        .value_kind:     by_value
    .group_segment_fixed_size: 7936
    .kernarg_segment_align: 8
    .kernarg_segment_size: 56
    .language:       OpenCL C
    .language_version:
      - 2
      - 0
    .max_flat_workgroup_size: 64
    .name:           _ZN7rocprim17ROCPRIM_400000_NS6detail17trampoline_kernelINS0_14default_configENS1_35adjacent_difference_config_selectorILb0EfEEZNS1_24adjacent_difference_implIS3_Lb0ELb0EPfS7_N6thrust23THRUST_200600_302600_NS5minusIfEEEE10hipError_tPvRmT2_T3_mT4_P12ihipStream_tbEUlT_E_NS1_11comp_targetILNS1_3genE5ELNS1_11target_archE942ELNS1_3gpuE9ELNS1_3repE0EEENS1_30default_config_static_selectorELNS0_4arch9wavefront6targetE1EEEvT1_
    .private_segment_fixed_size: 0
    .sgpr_count:     29
    .sgpr_spill_count: 0
    .symbol:         _ZN7rocprim17ROCPRIM_400000_NS6detail17trampoline_kernelINS0_14default_configENS1_35adjacent_difference_config_selectorILb0EfEEZNS1_24adjacent_difference_implIS3_Lb0ELb0EPfS7_N6thrust23THRUST_200600_302600_NS5minusIfEEEE10hipError_tPvRmT2_T3_mT4_P12ihipStream_tbEUlT_E_NS1_11comp_targetILNS1_3genE5ELNS1_11target_archE942ELNS1_3gpuE9ELNS1_3repE0EEENS1_30default_config_static_selectorELNS0_4arch9wavefront6targetE1EEEvT1_.kd
    .uniform_work_group_size: 1
    .uses_dynamic_stack: false
    .vgpr_count:     68
    .vgpr_spill_count: 0
    .wavefront_size: 64
  - .agpr_count:     0
    .args:
      - .offset:         0
        .size:           56
        .value_kind:     by_value
    .group_segment_fixed_size: 0
    .kernarg_segment_align: 8
    .kernarg_segment_size: 56
    .language:       OpenCL C
    .language_version:
      - 2
      - 0
    .max_flat_workgroup_size: 512
    .name:           _ZN7rocprim17ROCPRIM_400000_NS6detail17trampoline_kernelINS0_14default_configENS1_35adjacent_difference_config_selectorILb0EfEEZNS1_24adjacent_difference_implIS3_Lb0ELb0EPfS7_N6thrust23THRUST_200600_302600_NS5minusIfEEEE10hipError_tPvRmT2_T3_mT4_P12ihipStream_tbEUlT_E_NS1_11comp_targetILNS1_3genE4ELNS1_11target_archE910ELNS1_3gpuE8ELNS1_3repE0EEENS1_30default_config_static_selectorELNS0_4arch9wavefront6targetE1EEEvT1_
    .private_segment_fixed_size: 0
    .sgpr_count:     6
    .sgpr_spill_count: 0
    .symbol:         _ZN7rocprim17ROCPRIM_400000_NS6detail17trampoline_kernelINS0_14default_configENS1_35adjacent_difference_config_selectorILb0EfEEZNS1_24adjacent_difference_implIS3_Lb0ELb0EPfS7_N6thrust23THRUST_200600_302600_NS5minusIfEEEE10hipError_tPvRmT2_T3_mT4_P12ihipStream_tbEUlT_E_NS1_11comp_targetILNS1_3genE4ELNS1_11target_archE910ELNS1_3gpuE8ELNS1_3repE0EEENS1_30default_config_static_selectorELNS0_4arch9wavefront6targetE1EEEvT1_.kd
    .uniform_work_group_size: 1
    .uses_dynamic_stack: false
    .vgpr_count:     0
    .vgpr_spill_count: 0
    .wavefront_size: 64
  - .agpr_count:     0
    .args:
      - .offset:         0
        .size:           56
        .value_kind:     by_value
    .group_segment_fixed_size: 0
    .kernarg_segment_align: 8
    .kernarg_segment_size: 56
    .language:       OpenCL C
    .language_version:
      - 2
      - 0
    .max_flat_workgroup_size: 128
    .name:           _ZN7rocprim17ROCPRIM_400000_NS6detail17trampoline_kernelINS0_14default_configENS1_35adjacent_difference_config_selectorILb0EfEEZNS1_24adjacent_difference_implIS3_Lb0ELb0EPfS7_N6thrust23THRUST_200600_302600_NS5minusIfEEEE10hipError_tPvRmT2_T3_mT4_P12ihipStream_tbEUlT_E_NS1_11comp_targetILNS1_3genE3ELNS1_11target_archE908ELNS1_3gpuE7ELNS1_3repE0EEENS1_30default_config_static_selectorELNS0_4arch9wavefront6targetE1EEEvT1_
    .private_segment_fixed_size: 0
    .sgpr_count:     6
    .sgpr_spill_count: 0
    .symbol:         _ZN7rocprim17ROCPRIM_400000_NS6detail17trampoline_kernelINS0_14default_configENS1_35adjacent_difference_config_selectorILb0EfEEZNS1_24adjacent_difference_implIS3_Lb0ELb0EPfS7_N6thrust23THRUST_200600_302600_NS5minusIfEEEE10hipError_tPvRmT2_T3_mT4_P12ihipStream_tbEUlT_E_NS1_11comp_targetILNS1_3genE3ELNS1_11target_archE908ELNS1_3gpuE7ELNS1_3repE0EEENS1_30default_config_static_selectorELNS0_4arch9wavefront6targetE1EEEvT1_.kd
    .uniform_work_group_size: 1
    .uses_dynamic_stack: false
    .vgpr_count:     0
    .vgpr_spill_count: 0
    .wavefront_size: 64
  - .agpr_count:     0
    .args:
      - .offset:         0
        .size:           56
        .value_kind:     by_value
    .group_segment_fixed_size: 0
    .kernarg_segment_align: 8
    .kernarg_segment_size: 56
    .language:       OpenCL C
    .language_version:
      - 2
      - 0
    .max_flat_workgroup_size: 1024
    .name:           _ZN7rocprim17ROCPRIM_400000_NS6detail17trampoline_kernelINS0_14default_configENS1_35adjacent_difference_config_selectorILb0EfEEZNS1_24adjacent_difference_implIS3_Lb0ELb0EPfS7_N6thrust23THRUST_200600_302600_NS5minusIfEEEE10hipError_tPvRmT2_T3_mT4_P12ihipStream_tbEUlT_E_NS1_11comp_targetILNS1_3genE2ELNS1_11target_archE906ELNS1_3gpuE6ELNS1_3repE0EEENS1_30default_config_static_selectorELNS0_4arch9wavefront6targetE1EEEvT1_
    .private_segment_fixed_size: 0
    .sgpr_count:     6
    .sgpr_spill_count: 0
    .symbol:         _ZN7rocprim17ROCPRIM_400000_NS6detail17trampoline_kernelINS0_14default_configENS1_35adjacent_difference_config_selectorILb0EfEEZNS1_24adjacent_difference_implIS3_Lb0ELb0EPfS7_N6thrust23THRUST_200600_302600_NS5minusIfEEEE10hipError_tPvRmT2_T3_mT4_P12ihipStream_tbEUlT_E_NS1_11comp_targetILNS1_3genE2ELNS1_11target_archE906ELNS1_3gpuE6ELNS1_3repE0EEENS1_30default_config_static_selectorELNS0_4arch9wavefront6targetE1EEEvT1_.kd
    .uniform_work_group_size: 1
    .uses_dynamic_stack: false
    .vgpr_count:     0
    .vgpr_spill_count: 0
    .wavefront_size: 64
  - .agpr_count:     0
    .args:
      - .offset:         0
        .size:           56
        .value_kind:     by_value
    .group_segment_fixed_size: 0
    .kernarg_segment_align: 8
    .kernarg_segment_size: 56
    .language:       OpenCL C
    .language_version:
      - 2
      - 0
    .max_flat_workgroup_size: 1024
    .name:           _ZN7rocprim17ROCPRIM_400000_NS6detail17trampoline_kernelINS0_14default_configENS1_35adjacent_difference_config_selectorILb0EfEEZNS1_24adjacent_difference_implIS3_Lb0ELb0EPfS7_N6thrust23THRUST_200600_302600_NS5minusIfEEEE10hipError_tPvRmT2_T3_mT4_P12ihipStream_tbEUlT_E_NS1_11comp_targetILNS1_3genE9ELNS1_11target_archE1100ELNS1_3gpuE3ELNS1_3repE0EEENS1_30default_config_static_selectorELNS0_4arch9wavefront6targetE1EEEvT1_
    .private_segment_fixed_size: 0
    .sgpr_count:     6
    .sgpr_spill_count: 0
    .symbol:         _ZN7rocprim17ROCPRIM_400000_NS6detail17trampoline_kernelINS0_14default_configENS1_35adjacent_difference_config_selectorILb0EfEEZNS1_24adjacent_difference_implIS3_Lb0ELb0EPfS7_N6thrust23THRUST_200600_302600_NS5minusIfEEEE10hipError_tPvRmT2_T3_mT4_P12ihipStream_tbEUlT_E_NS1_11comp_targetILNS1_3genE9ELNS1_11target_archE1100ELNS1_3gpuE3ELNS1_3repE0EEENS1_30default_config_static_selectorELNS0_4arch9wavefront6targetE1EEEvT1_.kd
    .uniform_work_group_size: 1
    .uses_dynamic_stack: false
    .vgpr_count:     0
    .vgpr_spill_count: 0
    .wavefront_size: 64
  - .agpr_count:     0
    .args:
      - .offset:         0
        .size:           56
        .value_kind:     by_value
    .group_segment_fixed_size: 0
    .kernarg_segment_align: 8
    .kernarg_segment_size: 56
    .language:       OpenCL C
    .language_version:
      - 2
      - 0
    .max_flat_workgroup_size: 1024
    .name:           _ZN7rocprim17ROCPRIM_400000_NS6detail17trampoline_kernelINS0_14default_configENS1_35adjacent_difference_config_selectorILb0EfEEZNS1_24adjacent_difference_implIS3_Lb0ELb0EPfS7_N6thrust23THRUST_200600_302600_NS5minusIfEEEE10hipError_tPvRmT2_T3_mT4_P12ihipStream_tbEUlT_E_NS1_11comp_targetILNS1_3genE8ELNS1_11target_archE1030ELNS1_3gpuE2ELNS1_3repE0EEENS1_30default_config_static_selectorELNS0_4arch9wavefront6targetE1EEEvT1_
    .private_segment_fixed_size: 0
    .sgpr_count:     6
    .sgpr_spill_count: 0
    .symbol:         _ZN7rocprim17ROCPRIM_400000_NS6detail17trampoline_kernelINS0_14default_configENS1_35adjacent_difference_config_selectorILb0EfEEZNS1_24adjacent_difference_implIS3_Lb0ELb0EPfS7_N6thrust23THRUST_200600_302600_NS5minusIfEEEE10hipError_tPvRmT2_T3_mT4_P12ihipStream_tbEUlT_E_NS1_11comp_targetILNS1_3genE8ELNS1_11target_archE1030ELNS1_3gpuE2ELNS1_3repE0EEENS1_30default_config_static_selectorELNS0_4arch9wavefront6targetE1EEEvT1_.kd
    .uniform_work_group_size: 1
    .uses_dynamic_stack: false
    .vgpr_count:     0
    .vgpr_spill_count: 0
    .wavefront_size: 64
  - .agpr_count:     0
    .args:
      - .offset:         0
        .size:           56
        .value_kind:     by_value
    .group_segment_fixed_size: 0
    .kernarg_segment_align: 8
    .kernarg_segment_size: 56
    .language:       OpenCL C
    .language_version:
      - 2
      - 0
    .max_flat_workgroup_size: 128
    .name:           _ZN7rocprim17ROCPRIM_400000_NS6detail17trampoline_kernelINS0_14default_configENS1_25transform_config_selectorIfLb0EEEZNS1_14transform_implILb0ES3_S5_NS0_18transform_iteratorINS0_17counting_iteratorImlEEZNS1_24adjacent_difference_implIS3_Lb1ELb0EPfSB_N6thrust23THRUST_200600_302600_NS5minusIfEEEE10hipError_tPvRmT2_T3_mT4_P12ihipStream_tbEUlmE_fEESB_NS0_8identityIvEEEESG_SJ_SK_mSL_SN_bEUlT_E_NS1_11comp_targetILNS1_3genE0ELNS1_11target_archE4294967295ELNS1_3gpuE0ELNS1_3repE0EEENS1_30default_config_static_selectorELNS0_4arch9wavefront6targetE1EEEvT1_
    .private_segment_fixed_size: 0
    .sgpr_count:     6
    .sgpr_spill_count: 0
    .symbol:         _ZN7rocprim17ROCPRIM_400000_NS6detail17trampoline_kernelINS0_14default_configENS1_25transform_config_selectorIfLb0EEEZNS1_14transform_implILb0ES3_S5_NS0_18transform_iteratorINS0_17counting_iteratorImlEEZNS1_24adjacent_difference_implIS3_Lb1ELb0EPfSB_N6thrust23THRUST_200600_302600_NS5minusIfEEEE10hipError_tPvRmT2_T3_mT4_P12ihipStream_tbEUlmE_fEESB_NS0_8identityIvEEEESG_SJ_SK_mSL_SN_bEUlT_E_NS1_11comp_targetILNS1_3genE0ELNS1_11target_archE4294967295ELNS1_3gpuE0ELNS1_3repE0EEENS1_30default_config_static_selectorELNS0_4arch9wavefront6targetE1EEEvT1_.kd
    .uniform_work_group_size: 1
    .uses_dynamic_stack: false
    .vgpr_count:     0
    .vgpr_spill_count: 0
    .wavefront_size: 64
  - .agpr_count:     0
    .args:
      - .offset:         0
        .size:           56
        .value_kind:     by_value
      - .offset:         56
        .size:           4
        .value_kind:     hidden_block_count_x
      - .offset:         60
        .size:           4
        .value_kind:     hidden_block_count_y
      - .offset:         64
        .size:           4
        .value_kind:     hidden_block_count_z
      - .offset:         68
        .size:           2
        .value_kind:     hidden_group_size_x
      - .offset:         70
        .size:           2
        .value_kind:     hidden_group_size_y
      - .offset:         72
        .size:           2
        .value_kind:     hidden_group_size_z
      - .offset:         74
        .size:           2
        .value_kind:     hidden_remainder_x
      - .offset:         76
        .size:           2
        .value_kind:     hidden_remainder_y
      - .offset:         78
        .size:           2
        .value_kind:     hidden_remainder_z
      - .offset:         96
        .size:           8
        .value_kind:     hidden_global_offset_x
      - .offset:         104
        .size:           8
        .value_kind:     hidden_global_offset_y
      - .offset:         112
        .size:           8
        .value_kind:     hidden_global_offset_z
      - .offset:         120
        .size:           2
        .value_kind:     hidden_grid_dims
    .group_segment_fixed_size: 0
    .kernarg_segment_align: 8
    .kernarg_segment_size: 312
    .language:       OpenCL C
    .language_version:
      - 2
      - 0
    .max_flat_workgroup_size: 256
    .name:           _ZN7rocprim17ROCPRIM_400000_NS6detail17trampoline_kernelINS0_14default_configENS1_25transform_config_selectorIfLb0EEEZNS1_14transform_implILb0ES3_S5_NS0_18transform_iteratorINS0_17counting_iteratorImlEEZNS1_24adjacent_difference_implIS3_Lb1ELb0EPfSB_N6thrust23THRUST_200600_302600_NS5minusIfEEEE10hipError_tPvRmT2_T3_mT4_P12ihipStream_tbEUlmE_fEESB_NS0_8identityIvEEEESG_SJ_SK_mSL_SN_bEUlT_E_NS1_11comp_targetILNS1_3genE5ELNS1_11target_archE942ELNS1_3gpuE9ELNS1_3repE0EEENS1_30default_config_static_selectorELNS0_4arch9wavefront6targetE1EEEvT1_
    .private_segment_fixed_size: 0
    .sgpr_count:     28
    .sgpr_spill_count: 0
    .symbol:         _ZN7rocprim17ROCPRIM_400000_NS6detail17trampoline_kernelINS0_14default_configENS1_25transform_config_selectorIfLb0EEEZNS1_14transform_implILb0ES3_S5_NS0_18transform_iteratorINS0_17counting_iteratorImlEEZNS1_24adjacent_difference_implIS3_Lb1ELb0EPfSB_N6thrust23THRUST_200600_302600_NS5minusIfEEEE10hipError_tPvRmT2_T3_mT4_P12ihipStream_tbEUlmE_fEESB_NS0_8identityIvEEEESG_SJ_SK_mSL_SN_bEUlT_E_NS1_11comp_targetILNS1_3genE5ELNS1_11target_archE942ELNS1_3gpuE9ELNS1_3repE0EEENS1_30default_config_static_selectorELNS0_4arch9wavefront6targetE1EEEvT1_.kd
    .uniform_work_group_size: 1
    .uses_dynamic_stack: false
    .vgpr_count:     13
    .vgpr_spill_count: 0
    .wavefront_size: 64
  - .agpr_count:     0
    .args:
      - .offset:         0
        .size:           56
        .value_kind:     by_value
    .group_segment_fixed_size: 0
    .kernarg_segment_align: 8
    .kernarg_segment_size: 56
    .language:       OpenCL C
    .language_version:
      - 2
      - 0
    .max_flat_workgroup_size: 1024
    .name:           _ZN7rocprim17ROCPRIM_400000_NS6detail17trampoline_kernelINS0_14default_configENS1_25transform_config_selectorIfLb0EEEZNS1_14transform_implILb0ES3_S5_NS0_18transform_iteratorINS0_17counting_iteratorImlEEZNS1_24adjacent_difference_implIS3_Lb1ELb0EPfSB_N6thrust23THRUST_200600_302600_NS5minusIfEEEE10hipError_tPvRmT2_T3_mT4_P12ihipStream_tbEUlmE_fEESB_NS0_8identityIvEEEESG_SJ_SK_mSL_SN_bEUlT_E_NS1_11comp_targetILNS1_3genE4ELNS1_11target_archE910ELNS1_3gpuE8ELNS1_3repE0EEENS1_30default_config_static_selectorELNS0_4arch9wavefront6targetE1EEEvT1_
    .private_segment_fixed_size: 0
    .sgpr_count:     6
    .sgpr_spill_count: 0
    .symbol:         _ZN7rocprim17ROCPRIM_400000_NS6detail17trampoline_kernelINS0_14default_configENS1_25transform_config_selectorIfLb0EEEZNS1_14transform_implILb0ES3_S5_NS0_18transform_iteratorINS0_17counting_iteratorImlEEZNS1_24adjacent_difference_implIS3_Lb1ELb0EPfSB_N6thrust23THRUST_200600_302600_NS5minusIfEEEE10hipError_tPvRmT2_T3_mT4_P12ihipStream_tbEUlmE_fEESB_NS0_8identityIvEEEESG_SJ_SK_mSL_SN_bEUlT_E_NS1_11comp_targetILNS1_3genE4ELNS1_11target_archE910ELNS1_3gpuE8ELNS1_3repE0EEENS1_30default_config_static_selectorELNS0_4arch9wavefront6targetE1EEEvT1_.kd
    .uniform_work_group_size: 1
    .uses_dynamic_stack: false
    .vgpr_count:     0
    .vgpr_spill_count: 0
    .wavefront_size: 64
  - .agpr_count:     0
    .args:
      - .offset:         0
        .size:           56
        .value_kind:     by_value
    .group_segment_fixed_size: 0
    .kernarg_segment_align: 8
    .kernarg_segment_size: 56
    .language:       OpenCL C
    .language_version:
      - 2
      - 0
    .max_flat_workgroup_size: 128
    .name:           _ZN7rocprim17ROCPRIM_400000_NS6detail17trampoline_kernelINS0_14default_configENS1_25transform_config_selectorIfLb0EEEZNS1_14transform_implILb0ES3_S5_NS0_18transform_iteratorINS0_17counting_iteratorImlEEZNS1_24adjacent_difference_implIS3_Lb1ELb0EPfSB_N6thrust23THRUST_200600_302600_NS5minusIfEEEE10hipError_tPvRmT2_T3_mT4_P12ihipStream_tbEUlmE_fEESB_NS0_8identityIvEEEESG_SJ_SK_mSL_SN_bEUlT_E_NS1_11comp_targetILNS1_3genE3ELNS1_11target_archE908ELNS1_3gpuE7ELNS1_3repE0EEENS1_30default_config_static_selectorELNS0_4arch9wavefront6targetE1EEEvT1_
    .private_segment_fixed_size: 0
    .sgpr_count:     6
    .sgpr_spill_count: 0
    .symbol:         _ZN7rocprim17ROCPRIM_400000_NS6detail17trampoline_kernelINS0_14default_configENS1_25transform_config_selectorIfLb0EEEZNS1_14transform_implILb0ES3_S5_NS0_18transform_iteratorINS0_17counting_iteratorImlEEZNS1_24adjacent_difference_implIS3_Lb1ELb0EPfSB_N6thrust23THRUST_200600_302600_NS5minusIfEEEE10hipError_tPvRmT2_T3_mT4_P12ihipStream_tbEUlmE_fEESB_NS0_8identityIvEEEESG_SJ_SK_mSL_SN_bEUlT_E_NS1_11comp_targetILNS1_3genE3ELNS1_11target_archE908ELNS1_3gpuE7ELNS1_3repE0EEENS1_30default_config_static_selectorELNS0_4arch9wavefront6targetE1EEEvT1_.kd
    .uniform_work_group_size: 1
    .uses_dynamic_stack: false
    .vgpr_count:     0
    .vgpr_spill_count: 0
    .wavefront_size: 64
  - .agpr_count:     0
    .args:
      - .offset:         0
        .size:           56
        .value_kind:     by_value
    .group_segment_fixed_size: 0
    .kernarg_segment_align: 8
    .kernarg_segment_size: 56
    .language:       OpenCL C
    .language_version:
      - 2
      - 0
    .max_flat_workgroup_size: 1024
    .name:           _ZN7rocprim17ROCPRIM_400000_NS6detail17trampoline_kernelINS0_14default_configENS1_25transform_config_selectorIfLb0EEEZNS1_14transform_implILb0ES3_S5_NS0_18transform_iteratorINS0_17counting_iteratorImlEEZNS1_24adjacent_difference_implIS3_Lb1ELb0EPfSB_N6thrust23THRUST_200600_302600_NS5minusIfEEEE10hipError_tPvRmT2_T3_mT4_P12ihipStream_tbEUlmE_fEESB_NS0_8identityIvEEEESG_SJ_SK_mSL_SN_bEUlT_E_NS1_11comp_targetILNS1_3genE2ELNS1_11target_archE906ELNS1_3gpuE6ELNS1_3repE0EEENS1_30default_config_static_selectorELNS0_4arch9wavefront6targetE1EEEvT1_
    .private_segment_fixed_size: 0
    .sgpr_count:     6
    .sgpr_spill_count: 0
    .symbol:         _ZN7rocprim17ROCPRIM_400000_NS6detail17trampoline_kernelINS0_14default_configENS1_25transform_config_selectorIfLb0EEEZNS1_14transform_implILb0ES3_S5_NS0_18transform_iteratorINS0_17counting_iteratorImlEEZNS1_24adjacent_difference_implIS3_Lb1ELb0EPfSB_N6thrust23THRUST_200600_302600_NS5minusIfEEEE10hipError_tPvRmT2_T3_mT4_P12ihipStream_tbEUlmE_fEESB_NS0_8identityIvEEEESG_SJ_SK_mSL_SN_bEUlT_E_NS1_11comp_targetILNS1_3genE2ELNS1_11target_archE906ELNS1_3gpuE6ELNS1_3repE0EEENS1_30default_config_static_selectorELNS0_4arch9wavefront6targetE1EEEvT1_.kd
    .uniform_work_group_size: 1
    .uses_dynamic_stack: false
    .vgpr_count:     0
    .vgpr_spill_count: 0
    .wavefront_size: 64
  - .agpr_count:     0
    .args:
      - .offset:         0
        .size:           56
        .value_kind:     by_value
    .group_segment_fixed_size: 0
    .kernarg_segment_align: 8
    .kernarg_segment_size: 56
    .language:       OpenCL C
    .language_version:
      - 2
      - 0
    .max_flat_workgroup_size: 512
    .name:           _ZN7rocprim17ROCPRIM_400000_NS6detail17trampoline_kernelINS0_14default_configENS1_25transform_config_selectorIfLb0EEEZNS1_14transform_implILb0ES3_S5_NS0_18transform_iteratorINS0_17counting_iteratorImlEEZNS1_24adjacent_difference_implIS3_Lb1ELb0EPfSB_N6thrust23THRUST_200600_302600_NS5minusIfEEEE10hipError_tPvRmT2_T3_mT4_P12ihipStream_tbEUlmE_fEESB_NS0_8identityIvEEEESG_SJ_SK_mSL_SN_bEUlT_E_NS1_11comp_targetILNS1_3genE10ELNS1_11target_archE1201ELNS1_3gpuE5ELNS1_3repE0EEENS1_30default_config_static_selectorELNS0_4arch9wavefront6targetE1EEEvT1_
    .private_segment_fixed_size: 0
    .sgpr_count:     6
    .sgpr_spill_count: 0
    .symbol:         _ZN7rocprim17ROCPRIM_400000_NS6detail17trampoline_kernelINS0_14default_configENS1_25transform_config_selectorIfLb0EEEZNS1_14transform_implILb0ES3_S5_NS0_18transform_iteratorINS0_17counting_iteratorImlEEZNS1_24adjacent_difference_implIS3_Lb1ELb0EPfSB_N6thrust23THRUST_200600_302600_NS5minusIfEEEE10hipError_tPvRmT2_T3_mT4_P12ihipStream_tbEUlmE_fEESB_NS0_8identityIvEEEESG_SJ_SK_mSL_SN_bEUlT_E_NS1_11comp_targetILNS1_3genE10ELNS1_11target_archE1201ELNS1_3gpuE5ELNS1_3repE0EEENS1_30default_config_static_selectorELNS0_4arch9wavefront6targetE1EEEvT1_.kd
    .uniform_work_group_size: 1
    .uses_dynamic_stack: false
    .vgpr_count:     0
    .vgpr_spill_count: 0
    .wavefront_size: 64
  - .agpr_count:     0
    .args:
      - .offset:         0
        .size:           56
        .value_kind:     by_value
    .group_segment_fixed_size: 0
    .kernarg_segment_align: 8
    .kernarg_segment_size: 56
    .language:       OpenCL C
    .language_version:
      - 2
      - 0
    .max_flat_workgroup_size: 512
    .name:           _ZN7rocprim17ROCPRIM_400000_NS6detail17trampoline_kernelINS0_14default_configENS1_25transform_config_selectorIfLb0EEEZNS1_14transform_implILb0ES3_S5_NS0_18transform_iteratorINS0_17counting_iteratorImlEEZNS1_24adjacent_difference_implIS3_Lb1ELb0EPfSB_N6thrust23THRUST_200600_302600_NS5minusIfEEEE10hipError_tPvRmT2_T3_mT4_P12ihipStream_tbEUlmE_fEESB_NS0_8identityIvEEEESG_SJ_SK_mSL_SN_bEUlT_E_NS1_11comp_targetILNS1_3genE10ELNS1_11target_archE1200ELNS1_3gpuE4ELNS1_3repE0EEENS1_30default_config_static_selectorELNS0_4arch9wavefront6targetE1EEEvT1_
    .private_segment_fixed_size: 0
    .sgpr_count:     6
    .sgpr_spill_count: 0
    .symbol:         _ZN7rocprim17ROCPRIM_400000_NS6detail17trampoline_kernelINS0_14default_configENS1_25transform_config_selectorIfLb0EEEZNS1_14transform_implILb0ES3_S5_NS0_18transform_iteratorINS0_17counting_iteratorImlEEZNS1_24adjacent_difference_implIS3_Lb1ELb0EPfSB_N6thrust23THRUST_200600_302600_NS5minusIfEEEE10hipError_tPvRmT2_T3_mT4_P12ihipStream_tbEUlmE_fEESB_NS0_8identityIvEEEESG_SJ_SK_mSL_SN_bEUlT_E_NS1_11comp_targetILNS1_3genE10ELNS1_11target_archE1200ELNS1_3gpuE4ELNS1_3repE0EEENS1_30default_config_static_selectorELNS0_4arch9wavefront6targetE1EEEvT1_.kd
    .uniform_work_group_size: 1
    .uses_dynamic_stack: false
    .vgpr_count:     0
    .vgpr_spill_count: 0
    .wavefront_size: 64
  - .agpr_count:     0
    .args:
      - .offset:         0
        .size:           56
        .value_kind:     by_value
    .group_segment_fixed_size: 0
    .kernarg_segment_align: 8
    .kernarg_segment_size: 56
    .language:       OpenCL C
    .language_version:
      - 2
      - 0
    .max_flat_workgroup_size: 1024
    .name:           _ZN7rocprim17ROCPRIM_400000_NS6detail17trampoline_kernelINS0_14default_configENS1_25transform_config_selectorIfLb0EEEZNS1_14transform_implILb0ES3_S5_NS0_18transform_iteratorINS0_17counting_iteratorImlEEZNS1_24adjacent_difference_implIS3_Lb1ELb0EPfSB_N6thrust23THRUST_200600_302600_NS5minusIfEEEE10hipError_tPvRmT2_T3_mT4_P12ihipStream_tbEUlmE_fEESB_NS0_8identityIvEEEESG_SJ_SK_mSL_SN_bEUlT_E_NS1_11comp_targetILNS1_3genE9ELNS1_11target_archE1100ELNS1_3gpuE3ELNS1_3repE0EEENS1_30default_config_static_selectorELNS0_4arch9wavefront6targetE1EEEvT1_
    .private_segment_fixed_size: 0
    .sgpr_count:     6
    .sgpr_spill_count: 0
    .symbol:         _ZN7rocprim17ROCPRIM_400000_NS6detail17trampoline_kernelINS0_14default_configENS1_25transform_config_selectorIfLb0EEEZNS1_14transform_implILb0ES3_S5_NS0_18transform_iteratorINS0_17counting_iteratorImlEEZNS1_24adjacent_difference_implIS3_Lb1ELb0EPfSB_N6thrust23THRUST_200600_302600_NS5minusIfEEEE10hipError_tPvRmT2_T3_mT4_P12ihipStream_tbEUlmE_fEESB_NS0_8identityIvEEEESG_SJ_SK_mSL_SN_bEUlT_E_NS1_11comp_targetILNS1_3genE9ELNS1_11target_archE1100ELNS1_3gpuE3ELNS1_3repE0EEENS1_30default_config_static_selectorELNS0_4arch9wavefront6targetE1EEEvT1_.kd
    .uniform_work_group_size: 1
    .uses_dynamic_stack: false
    .vgpr_count:     0
    .vgpr_spill_count: 0
    .wavefront_size: 64
  - .agpr_count:     0
    .args:
      - .offset:         0
        .size:           56
        .value_kind:     by_value
    .group_segment_fixed_size: 0
    .kernarg_segment_align: 8
    .kernarg_segment_size: 56
    .language:       OpenCL C
    .language_version:
      - 2
      - 0
    .max_flat_workgroup_size: 256
    .name:           _ZN7rocprim17ROCPRIM_400000_NS6detail17trampoline_kernelINS0_14default_configENS1_25transform_config_selectorIfLb0EEEZNS1_14transform_implILb0ES3_S5_NS0_18transform_iteratorINS0_17counting_iteratorImlEEZNS1_24adjacent_difference_implIS3_Lb1ELb0EPfSB_N6thrust23THRUST_200600_302600_NS5minusIfEEEE10hipError_tPvRmT2_T3_mT4_P12ihipStream_tbEUlmE_fEESB_NS0_8identityIvEEEESG_SJ_SK_mSL_SN_bEUlT_E_NS1_11comp_targetILNS1_3genE8ELNS1_11target_archE1030ELNS1_3gpuE2ELNS1_3repE0EEENS1_30default_config_static_selectorELNS0_4arch9wavefront6targetE1EEEvT1_
    .private_segment_fixed_size: 0
    .sgpr_count:     6
    .sgpr_spill_count: 0
    .symbol:         _ZN7rocprim17ROCPRIM_400000_NS6detail17trampoline_kernelINS0_14default_configENS1_25transform_config_selectorIfLb0EEEZNS1_14transform_implILb0ES3_S5_NS0_18transform_iteratorINS0_17counting_iteratorImlEEZNS1_24adjacent_difference_implIS3_Lb1ELb0EPfSB_N6thrust23THRUST_200600_302600_NS5minusIfEEEE10hipError_tPvRmT2_T3_mT4_P12ihipStream_tbEUlmE_fEESB_NS0_8identityIvEEEESG_SJ_SK_mSL_SN_bEUlT_E_NS1_11comp_targetILNS1_3genE8ELNS1_11target_archE1030ELNS1_3gpuE2ELNS1_3repE0EEENS1_30default_config_static_selectorELNS0_4arch9wavefront6targetE1EEEvT1_.kd
    .uniform_work_group_size: 1
    .uses_dynamic_stack: false
    .vgpr_count:     0
    .vgpr_spill_count: 0
    .wavefront_size: 64
  - .agpr_count:     0
    .args:
      - .offset:         0
        .size:           56
        .value_kind:     by_value
    .group_segment_fixed_size: 0
    .kernarg_segment_align: 8
    .kernarg_segment_size: 56
    .language:       OpenCL C
    .language_version:
      - 2
      - 0
    .max_flat_workgroup_size: 1024
    .name:           _ZN7rocprim17ROCPRIM_400000_NS6detail17trampoline_kernelINS0_14default_configENS1_35adjacent_difference_config_selectorILb1EfEEZNS1_24adjacent_difference_implIS3_Lb1ELb0EPfS7_N6thrust23THRUST_200600_302600_NS5minusIfEEEE10hipError_tPvRmT2_T3_mT4_P12ihipStream_tbEUlT_E_NS1_11comp_targetILNS1_3genE0ELNS1_11target_archE4294967295ELNS1_3gpuE0ELNS1_3repE0EEENS1_30default_config_static_selectorELNS0_4arch9wavefront6targetE1EEEvT1_
    .private_segment_fixed_size: 0
    .sgpr_count:     6
    .sgpr_spill_count: 0
    .symbol:         _ZN7rocprim17ROCPRIM_400000_NS6detail17trampoline_kernelINS0_14default_configENS1_35adjacent_difference_config_selectorILb1EfEEZNS1_24adjacent_difference_implIS3_Lb1ELb0EPfS7_N6thrust23THRUST_200600_302600_NS5minusIfEEEE10hipError_tPvRmT2_T3_mT4_P12ihipStream_tbEUlT_E_NS1_11comp_targetILNS1_3genE0ELNS1_11target_archE4294967295ELNS1_3gpuE0ELNS1_3repE0EEENS1_30default_config_static_selectorELNS0_4arch9wavefront6targetE1EEEvT1_.kd
    .uniform_work_group_size: 1
    .uses_dynamic_stack: false
    .vgpr_count:     0
    .vgpr_spill_count: 0
    .wavefront_size: 64
  - .agpr_count:     0
    .args:
      - .offset:         0
        .size:           56
        .value_kind:     by_value
    .group_segment_fixed_size: 0
    .kernarg_segment_align: 8
    .kernarg_segment_size: 56
    .language:       OpenCL C
    .language_version:
      - 2
      - 0
    .max_flat_workgroup_size: 128
    .name:           _ZN7rocprim17ROCPRIM_400000_NS6detail17trampoline_kernelINS0_14default_configENS1_35adjacent_difference_config_selectorILb1EfEEZNS1_24adjacent_difference_implIS3_Lb1ELb0EPfS7_N6thrust23THRUST_200600_302600_NS5minusIfEEEE10hipError_tPvRmT2_T3_mT4_P12ihipStream_tbEUlT_E_NS1_11comp_targetILNS1_3genE10ELNS1_11target_archE1201ELNS1_3gpuE5ELNS1_3repE0EEENS1_30default_config_static_selectorELNS0_4arch9wavefront6targetE1EEEvT1_
    .private_segment_fixed_size: 0
    .sgpr_count:     6
    .sgpr_spill_count: 0
    .symbol:         _ZN7rocprim17ROCPRIM_400000_NS6detail17trampoline_kernelINS0_14default_configENS1_35adjacent_difference_config_selectorILb1EfEEZNS1_24adjacent_difference_implIS3_Lb1ELb0EPfS7_N6thrust23THRUST_200600_302600_NS5minusIfEEEE10hipError_tPvRmT2_T3_mT4_P12ihipStream_tbEUlT_E_NS1_11comp_targetILNS1_3genE10ELNS1_11target_archE1201ELNS1_3gpuE5ELNS1_3repE0EEENS1_30default_config_static_selectorELNS0_4arch9wavefront6targetE1EEEvT1_.kd
    .uniform_work_group_size: 1
    .uses_dynamic_stack: false
    .vgpr_count:     0
    .vgpr_spill_count: 0
    .wavefront_size: 64
  - .agpr_count:     0
    .args:
      - .offset:         0
        .size:           56
        .value_kind:     by_value
    .group_segment_fixed_size: 3072
    .kernarg_segment_align: 8
    .kernarg_segment_size: 56
    .language:       OpenCL C
    .language_version:
      - 2
      - 0
    .max_flat_workgroup_size: 256
    .name:           _ZN7rocprim17ROCPRIM_400000_NS6detail17trampoline_kernelINS0_14default_configENS1_35adjacent_difference_config_selectorILb1EfEEZNS1_24adjacent_difference_implIS3_Lb1ELb0EPfS7_N6thrust23THRUST_200600_302600_NS5minusIfEEEE10hipError_tPvRmT2_T3_mT4_P12ihipStream_tbEUlT_E_NS1_11comp_targetILNS1_3genE5ELNS1_11target_archE942ELNS1_3gpuE9ELNS1_3repE0EEENS1_30default_config_static_selectorELNS0_4arch9wavefront6targetE1EEEvT1_
    .private_segment_fixed_size: 0
    .sgpr_count:     35
    .sgpr_spill_count: 0
    .symbol:         _ZN7rocprim17ROCPRIM_400000_NS6detail17trampoline_kernelINS0_14default_configENS1_35adjacent_difference_config_selectorILb1EfEEZNS1_24adjacent_difference_implIS3_Lb1ELb0EPfS7_N6thrust23THRUST_200600_302600_NS5minusIfEEEE10hipError_tPvRmT2_T3_mT4_P12ihipStream_tbEUlT_E_NS1_11comp_targetILNS1_3genE5ELNS1_11target_archE942ELNS1_3gpuE9ELNS1_3repE0EEENS1_30default_config_static_selectorELNS0_4arch9wavefront6targetE1EEEvT1_.kd
    .uniform_work_group_size: 1
    .uses_dynamic_stack: false
    .vgpr_count:     12
    .vgpr_spill_count: 0
    .wavefront_size: 64
  - .agpr_count:     0
    .args:
      - .offset:         0
        .size:           56
        .value_kind:     by_value
    .group_segment_fixed_size: 0
    .kernarg_segment_align: 8
    .kernarg_segment_size: 56
    .language:       OpenCL C
    .language_version:
      - 2
      - 0
    .max_flat_workgroup_size: 512
    .name:           _ZN7rocprim17ROCPRIM_400000_NS6detail17trampoline_kernelINS0_14default_configENS1_35adjacent_difference_config_selectorILb1EfEEZNS1_24adjacent_difference_implIS3_Lb1ELb0EPfS7_N6thrust23THRUST_200600_302600_NS5minusIfEEEE10hipError_tPvRmT2_T3_mT4_P12ihipStream_tbEUlT_E_NS1_11comp_targetILNS1_3genE4ELNS1_11target_archE910ELNS1_3gpuE8ELNS1_3repE0EEENS1_30default_config_static_selectorELNS0_4arch9wavefront6targetE1EEEvT1_
    .private_segment_fixed_size: 0
    .sgpr_count:     6
    .sgpr_spill_count: 0
    .symbol:         _ZN7rocprim17ROCPRIM_400000_NS6detail17trampoline_kernelINS0_14default_configENS1_35adjacent_difference_config_selectorILb1EfEEZNS1_24adjacent_difference_implIS3_Lb1ELb0EPfS7_N6thrust23THRUST_200600_302600_NS5minusIfEEEE10hipError_tPvRmT2_T3_mT4_P12ihipStream_tbEUlT_E_NS1_11comp_targetILNS1_3genE4ELNS1_11target_archE910ELNS1_3gpuE8ELNS1_3repE0EEENS1_30default_config_static_selectorELNS0_4arch9wavefront6targetE1EEEvT1_.kd
    .uniform_work_group_size: 1
    .uses_dynamic_stack: false
    .vgpr_count:     0
    .vgpr_spill_count: 0
    .wavefront_size: 64
  - .agpr_count:     0
    .args:
      - .offset:         0
        .size:           56
        .value_kind:     by_value
    .group_segment_fixed_size: 0
    .kernarg_segment_align: 8
    .kernarg_segment_size: 56
    .language:       OpenCL C
    .language_version:
      - 2
      - 0
    .max_flat_workgroup_size: 1024
    .name:           _ZN7rocprim17ROCPRIM_400000_NS6detail17trampoline_kernelINS0_14default_configENS1_35adjacent_difference_config_selectorILb1EfEEZNS1_24adjacent_difference_implIS3_Lb1ELb0EPfS7_N6thrust23THRUST_200600_302600_NS5minusIfEEEE10hipError_tPvRmT2_T3_mT4_P12ihipStream_tbEUlT_E_NS1_11comp_targetILNS1_3genE3ELNS1_11target_archE908ELNS1_3gpuE7ELNS1_3repE0EEENS1_30default_config_static_selectorELNS0_4arch9wavefront6targetE1EEEvT1_
    .private_segment_fixed_size: 0
    .sgpr_count:     6
    .sgpr_spill_count: 0
    .symbol:         _ZN7rocprim17ROCPRIM_400000_NS6detail17trampoline_kernelINS0_14default_configENS1_35adjacent_difference_config_selectorILb1EfEEZNS1_24adjacent_difference_implIS3_Lb1ELb0EPfS7_N6thrust23THRUST_200600_302600_NS5minusIfEEEE10hipError_tPvRmT2_T3_mT4_P12ihipStream_tbEUlT_E_NS1_11comp_targetILNS1_3genE3ELNS1_11target_archE908ELNS1_3gpuE7ELNS1_3repE0EEENS1_30default_config_static_selectorELNS0_4arch9wavefront6targetE1EEEvT1_.kd
    .uniform_work_group_size: 1
    .uses_dynamic_stack: false
    .vgpr_count:     0
    .vgpr_spill_count: 0
    .wavefront_size: 64
  - .agpr_count:     0
    .args:
      - .offset:         0
        .size:           56
        .value_kind:     by_value
    .group_segment_fixed_size: 0
    .kernarg_segment_align: 8
    .kernarg_segment_size: 56
    .language:       OpenCL C
    .language_version:
      - 2
      - 0
    .max_flat_workgroup_size: 256
    .name:           _ZN7rocprim17ROCPRIM_400000_NS6detail17trampoline_kernelINS0_14default_configENS1_35adjacent_difference_config_selectorILb1EfEEZNS1_24adjacent_difference_implIS3_Lb1ELb0EPfS7_N6thrust23THRUST_200600_302600_NS5minusIfEEEE10hipError_tPvRmT2_T3_mT4_P12ihipStream_tbEUlT_E_NS1_11comp_targetILNS1_3genE2ELNS1_11target_archE906ELNS1_3gpuE6ELNS1_3repE0EEENS1_30default_config_static_selectorELNS0_4arch9wavefront6targetE1EEEvT1_
    .private_segment_fixed_size: 0
    .sgpr_count:     6
    .sgpr_spill_count: 0
    .symbol:         _ZN7rocprim17ROCPRIM_400000_NS6detail17trampoline_kernelINS0_14default_configENS1_35adjacent_difference_config_selectorILb1EfEEZNS1_24adjacent_difference_implIS3_Lb1ELb0EPfS7_N6thrust23THRUST_200600_302600_NS5minusIfEEEE10hipError_tPvRmT2_T3_mT4_P12ihipStream_tbEUlT_E_NS1_11comp_targetILNS1_3genE2ELNS1_11target_archE906ELNS1_3gpuE6ELNS1_3repE0EEENS1_30default_config_static_selectorELNS0_4arch9wavefront6targetE1EEEvT1_.kd
    .uniform_work_group_size: 1
    .uses_dynamic_stack: false
    .vgpr_count:     0
    .vgpr_spill_count: 0
    .wavefront_size: 64
  - .agpr_count:     0
    .args:
      - .offset:         0
        .size:           56
        .value_kind:     by_value
    .group_segment_fixed_size: 0
    .kernarg_segment_align: 8
    .kernarg_segment_size: 56
    .language:       OpenCL C
    .language_version:
      - 2
      - 0
    .max_flat_workgroup_size: 128
    .name:           _ZN7rocprim17ROCPRIM_400000_NS6detail17trampoline_kernelINS0_14default_configENS1_35adjacent_difference_config_selectorILb1EfEEZNS1_24adjacent_difference_implIS3_Lb1ELb0EPfS7_N6thrust23THRUST_200600_302600_NS5minusIfEEEE10hipError_tPvRmT2_T3_mT4_P12ihipStream_tbEUlT_E_NS1_11comp_targetILNS1_3genE9ELNS1_11target_archE1100ELNS1_3gpuE3ELNS1_3repE0EEENS1_30default_config_static_selectorELNS0_4arch9wavefront6targetE1EEEvT1_
    .private_segment_fixed_size: 0
    .sgpr_count:     6
    .sgpr_spill_count: 0
    .symbol:         _ZN7rocprim17ROCPRIM_400000_NS6detail17trampoline_kernelINS0_14default_configENS1_35adjacent_difference_config_selectorILb1EfEEZNS1_24adjacent_difference_implIS3_Lb1ELb0EPfS7_N6thrust23THRUST_200600_302600_NS5minusIfEEEE10hipError_tPvRmT2_T3_mT4_P12ihipStream_tbEUlT_E_NS1_11comp_targetILNS1_3genE9ELNS1_11target_archE1100ELNS1_3gpuE3ELNS1_3repE0EEENS1_30default_config_static_selectorELNS0_4arch9wavefront6targetE1EEEvT1_.kd
    .uniform_work_group_size: 1
    .uses_dynamic_stack: false
    .vgpr_count:     0
    .vgpr_spill_count: 0
    .wavefront_size: 64
  - .agpr_count:     0
    .args:
      - .offset:         0
        .size:           56
        .value_kind:     by_value
    .group_segment_fixed_size: 0
    .kernarg_segment_align: 8
    .kernarg_segment_size: 56
    .language:       OpenCL C
    .language_version:
      - 2
      - 0
    .max_flat_workgroup_size: 32
    .name:           _ZN7rocprim17ROCPRIM_400000_NS6detail17trampoline_kernelINS0_14default_configENS1_35adjacent_difference_config_selectorILb1EfEEZNS1_24adjacent_difference_implIS3_Lb1ELb0EPfS7_N6thrust23THRUST_200600_302600_NS5minusIfEEEE10hipError_tPvRmT2_T3_mT4_P12ihipStream_tbEUlT_E_NS1_11comp_targetILNS1_3genE8ELNS1_11target_archE1030ELNS1_3gpuE2ELNS1_3repE0EEENS1_30default_config_static_selectorELNS0_4arch9wavefront6targetE1EEEvT1_
    .private_segment_fixed_size: 0
    .sgpr_count:     6
    .sgpr_spill_count: 0
    .symbol:         _ZN7rocprim17ROCPRIM_400000_NS6detail17trampoline_kernelINS0_14default_configENS1_35adjacent_difference_config_selectorILb1EfEEZNS1_24adjacent_difference_implIS3_Lb1ELb0EPfS7_N6thrust23THRUST_200600_302600_NS5minusIfEEEE10hipError_tPvRmT2_T3_mT4_P12ihipStream_tbEUlT_E_NS1_11comp_targetILNS1_3genE8ELNS1_11target_archE1030ELNS1_3gpuE2ELNS1_3repE0EEENS1_30default_config_static_selectorELNS0_4arch9wavefront6targetE1EEEvT1_.kd
    .uniform_work_group_size: 1
    .uses_dynamic_stack: false
    .vgpr_count:     0
    .vgpr_spill_count: 0
    .wavefront_size: 64
  - .agpr_count:     0
    .args:
      - .offset:         0
        .size:           56
        .value_kind:     by_value
    .group_segment_fixed_size: 0
    .kernarg_segment_align: 8
    .kernarg_segment_size: 56
    .language:       OpenCL C
    .language_version:
      - 2
      - 0
    .max_flat_workgroup_size: 128
    .name:           _ZN7rocprim17ROCPRIM_400000_NS6detail17trampoline_kernelINS0_14default_configENS1_35adjacent_difference_config_selectorILb0EfEEZNS1_24adjacent_difference_implIS3_Lb0ELb0EPfS7_N6thrust23THRUST_200600_302600_NS4plusIfEEEE10hipError_tPvRmT2_T3_mT4_P12ihipStream_tbEUlT_E_NS1_11comp_targetILNS1_3genE0ELNS1_11target_archE4294967295ELNS1_3gpuE0ELNS1_3repE0EEENS1_30default_config_static_selectorELNS0_4arch9wavefront6targetE1EEEvT1_
    .private_segment_fixed_size: 0
    .sgpr_count:     6
    .sgpr_spill_count: 0
    .symbol:         _ZN7rocprim17ROCPRIM_400000_NS6detail17trampoline_kernelINS0_14default_configENS1_35adjacent_difference_config_selectorILb0EfEEZNS1_24adjacent_difference_implIS3_Lb0ELb0EPfS7_N6thrust23THRUST_200600_302600_NS4plusIfEEEE10hipError_tPvRmT2_T3_mT4_P12ihipStream_tbEUlT_E_NS1_11comp_targetILNS1_3genE0ELNS1_11target_archE4294967295ELNS1_3gpuE0ELNS1_3repE0EEENS1_30default_config_static_selectorELNS0_4arch9wavefront6targetE1EEEvT1_.kd
    .uniform_work_group_size: 1
    .uses_dynamic_stack: false
    .vgpr_count:     0
    .vgpr_spill_count: 0
    .wavefront_size: 64
  - .agpr_count:     0
    .args:
      - .offset:         0
        .size:           56
        .value_kind:     by_value
    .group_segment_fixed_size: 0
    .kernarg_segment_align: 8
    .kernarg_segment_size: 56
    .language:       OpenCL C
    .language_version:
      - 2
      - 0
    .max_flat_workgroup_size: 1024
    .name:           _ZN7rocprim17ROCPRIM_400000_NS6detail17trampoline_kernelINS0_14default_configENS1_35adjacent_difference_config_selectorILb0EfEEZNS1_24adjacent_difference_implIS3_Lb0ELb0EPfS7_N6thrust23THRUST_200600_302600_NS4plusIfEEEE10hipError_tPvRmT2_T3_mT4_P12ihipStream_tbEUlT_E_NS1_11comp_targetILNS1_3genE10ELNS1_11target_archE1201ELNS1_3gpuE5ELNS1_3repE0EEENS1_30default_config_static_selectorELNS0_4arch9wavefront6targetE1EEEvT1_
    .private_segment_fixed_size: 0
    .sgpr_count:     6
    .sgpr_spill_count: 0
    .symbol:         _ZN7rocprim17ROCPRIM_400000_NS6detail17trampoline_kernelINS0_14default_configENS1_35adjacent_difference_config_selectorILb0EfEEZNS1_24adjacent_difference_implIS3_Lb0ELb0EPfS7_N6thrust23THRUST_200600_302600_NS4plusIfEEEE10hipError_tPvRmT2_T3_mT4_P12ihipStream_tbEUlT_E_NS1_11comp_targetILNS1_3genE10ELNS1_11target_archE1201ELNS1_3gpuE5ELNS1_3repE0EEENS1_30default_config_static_selectorELNS0_4arch9wavefront6targetE1EEEvT1_.kd
    .uniform_work_group_size: 1
    .uses_dynamic_stack: false
    .vgpr_count:     0
    .vgpr_spill_count: 0
    .wavefront_size: 64
  - .agpr_count:     0
    .args:
      - .offset:         0
        .size:           56
        .value_kind:     by_value
    .group_segment_fixed_size: 7936
    .kernarg_segment_align: 8
    .kernarg_segment_size: 56
    .language:       OpenCL C
    .language_version:
      - 2
      - 0
    .max_flat_workgroup_size: 64
    .name:           _ZN7rocprim17ROCPRIM_400000_NS6detail17trampoline_kernelINS0_14default_configENS1_35adjacent_difference_config_selectorILb0EfEEZNS1_24adjacent_difference_implIS3_Lb0ELb0EPfS7_N6thrust23THRUST_200600_302600_NS4plusIfEEEE10hipError_tPvRmT2_T3_mT4_P12ihipStream_tbEUlT_E_NS1_11comp_targetILNS1_3genE5ELNS1_11target_archE942ELNS1_3gpuE9ELNS1_3repE0EEENS1_30default_config_static_selectorELNS0_4arch9wavefront6targetE1EEEvT1_
    .private_segment_fixed_size: 0
    .sgpr_count:     29
    .sgpr_spill_count: 0
    .symbol:         _ZN7rocprim17ROCPRIM_400000_NS6detail17trampoline_kernelINS0_14default_configENS1_35adjacent_difference_config_selectorILb0EfEEZNS1_24adjacent_difference_implIS3_Lb0ELb0EPfS7_N6thrust23THRUST_200600_302600_NS4plusIfEEEE10hipError_tPvRmT2_T3_mT4_P12ihipStream_tbEUlT_E_NS1_11comp_targetILNS1_3genE5ELNS1_11target_archE942ELNS1_3gpuE9ELNS1_3repE0EEENS1_30default_config_static_selectorELNS0_4arch9wavefront6targetE1EEEvT1_.kd
    .uniform_work_group_size: 1
    .uses_dynamic_stack: false
    .vgpr_count:     68
    .vgpr_spill_count: 0
    .wavefront_size: 64
  - .agpr_count:     0
    .args:
      - .offset:         0
        .size:           56
        .value_kind:     by_value
    .group_segment_fixed_size: 0
    .kernarg_segment_align: 8
    .kernarg_segment_size: 56
    .language:       OpenCL C
    .language_version:
      - 2
      - 0
    .max_flat_workgroup_size: 512
    .name:           _ZN7rocprim17ROCPRIM_400000_NS6detail17trampoline_kernelINS0_14default_configENS1_35adjacent_difference_config_selectorILb0EfEEZNS1_24adjacent_difference_implIS3_Lb0ELb0EPfS7_N6thrust23THRUST_200600_302600_NS4plusIfEEEE10hipError_tPvRmT2_T3_mT4_P12ihipStream_tbEUlT_E_NS1_11comp_targetILNS1_3genE4ELNS1_11target_archE910ELNS1_3gpuE8ELNS1_3repE0EEENS1_30default_config_static_selectorELNS0_4arch9wavefront6targetE1EEEvT1_
    .private_segment_fixed_size: 0
    .sgpr_count:     6
    .sgpr_spill_count: 0
    .symbol:         _ZN7rocprim17ROCPRIM_400000_NS6detail17trampoline_kernelINS0_14default_configENS1_35adjacent_difference_config_selectorILb0EfEEZNS1_24adjacent_difference_implIS3_Lb0ELb0EPfS7_N6thrust23THRUST_200600_302600_NS4plusIfEEEE10hipError_tPvRmT2_T3_mT4_P12ihipStream_tbEUlT_E_NS1_11comp_targetILNS1_3genE4ELNS1_11target_archE910ELNS1_3gpuE8ELNS1_3repE0EEENS1_30default_config_static_selectorELNS0_4arch9wavefront6targetE1EEEvT1_.kd
    .uniform_work_group_size: 1
    .uses_dynamic_stack: false
    .vgpr_count:     0
    .vgpr_spill_count: 0
    .wavefront_size: 64
  - .agpr_count:     0
    .args:
      - .offset:         0
        .size:           56
        .value_kind:     by_value
    .group_segment_fixed_size: 0
    .kernarg_segment_align: 8
    .kernarg_segment_size: 56
    .language:       OpenCL C
    .language_version:
      - 2
      - 0
    .max_flat_workgroup_size: 128
    .name:           _ZN7rocprim17ROCPRIM_400000_NS6detail17trampoline_kernelINS0_14default_configENS1_35adjacent_difference_config_selectorILb0EfEEZNS1_24adjacent_difference_implIS3_Lb0ELb0EPfS7_N6thrust23THRUST_200600_302600_NS4plusIfEEEE10hipError_tPvRmT2_T3_mT4_P12ihipStream_tbEUlT_E_NS1_11comp_targetILNS1_3genE3ELNS1_11target_archE908ELNS1_3gpuE7ELNS1_3repE0EEENS1_30default_config_static_selectorELNS0_4arch9wavefront6targetE1EEEvT1_
    .private_segment_fixed_size: 0
    .sgpr_count:     6
    .sgpr_spill_count: 0
    .symbol:         _ZN7rocprim17ROCPRIM_400000_NS6detail17trampoline_kernelINS0_14default_configENS1_35adjacent_difference_config_selectorILb0EfEEZNS1_24adjacent_difference_implIS3_Lb0ELb0EPfS7_N6thrust23THRUST_200600_302600_NS4plusIfEEEE10hipError_tPvRmT2_T3_mT4_P12ihipStream_tbEUlT_E_NS1_11comp_targetILNS1_3genE3ELNS1_11target_archE908ELNS1_3gpuE7ELNS1_3repE0EEENS1_30default_config_static_selectorELNS0_4arch9wavefront6targetE1EEEvT1_.kd
    .uniform_work_group_size: 1
    .uses_dynamic_stack: false
    .vgpr_count:     0
    .vgpr_spill_count: 0
    .wavefront_size: 64
  - .agpr_count:     0
    .args:
      - .offset:         0
        .size:           56
        .value_kind:     by_value
    .group_segment_fixed_size: 0
    .kernarg_segment_align: 8
    .kernarg_segment_size: 56
    .language:       OpenCL C
    .language_version:
      - 2
      - 0
    .max_flat_workgroup_size: 1024
    .name:           _ZN7rocprim17ROCPRIM_400000_NS6detail17trampoline_kernelINS0_14default_configENS1_35adjacent_difference_config_selectorILb0EfEEZNS1_24adjacent_difference_implIS3_Lb0ELb0EPfS7_N6thrust23THRUST_200600_302600_NS4plusIfEEEE10hipError_tPvRmT2_T3_mT4_P12ihipStream_tbEUlT_E_NS1_11comp_targetILNS1_3genE2ELNS1_11target_archE906ELNS1_3gpuE6ELNS1_3repE0EEENS1_30default_config_static_selectorELNS0_4arch9wavefront6targetE1EEEvT1_
    .private_segment_fixed_size: 0
    .sgpr_count:     6
    .sgpr_spill_count: 0
    .symbol:         _ZN7rocprim17ROCPRIM_400000_NS6detail17trampoline_kernelINS0_14default_configENS1_35adjacent_difference_config_selectorILb0EfEEZNS1_24adjacent_difference_implIS3_Lb0ELb0EPfS7_N6thrust23THRUST_200600_302600_NS4plusIfEEEE10hipError_tPvRmT2_T3_mT4_P12ihipStream_tbEUlT_E_NS1_11comp_targetILNS1_3genE2ELNS1_11target_archE906ELNS1_3gpuE6ELNS1_3repE0EEENS1_30default_config_static_selectorELNS0_4arch9wavefront6targetE1EEEvT1_.kd
    .uniform_work_group_size: 1
    .uses_dynamic_stack: false
    .vgpr_count:     0
    .vgpr_spill_count: 0
    .wavefront_size: 64
  - .agpr_count:     0
    .args:
      - .offset:         0
        .size:           56
        .value_kind:     by_value
    .group_segment_fixed_size: 0
    .kernarg_segment_align: 8
    .kernarg_segment_size: 56
    .language:       OpenCL C
    .language_version:
      - 2
      - 0
    .max_flat_workgroup_size: 1024
    .name:           _ZN7rocprim17ROCPRIM_400000_NS6detail17trampoline_kernelINS0_14default_configENS1_35adjacent_difference_config_selectorILb0EfEEZNS1_24adjacent_difference_implIS3_Lb0ELb0EPfS7_N6thrust23THRUST_200600_302600_NS4plusIfEEEE10hipError_tPvRmT2_T3_mT4_P12ihipStream_tbEUlT_E_NS1_11comp_targetILNS1_3genE9ELNS1_11target_archE1100ELNS1_3gpuE3ELNS1_3repE0EEENS1_30default_config_static_selectorELNS0_4arch9wavefront6targetE1EEEvT1_
    .private_segment_fixed_size: 0
    .sgpr_count:     6
    .sgpr_spill_count: 0
    .symbol:         _ZN7rocprim17ROCPRIM_400000_NS6detail17trampoline_kernelINS0_14default_configENS1_35adjacent_difference_config_selectorILb0EfEEZNS1_24adjacent_difference_implIS3_Lb0ELb0EPfS7_N6thrust23THRUST_200600_302600_NS4plusIfEEEE10hipError_tPvRmT2_T3_mT4_P12ihipStream_tbEUlT_E_NS1_11comp_targetILNS1_3genE9ELNS1_11target_archE1100ELNS1_3gpuE3ELNS1_3repE0EEENS1_30default_config_static_selectorELNS0_4arch9wavefront6targetE1EEEvT1_.kd
    .uniform_work_group_size: 1
    .uses_dynamic_stack: false
    .vgpr_count:     0
    .vgpr_spill_count: 0
    .wavefront_size: 64
  - .agpr_count:     0
    .args:
      - .offset:         0
        .size:           56
        .value_kind:     by_value
    .group_segment_fixed_size: 0
    .kernarg_segment_align: 8
    .kernarg_segment_size: 56
    .language:       OpenCL C
    .language_version:
      - 2
      - 0
    .max_flat_workgroup_size: 1024
    .name:           _ZN7rocprim17ROCPRIM_400000_NS6detail17trampoline_kernelINS0_14default_configENS1_35adjacent_difference_config_selectorILb0EfEEZNS1_24adjacent_difference_implIS3_Lb0ELb0EPfS7_N6thrust23THRUST_200600_302600_NS4plusIfEEEE10hipError_tPvRmT2_T3_mT4_P12ihipStream_tbEUlT_E_NS1_11comp_targetILNS1_3genE8ELNS1_11target_archE1030ELNS1_3gpuE2ELNS1_3repE0EEENS1_30default_config_static_selectorELNS0_4arch9wavefront6targetE1EEEvT1_
    .private_segment_fixed_size: 0
    .sgpr_count:     6
    .sgpr_spill_count: 0
    .symbol:         _ZN7rocprim17ROCPRIM_400000_NS6detail17trampoline_kernelINS0_14default_configENS1_35adjacent_difference_config_selectorILb0EfEEZNS1_24adjacent_difference_implIS3_Lb0ELb0EPfS7_N6thrust23THRUST_200600_302600_NS4plusIfEEEE10hipError_tPvRmT2_T3_mT4_P12ihipStream_tbEUlT_E_NS1_11comp_targetILNS1_3genE8ELNS1_11target_archE1030ELNS1_3gpuE2ELNS1_3repE0EEENS1_30default_config_static_selectorELNS0_4arch9wavefront6targetE1EEEvT1_.kd
    .uniform_work_group_size: 1
    .uses_dynamic_stack: false
    .vgpr_count:     0
    .vgpr_spill_count: 0
    .wavefront_size: 64
  - .agpr_count:     0
    .args:
      - .offset:         0
        .size:           56
        .value_kind:     by_value
    .group_segment_fixed_size: 0
    .kernarg_segment_align: 8
    .kernarg_segment_size: 56
    .language:       OpenCL C
    .language_version:
      - 2
      - 0
    .max_flat_workgroup_size: 128
    .name:           _ZN7rocprim17ROCPRIM_400000_NS6detail17trampoline_kernelINS0_14default_configENS1_25transform_config_selectorIfLb0EEEZNS1_14transform_implILb0ES3_S5_NS0_18transform_iteratorINS0_17counting_iteratorImlEEZNS1_24adjacent_difference_implIS3_Lb1ELb0EPfSB_N6thrust23THRUST_200600_302600_NS4plusIfEEEE10hipError_tPvRmT2_T3_mT4_P12ihipStream_tbEUlmE_fEESB_NS0_8identityIvEEEESG_SJ_SK_mSL_SN_bEUlT_E_NS1_11comp_targetILNS1_3genE0ELNS1_11target_archE4294967295ELNS1_3gpuE0ELNS1_3repE0EEENS1_30default_config_static_selectorELNS0_4arch9wavefront6targetE1EEEvT1_
    .private_segment_fixed_size: 0
    .sgpr_count:     6
    .sgpr_spill_count: 0
    .symbol:         _ZN7rocprim17ROCPRIM_400000_NS6detail17trampoline_kernelINS0_14default_configENS1_25transform_config_selectorIfLb0EEEZNS1_14transform_implILb0ES3_S5_NS0_18transform_iteratorINS0_17counting_iteratorImlEEZNS1_24adjacent_difference_implIS3_Lb1ELb0EPfSB_N6thrust23THRUST_200600_302600_NS4plusIfEEEE10hipError_tPvRmT2_T3_mT4_P12ihipStream_tbEUlmE_fEESB_NS0_8identityIvEEEESG_SJ_SK_mSL_SN_bEUlT_E_NS1_11comp_targetILNS1_3genE0ELNS1_11target_archE4294967295ELNS1_3gpuE0ELNS1_3repE0EEENS1_30default_config_static_selectorELNS0_4arch9wavefront6targetE1EEEvT1_.kd
    .uniform_work_group_size: 1
    .uses_dynamic_stack: false
    .vgpr_count:     0
    .vgpr_spill_count: 0
    .wavefront_size: 64
  - .agpr_count:     0
    .args:
      - .offset:         0
        .size:           56
        .value_kind:     by_value
      - .offset:         56
        .size:           4
        .value_kind:     hidden_block_count_x
      - .offset:         60
        .size:           4
        .value_kind:     hidden_block_count_y
      - .offset:         64
        .size:           4
        .value_kind:     hidden_block_count_z
      - .offset:         68
        .size:           2
        .value_kind:     hidden_group_size_x
      - .offset:         70
        .size:           2
        .value_kind:     hidden_group_size_y
      - .offset:         72
        .size:           2
        .value_kind:     hidden_group_size_z
      - .offset:         74
        .size:           2
        .value_kind:     hidden_remainder_x
      - .offset:         76
        .size:           2
        .value_kind:     hidden_remainder_y
      - .offset:         78
        .size:           2
        .value_kind:     hidden_remainder_z
      - .offset:         96
        .size:           8
        .value_kind:     hidden_global_offset_x
      - .offset:         104
        .size:           8
        .value_kind:     hidden_global_offset_y
      - .offset:         112
        .size:           8
        .value_kind:     hidden_global_offset_z
      - .offset:         120
        .size:           2
        .value_kind:     hidden_grid_dims
    .group_segment_fixed_size: 0
    .kernarg_segment_align: 8
    .kernarg_segment_size: 312
    .language:       OpenCL C
    .language_version:
      - 2
      - 0
    .max_flat_workgroup_size: 256
    .name:           _ZN7rocprim17ROCPRIM_400000_NS6detail17trampoline_kernelINS0_14default_configENS1_25transform_config_selectorIfLb0EEEZNS1_14transform_implILb0ES3_S5_NS0_18transform_iteratorINS0_17counting_iteratorImlEEZNS1_24adjacent_difference_implIS3_Lb1ELb0EPfSB_N6thrust23THRUST_200600_302600_NS4plusIfEEEE10hipError_tPvRmT2_T3_mT4_P12ihipStream_tbEUlmE_fEESB_NS0_8identityIvEEEESG_SJ_SK_mSL_SN_bEUlT_E_NS1_11comp_targetILNS1_3genE5ELNS1_11target_archE942ELNS1_3gpuE9ELNS1_3repE0EEENS1_30default_config_static_selectorELNS0_4arch9wavefront6targetE1EEEvT1_
    .private_segment_fixed_size: 0
    .sgpr_count:     28
    .sgpr_spill_count: 0
    .symbol:         _ZN7rocprim17ROCPRIM_400000_NS6detail17trampoline_kernelINS0_14default_configENS1_25transform_config_selectorIfLb0EEEZNS1_14transform_implILb0ES3_S5_NS0_18transform_iteratorINS0_17counting_iteratorImlEEZNS1_24adjacent_difference_implIS3_Lb1ELb0EPfSB_N6thrust23THRUST_200600_302600_NS4plusIfEEEE10hipError_tPvRmT2_T3_mT4_P12ihipStream_tbEUlmE_fEESB_NS0_8identityIvEEEESG_SJ_SK_mSL_SN_bEUlT_E_NS1_11comp_targetILNS1_3genE5ELNS1_11target_archE942ELNS1_3gpuE9ELNS1_3repE0EEENS1_30default_config_static_selectorELNS0_4arch9wavefront6targetE1EEEvT1_.kd
    .uniform_work_group_size: 1
    .uses_dynamic_stack: false
    .vgpr_count:     13
    .vgpr_spill_count: 0
    .wavefront_size: 64
  - .agpr_count:     0
    .args:
      - .offset:         0
        .size:           56
        .value_kind:     by_value
    .group_segment_fixed_size: 0
    .kernarg_segment_align: 8
    .kernarg_segment_size: 56
    .language:       OpenCL C
    .language_version:
      - 2
      - 0
    .max_flat_workgroup_size: 1024
    .name:           _ZN7rocprim17ROCPRIM_400000_NS6detail17trampoline_kernelINS0_14default_configENS1_25transform_config_selectorIfLb0EEEZNS1_14transform_implILb0ES3_S5_NS0_18transform_iteratorINS0_17counting_iteratorImlEEZNS1_24adjacent_difference_implIS3_Lb1ELb0EPfSB_N6thrust23THRUST_200600_302600_NS4plusIfEEEE10hipError_tPvRmT2_T3_mT4_P12ihipStream_tbEUlmE_fEESB_NS0_8identityIvEEEESG_SJ_SK_mSL_SN_bEUlT_E_NS1_11comp_targetILNS1_3genE4ELNS1_11target_archE910ELNS1_3gpuE8ELNS1_3repE0EEENS1_30default_config_static_selectorELNS0_4arch9wavefront6targetE1EEEvT1_
    .private_segment_fixed_size: 0
    .sgpr_count:     6
    .sgpr_spill_count: 0
    .symbol:         _ZN7rocprim17ROCPRIM_400000_NS6detail17trampoline_kernelINS0_14default_configENS1_25transform_config_selectorIfLb0EEEZNS1_14transform_implILb0ES3_S5_NS0_18transform_iteratorINS0_17counting_iteratorImlEEZNS1_24adjacent_difference_implIS3_Lb1ELb0EPfSB_N6thrust23THRUST_200600_302600_NS4plusIfEEEE10hipError_tPvRmT2_T3_mT4_P12ihipStream_tbEUlmE_fEESB_NS0_8identityIvEEEESG_SJ_SK_mSL_SN_bEUlT_E_NS1_11comp_targetILNS1_3genE4ELNS1_11target_archE910ELNS1_3gpuE8ELNS1_3repE0EEENS1_30default_config_static_selectorELNS0_4arch9wavefront6targetE1EEEvT1_.kd
    .uniform_work_group_size: 1
    .uses_dynamic_stack: false
    .vgpr_count:     0
    .vgpr_spill_count: 0
    .wavefront_size: 64
  - .agpr_count:     0
    .args:
      - .offset:         0
        .size:           56
        .value_kind:     by_value
    .group_segment_fixed_size: 0
    .kernarg_segment_align: 8
    .kernarg_segment_size: 56
    .language:       OpenCL C
    .language_version:
      - 2
      - 0
    .max_flat_workgroup_size: 128
    .name:           _ZN7rocprim17ROCPRIM_400000_NS6detail17trampoline_kernelINS0_14default_configENS1_25transform_config_selectorIfLb0EEEZNS1_14transform_implILb0ES3_S5_NS0_18transform_iteratorINS0_17counting_iteratorImlEEZNS1_24adjacent_difference_implIS3_Lb1ELb0EPfSB_N6thrust23THRUST_200600_302600_NS4plusIfEEEE10hipError_tPvRmT2_T3_mT4_P12ihipStream_tbEUlmE_fEESB_NS0_8identityIvEEEESG_SJ_SK_mSL_SN_bEUlT_E_NS1_11comp_targetILNS1_3genE3ELNS1_11target_archE908ELNS1_3gpuE7ELNS1_3repE0EEENS1_30default_config_static_selectorELNS0_4arch9wavefront6targetE1EEEvT1_
    .private_segment_fixed_size: 0
    .sgpr_count:     6
    .sgpr_spill_count: 0
    .symbol:         _ZN7rocprim17ROCPRIM_400000_NS6detail17trampoline_kernelINS0_14default_configENS1_25transform_config_selectorIfLb0EEEZNS1_14transform_implILb0ES3_S5_NS0_18transform_iteratorINS0_17counting_iteratorImlEEZNS1_24adjacent_difference_implIS3_Lb1ELb0EPfSB_N6thrust23THRUST_200600_302600_NS4plusIfEEEE10hipError_tPvRmT2_T3_mT4_P12ihipStream_tbEUlmE_fEESB_NS0_8identityIvEEEESG_SJ_SK_mSL_SN_bEUlT_E_NS1_11comp_targetILNS1_3genE3ELNS1_11target_archE908ELNS1_3gpuE7ELNS1_3repE0EEENS1_30default_config_static_selectorELNS0_4arch9wavefront6targetE1EEEvT1_.kd
    .uniform_work_group_size: 1
    .uses_dynamic_stack: false
    .vgpr_count:     0
    .vgpr_spill_count: 0
    .wavefront_size: 64
  - .agpr_count:     0
    .args:
      - .offset:         0
        .size:           56
        .value_kind:     by_value
    .group_segment_fixed_size: 0
    .kernarg_segment_align: 8
    .kernarg_segment_size: 56
    .language:       OpenCL C
    .language_version:
      - 2
      - 0
    .max_flat_workgroup_size: 1024
    .name:           _ZN7rocprim17ROCPRIM_400000_NS6detail17trampoline_kernelINS0_14default_configENS1_25transform_config_selectorIfLb0EEEZNS1_14transform_implILb0ES3_S5_NS0_18transform_iteratorINS0_17counting_iteratorImlEEZNS1_24adjacent_difference_implIS3_Lb1ELb0EPfSB_N6thrust23THRUST_200600_302600_NS4plusIfEEEE10hipError_tPvRmT2_T3_mT4_P12ihipStream_tbEUlmE_fEESB_NS0_8identityIvEEEESG_SJ_SK_mSL_SN_bEUlT_E_NS1_11comp_targetILNS1_3genE2ELNS1_11target_archE906ELNS1_3gpuE6ELNS1_3repE0EEENS1_30default_config_static_selectorELNS0_4arch9wavefront6targetE1EEEvT1_
    .private_segment_fixed_size: 0
    .sgpr_count:     6
    .sgpr_spill_count: 0
    .symbol:         _ZN7rocprim17ROCPRIM_400000_NS6detail17trampoline_kernelINS0_14default_configENS1_25transform_config_selectorIfLb0EEEZNS1_14transform_implILb0ES3_S5_NS0_18transform_iteratorINS0_17counting_iteratorImlEEZNS1_24adjacent_difference_implIS3_Lb1ELb0EPfSB_N6thrust23THRUST_200600_302600_NS4plusIfEEEE10hipError_tPvRmT2_T3_mT4_P12ihipStream_tbEUlmE_fEESB_NS0_8identityIvEEEESG_SJ_SK_mSL_SN_bEUlT_E_NS1_11comp_targetILNS1_3genE2ELNS1_11target_archE906ELNS1_3gpuE6ELNS1_3repE0EEENS1_30default_config_static_selectorELNS0_4arch9wavefront6targetE1EEEvT1_.kd
    .uniform_work_group_size: 1
    .uses_dynamic_stack: false
    .vgpr_count:     0
    .vgpr_spill_count: 0
    .wavefront_size: 64
  - .agpr_count:     0
    .args:
      - .offset:         0
        .size:           56
        .value_kind:     by_value
    .group_segment_fixed_size: 0
    .kernarg_segment_align: 8
    .kernarg_segment_size: 56
    .language:       OpenCL C
    .language_version:
      - 2
      - 0
    .max_flat_workgroup_size: 512
    .name:           _ZN7rocprim17ROCPRIM_400000_NS6detail17trampoline_kernelINS0_14default_configENS1_25transform_config_selectorIfLb0EEEZNS1_14transform_implILb0ES3_S5_NS0_18transform_iteratorINS0_17counting_iteratorImlEEZNS1_24adjacent_difference_implIS3_Lb1ELb0EPfSB_N6thrust23THRUST_200600_302600_NS4plusIfEEEE10hipError_tPvRmT2_T3_mT4_P12ihipStream_tbEUlmE_fEESB_NS0_8identityIvEEEESG_SJ_SK_mSL_SN_bEUlT_E_NS1_11comp_targetILNS1_3genE10ELNS1_11target_archE1201ELNS1_3gpuE5ELNS1_3repE0EEENS1_30default_config_static_selectorELNS0_4arch9wavefront6targetE1EEEvT1_
    .private_segment_fixed_size: 0
    .sgpr_count:     6
    .sgpr_spill_count: 0
    .symbol:         _ZN7rocprim17ROCPRIM_400000_NS6detail17trampoline_kernelINS0_14default_configENS1_25transform_config_selectorIfLb0EEEZNS1_14transform_implILb0ES3_S5_NS0_18transform_iteratorINS0_17counting_iteratorImlEEZNS1_24adjacent_difference_implIS3_Lb1ELb0EPfSB_N6thrust23THRUST_200600_302600_NS4plusIfEEEE10hipError_tPvRmT2_T3_mT4_P12ihipStream_tbEUlmE_fEESB_NS0_8identityIvEEEESG_SJ_SK_mSL_SN_bEUlT_E_NS1_11comp_targetILNS1_3genE10ELNS1_11target_archE1201ELNS1_3gpuE5ELNS1_3repE0EEENS1_30default_config_static_selectorELNS0_4arch9wavefront6targetE1EEEvT1_.kd
    .uniform_work_group_size: 1
    .uses_dynamic_stack: false
    .vgpr_count:     0
    .vgpr_spill_count: 0
    .wavefront_size: 64
  - .agpr_count:     0
    .args:
      - .offset:         0
        .size:           56
        .value_kind:     by_value
    .group_segment_fixed_size: 0
    .kernarg_segment_align: 8
    .kernarg_segment_size: 56
    .language:       OpenCL C
    .language_version:
      - 2
      - 0
    .max_flat_workgroup_size: 512
    .name:           _ZN7rocprim17ROCPRIM_400000_NS6detail17trampoline_kernelINS0_14default_configENS1_25transform_config_selectorIfLb0EEEZNS1_14transform_implILb0ES3_S5_NS0_18transform_iteratorINS0_17counting_iteratorImlEEZNS1_24adjacent_difference_implIS3_Lb1ELb0EPfSB_N6thrust23THRUST_200600_302600_NS4plusIfEEEE10hipError_tPvRmT2_T3_mT4_P12ihipStream_tbEUlmE_fEESB_NS0_8identityIvEEEESG_SJ_SK_mSL_SN_bEUlT_E_NS1_11comp_targetILNS1_3genE10ELNS1_11target_archE1200ELNS1_3gpuE4ELNS1_3repE0EEENS1_30default_config_static_selectorELNS0_4arch9wavefront6targetE1EEEvT1_
    .private_segment_fixed_size: 0
    .sgpr_count:     6
    .sgpr_spill_count: 0
    .symbol:         _ZN7rocprim17ROCPRIM_400000_NS6detail17trampoline_kernelINS0_14default_configENS1_25transform_config_selectorIfLb0EEEZNS1_14transform_implILb0ES3_S5_NS0_18transform_iteratorINS0_17counting_iteratorImlEEZNS1_24adjacent_difference_implIS3_Lb1ELb0EPfSB_N6thrust23THRUST_200600_302600_NS4plusIfEEEE10hipError_tPvRmT2_T3_mT4_P12ihipStream_tbEUlmE_fEESB_NS0_8identityIvEEEESG_SJ_SK_mSL_SN_bEUlT_E_NS1_11comp_targetILNS1_3genE10ELNS1_11target_archE1200ELNS1_3gpuE4ELNS1_3repE0EEENS1_30default_config_static_selectorELNS0_4arch9wavefront6targetE1EEEvT1_.kd
    .uniform_work_group_size: 1
    .uses_dynamic_stack: false
    .vgpr_count:     0
    .vgpr_spill_count: 0
    .wavefront_size: 64
  - .agpr_count:     0
    .args:
      - .offset:         0
        .size:           56
        .value_kind:     by_value
    .group_segment_fixed_size: 0
    .kernarg_segment_align: 8
    .kernarg_segment_size: 56
    .language:       OpenCL C
    .language_version:
      - 2
      - 0
    .max_flat_workgroup_size: 1024
    .name:           _ZN7rocprim17ROCPRIM_400000_NS6detail17trampoline_kernelINS0_14default_configENS1_25transform_config_selectorIfLb0EEEZNS1_14transform_implILb0ES3_S5_NS0_18transform_iteratorINS0_17counting_iteratorImlEEZNS1_24adjacent_difference_implIS3_Lb1ELb0EPfSB_N6thrust23THRUST_200600_302600_NS4plusIfEEEE10hipError_tPvRmT2_T3_mT4_P12ihipStream_tbEUlmE_fEESB_NS0_8identityIvEEEESG_SJ_SK_mSL_SN_bEUlT_E_NS1_11comp_targetILNS1_3genE9ELNS1_11target_archE1100ELNS1_3gpuE3ELNS1_3repE0EEENS1_30default_config_static_selectorELNS0_4arch9wavefront6targetE1EEEvT1_
    .private_segment_fixed_size: 0
    .sgpr_count:     6
    .sgpr_spill_count: 0
    .symbol:         _ZN7rocprim17ROCPRIM_400000_NS6detail17trampoline_kernelINS0_14default_configENS1_25transform_config_selectorIfLb0EEEZNS1_14transform_implILb0ES3_S5_NS0_18transform_iteratorINS0_17counting_iteratorImlEEZNS1_24adjacent_difference_implIS3_Lb1ELb0EPfSB_N6thrust23THRUST_200600_302600_NS4plusIfEEEE10hipError_tPvRmT2_T3_mT4_P12ihipStream_tbEUlmE_fEESB_NS0_8identityIvEEEESG_SJ_SK_mSL_SN_bEUlT_E_NS1_11comp_targetILNS1_3genE9ELNS1_11target_archE1100ELNS1_3gpuE3ELNS1_3repE0EEENS1_30default_config_static_selectorELNS0_4arch9wavefront6targetE1EEEvT1_.kd
    .uniform_work_group_size: 1
    .uses_dynamic_stack: false
    .vgpr_count:     0
    .vgpr_spill_count: 0
    .wavefront_size: 64
  - .agpr_count:     0
    .args:
      - .offset:         0
        .size:           56
        .value_kind:     by_value
    .group_segment_fixed_size: 0
    .kernarg_segment_align: 8
    .kernarg_segment_size: 56
    .language:       OpenCL C
    .language_version:
      - 2
      - 0
    .max_flat_workgroup_size: 256
    .name:           _ZN7rocprim17ROCPRIM_400000_NS6detail17trampoline_kernelINS0_14default_configENS1_25transform_config_selectorIfLb0EEEZNS1_14transform_implILb0ES3_S5_NS0_18transform_iteratorINS0_17counting_iteratorImlEEZNS1_24adjacent_difference_implIS3_Lb1ELb0EPfSB_N6thrust23THRUST_200600_302600_NS4plusIfEEEE10hipError_tPvRmT2_T3_mT4_P12ihipStream_tbEUlmE_fEESB_NS0_8identityIvEEEESG_SJ_SK_mSL_SN_bEUlT_E_NS1_11comp_targetILNS1_3genE8ELNS1_11target_archE1030ELNS1_3gpuE2ELNS1_3repE0EEENS1_30default_config_static_selectorELNS0_4arch9wavefront6targetE1EEEvT1_
    .private_segment_fixed_size: 0
    .sgpr_count:     6
    .sgpr_spill_count: 0
    .symbol:         _ZN7rocprim17ROCPRIM_400000_NS6detail17trampoline_kernelINS0_14default_configENS1_25transform_config_selectorIfLb0EEEZNS1_14transform_implILb0ES3_S5_NS0_18transform_iteratorINS0_17counting_iteratorImlEEZNS1_24adjacent_difference_implIS3_Lb1ELb0EPfSB_N6thrust23THRUST_200600_302600_NS4plusIfEEEE10hipError_tPvRmT2_T3_mT4_P12ihipStream_tbEUlmE_fEESB_NS0_8identityIvEEEESG_SJ_SK_mSL_SN_bEUlT_E_NS1_11comp_targetILNS1_3genE8ELNS1_11target_archE1030ELNS1_3gpuE2ELNS1_3repE0EEENS1_30default_config_static_selectorELNS0_4arch9wavefront6targetE1EEEvT1_.kd
    .uniform_work_group_size: 1
    .uses_dynamic_stack: false
    .vgpr_count:     0
    .vgpr_spill_count: 0
    .wavefront_size: 64
  - .agpr_count:     0
    .args:
      - .offset:         0
        .size:           56
        .value_kind:     by_value
    .group_segment_fixed_size: 0
    .kernarg_segment_align: 8
    .kernarg_segment_size: 56
    .language:       OpenCL C
    .language_version:
      - 2
      - 0
    .max_flat_workgroup_size: 1024
    .name:           _ZN7rocprim17ROCPRIM_400000_NS6detail17trampoline_kernelINS0_14default_configENS1_35adjacent_difference_config_selectorILb1EfEEZNS1_24adjacent_difference_implIS3_Lb1ELb0EPfS7_N6thrust23THRUST_200600_302600_NS4plusIfEEEE10hipError_tPvRmT2_T3_mT4_P12ihipStream_tbEUlT_E_NS1_11comp_targetILNS1_3genE0ELNS1_11target_archE4294967295ELNS1_3gpuE0ELNS1_3repE0EEENS1_30default_config_static_selectorELNS0_4arch9wavefront6targetE1EEEvT1_
    .private_segment_fixed_size: 0
    .sgpr_count:     6
    .sgpr_spill_count: 0
    .symbol:         _ZN7rocprim17ROCPRIM_400000_NS6detail17trampoline_kernelINS0_14default_configENS1_35adjacent_difference_config_selectorILb1EfEEZNS1_24adjacent_difference_implIS3_Lb1ELb0EPfS7_N6thrust23THRUST_200600_302600_NS4plusIfEEEE10hipError_tPvRmT2_T3_mT4_P12ihipStream_tbEUlT_E_NS1_11comp_targetILNS1_3genE0ELNS1_11target_archE4294967295ELNS1_3gpuE0ELNS1_3repE0EEENS1_30default_config_static_selectorELNS0_4arch9wavefront6targetE1EEEvT1_.kd
    .uniform_work_group_size: 1
    .uses_dynamic_stack: false
    .vgpr_count:     0
    .vgpr_spill_count: 0
    .wavefront_size: 64
  - .agpr_count:     0
    .args:
      - .offset:         0
        .size:           56
        .value_kind:     by_value
    .group_segment_fixed_size: 0
    .kernarg_segment_align: 8
    .kernarg_segment_size: 56
    .language:       OpenCL C
    .language_version:
      - 2
      - 0
    .max_flat_workgroup_size: 128
    .name:           _ZN7rocprim17ROCPRIM_400000_NS6detail17trampoline_kernelINS0_14default_configENS1_35adjacent_difference_config_selectorILb1EfEEZNS1_24adjacent_difference_implIS3_Lb1ELb0EPfS7_N6thrust23THRUST_200600_302600_NS4plusIfEEEE10hipError_tPvRmT2_T3_mT4_P12ihipStream_tbEUlT_E_NS1_11comp_targetILNS1_3genE10ELNS1_11target_archE1201ELNS1_3gpuE5ELNS1_3repE0EEENS1_30default_config_static_selectorELNS0_4arch9wavefront6targetE1EEEvT1_
    .private_segment_fixed_size: 0
    .sgpr_count:     6
    .sgpr_spill_count: 0
    .symbol:         _ZN7rocprim17ROCPRIM_400000_NS6detail17trampoline_kernelINS0_14default_configENS1_35adjacent_difference_config_selectorILb1EfEEZNS1_24adjacent_difference_implIS3_Lb1ELb0EPfS7_N6thrust23THRUST_200600_302600_NS4plusIfEEEE10hipError_tPvRmT2_T3_mT4_P12ihipStream_tbEUlT_E_NS1_11comp_targetILNS1_3genE10ELNS1_11target_archE1201ELNS1_3gpuE5ELNS1_3repE0EEENS1_30default_config_static_selectorELNS0_4arch9wavefront6targetE1EEEvT1_.kd
    .uniform_work_group_size: 1
    .uses_dynamic_stack: false
    .vgpr_count:     0
    .vgpr_spill_count: 0
    .wavefront_size: 64
  - .agpr_count:     0
    .args:
      - .offset:         0
        .size:           56
        .value_kind:     by_value
    .group_segment_fixed_size: 3072
    .kernarg_segment_align: 8
    .kernarg_segment_size: 56
    .language:       OpenCL C
    .language_version:
      - 2
      - 0
    .max_flat_workgroup_size: 256
    .name:           _ZN7rocprim17ROCPRIM_400000_NS6detail17trampoline_kernelINS0_14default_configENS1_35adjacent_difference_config_selectorILb1EfEEZNS1_24adjacent_difference_implIS3_Lb1ELb0EPfS7_N6thrust23THRUST_200600_302600_NS4plusIfEEEE10hipError_tPvRmT2_T3_mT4_P12ihipStream_tbEUlT_E_NS1_11comp_targetILNS1_3genE5ELNS1_11target_archE942ELNS1_3gpuE9ELNS1_3repE0EEENS1_30default_config_static_selectorELNS0_4arch9wavefront6targetE1EEEvT1_
    .private_segment_fixed_size: 0
    .sgpr_count:     35
    .sgpr_spill_count: 0
    .symbol:         _ZN7rocprim17ROCPRIM_400000_NS6detail17trampoline_kernelINS0_14default_configENS1_35adjacent_difference_config_selectorILb1EfEEZNS1_24adjacent_difference_implIS3_Lb1ELb0EPfS7_N6thrust23THRUST_200600_302600_NS4plusIfEEEE10hipError_tPvRmT2_T3_mT4_P12ihipStream_tbEUlT_E_NS1_11comp_targetILNS1_3genE5ELNS1_11target_archE942ELNS1_3gpuE9ELNS1_3repE0EEENS1_30default_config_static_selectorELNS0_4arch9wavefront6targetE1EEEvT1_.kd
    .uniform_work_group_size: 1
    .uses_dynamic_stack: false
    .vgpr_count:     12
    .vgpr_spill_count: 0
    .wavefront_size: 64
  - .agpr_count:     0
    .args:
      - .offset:         0
        .size:           56
        .value_kind:     by_value
    .group_segment_fixed_size: 0
    .kernarg_segment_align: 8
    .kernarg_segment_size: 56
    .language:       OpenCL C
    .language_version:
      - 2
      - 0
    .max_flat_workgroup_size: 512
    .name:           _ZN7rocprim17ROCPRIM_400000_NS6detail17trampoline_kernelINS0_14default_configENS1_35adjacent_difference_config_selectorILb1EfEEZNS1_24adjacent_difference_implIS3_Lb1ELb0EPfS7_N6thrust23THRUST_200600_302600_NS4plusIfEEEE10hipError_tPvRmT2_T3_mT4_P12ihipStream_tbEUlT_E_NS1_11comp_targetILNS1_3genE4ELNS1_11target_archE910ELNS1_3gpuE8ELNS1_3repE0EEENS1_30default_config_static_selectorELNS0_4arch9wavefront6targetE1EEEvT1_
    .private_segment_fixed_size: 0
    .sgpr_count:     6
    .sgpr_spill_count: 0
    .symbol:         _ZN7rocprim17ROCPRIM_400000_NS6detail17trampoline_kernelINS0_14default_configENS1_35adjacent_difference_config_selectorILb1EfEEZNS1_24adjacent_difference_implIS3_Lb1ELb0EPfS7_N6thrust23THRUST_200600_302600_NS4plusIfEEEE10hipError_tPvRmT2_T3_mT4_P12ihipStream_tbEUlT_E_NS1_11comp_targetILNS1_3genE4ELNS1_11target_archE910ELNS1_3gpuE8ELNS1_3repE0EEENS1_30default_config_static_selectorELNS0_4arch9wavefront6targetE1EEEvT1_.kd
    .uniform_work_group_size: 1
    .uses_dynamic_stack: false
    .vgpr_count:     0
    .vgpr_spill_count: 0
    .wavefront_size: 64
  - .agpr_count:     0
    .args:
      - .offset:         0
        .size:           56
        .value_kind:     by_value
    .group_segment_fixed_size: 0
    .kernarg_segment_align: 8
    .kernarg_segment_size: 56
    .language:       OpenCL C
    .language_version:
      - 2
      - 0
    .max_flat_workgroup_size: 1024
    .name:           _ZN7rocprim17ROCPRIM_400000_NS6detail17trampoline_kernelINS0_14default_configENS1_35adjacent_difference_config_selectorILb1EfEEZNS1_24adjacent_difference_implIS3_Lb1ELb0EPfS7_N6thrust23THRUST_200600_302600_NS4plusIfEEEE10hipError_tPvRmT2_T3_mT4_P12ihipStream_tbEUlT_E_NS1_11comp_targetILNS1_3genE3ELNS1_11target_archE908ELNS1_3gpuE7ELNS1_3repE0EEENS1_30default_config_static_selectorELNS0_4arch9wavefront6targetE1EEEvT1_
    .private_segment_fixed_size: 0
    .sgpr_count:     6
    .sgpr_spill_count: 0
    .symbol:         _ZN7rocprim17ROCPRIM_400000_NS6detail17trampoline_kernelINS0_14default_configENS1_35adjacent_difference_config_selectorILb1EfEEZNS1_24adjacent_difference_implIS3_Lb1ELb0EPfS7_N6thrust23THRUST_200600_302600_NS4plusIfEEEE10hipError_tPvRmT2_T3_mT4_P12ihipStream_tbEUlT_E_NS1_11comp_targetILNS1_3genE3ELNS1_11target_archE908ELNS1_3gpuE7ELNS1_3repE0EEENS1_30default_config_static_selectorELNS0_4arch9wavefront6targetE1EEEvT1_.kd
    .uniform_work_group_size: 1
    .uses_dynamic_stack: false
    .vgpr_count:     0
    .vgpr_spill_count: 0
    .wavefront_size: 64
  - .agpr_count:     0
    .args:
      - .offset:         0
        .size:           56
        .value_kind:     by_value
    .group_segment_fixed_size: 0
    .kernarg_segment_align: 8
    .kernarg_segment_size: 56
    .language:       OpenCL C
    .language_version:
      - 2
      - 0
    .max_flat_workgroup_size: 256
    .name:           _ZN7rocprim17ROCPRIM_400000_NS6detail17trampoline_kernelINS0_14default_configENS1_35adjacent_difference_config_selectorILb1EfEEZNS1_24adjacent_difference_implIS3_Lb1ELb0EPfS7_N6thrust23THRUST_200600_302600_NS4plusIfEEEE10hipError_tPvRmT2_T3_mT4_P12ihipStream_tbEUlT_E_NS1_11comp_targetILNS1_3genE2ELNS1_11target_archE906ELNS1_3gpuE6ELNS1_3repE0EEENS1_30default_config_static_selectorELNS0_4arch9wavefront6targetE1EEEvT1_
    .private_segment_fixed_size: 0
    .sgpr_count:     6
    .sgpr_spill_count: 0
    .symbol:         _ZN7rocprim17ROCPRIM_400000_NS6detail17trampoline_kernelINS0_14default_configENS1_35adjacent_difference_config_selectorILb1EfEEZNS1_24adjacent_difference_implIS3_Lb1ELb0EPfS7_N6thrust23THRUST_200600_302600_NS4plusIfEEEE10hipError_tPvRmT2_T3_mT4_P12ihipStream_tbEUlT_E_NS1_11comp_targetILNS1_3genE2ELNS1_11target_archE906ELNS1_3gpuE6ELNS1_3repE0EEENS1_30default_config_static_selectorELNS0_4arch9wavefront6targetE1EEEvT1_.kd
    .uniform_work_group_size: 1
    .uses_dynamic_stack: false
    .vgpr_count:     0
    .vgpr_spill_count: 0
    .wavefront_size: 64
  - .agpr_count:     0
    .args:
      - .offset:         0
        .size:           56
        .value_kind:     by_value
    .group_segment_fixed_size: 0
    .kernarg_segment_align: 8
    .kernarg_segment_size: 56
    .language:       OpenCL C
    .language_version:
      - 2
      - 0
    .max_flat_workgroup_size: 128
    .name:           _ZN7rocprim17ROCPRIM_400000_NS6detail17trampoline_kernelINS0_14default_configENS1_35adjacent_difference_config_selectorILb1EfEEZNS1_24adjacent_difference_implIS3_Lb1ELb0EPfS7_N6thrust23THRUST_200600_302600_NS4plusIfEEEE10hipError_tPvRmT2_T3_mT4_P12ihipStream_tbEUlT_E_NS1_11comp_targetILNS1_3genE9ELNS1_11target_archE1100ELNS1_3gpuE3ELNS1_3repE0EEENS1_30default_config_static_selectorELNS0_4arch9wavefront6targetE1EEEvT1_
    .private_segment_fixed_size: 0
    .sgpr_count:     6
    .sgpr_spill_count: 0
    .symbol:         _ZN7rocprim17ROCPRIM_400000_NS6detail17trampoline_kernelINS0_14default_configENS1_35adjacent_difference_config_selectorILb1EfEEZNS1_24adjacent_difference_implIS3_Lb1ELb0EPfS7_N6thrust23THRUST_200600_302600_NS4plusIfEEEE10hipError_tPvRmT2_T3_mT4_P12ihipStream_tbEUlT_E_NS1_11comp_targetILNS1_3genE9ELNS1_11target_archE1100ELNS1_3gpuE3ELNS1_3repE0EEENS1_30default_config_static_selectorELNS0_4arch9wavefront6targetE1EEEvT1_.kd
    .uniform_work_group_size: 1
    .uses_dynamic_stack: false
    .vgpr_count:     0
    .vgpr_spill_count: 0
    .wavefront_size: 64
  - .agpr_count:     0
    .args:
      - .offset:         0
        .size:           56
        .value_kind:     by_value
    .group_segment_fixed_size: 0
    .kernarg_segment_align: 8
    .kernarg_segment_size: 56
    .language:       OpenCL C
    .language_version:
      - 2
      - 0
    .max_flat_workgroup_size: 32
    .name:           _ZN7rocprim17ROCPRIM_400000_NS6detail17trampoline_kernelINS0_14default_configENS1_35adjacent_difference_config_selectorILb1EfEEZNS1_24adjacent_difference_implIS3_Lb1ELb0EPfS7_N6thrust23THRUST_200600_302600_NS4plusIfEEEE10hipError_tPvRmT2_T3_mT4_P12ihipStream_tbEUlT_E_NS1_11comp_targetILNS1_3genE8ELNS1_11target_archE1030ELNS1_3gpuE2ELNS1_3repE0EEENS1_30default_config_static_selectorELNS0_4arch9wavefront6targetE1EEEvT1_
    .private_segment_fixed_size: 0
    .sgpr_count:     6
    .sgpr_spill_count: 0
    .symbol:         _ZN7rocprim17ROCPRIM_400000_NS6detail17trampoline_kernelINS0_14default_configENS1_35adjacent_difference_config_selectorILb1EfEEZNS1_24adjacent_difference_implIS3_Lb1ELb0EPfS7_N6thrust23THRUST_200600_302600_NS4plusIfEEEE10hipError_tPvRmT2_T3_mT4_P12ihipStream_tbEUlT_E_NS1_11comp_targetILNS1_3genE8ELNS1_11target_archE1030ELNS1_3gpuE2ELNS1_3repE0EEENS1_30default_config_static_selectorELNS0_4arch9wavefront6targetE1EEEvT1_.kd
    .uniform_work_group_size: 1
    .uses_dynamic_stack: false
    .vgpr_count:     0
    .vgpr_spill_count: 0
    .wavefront_size: 64
  - .agpr_count:     0
    .args:
      - .offset:         0
        .size:           16
        .value_kind:     by_value
      - .offset:         16
        .size:           8
        .value_kind:     by_value
      - .offset:         24
        .size:           8
        .value_kind:     by_value
    .group_segment_fixed_size: 0
    .kernarg_segment_align: 8
    .kernarg_segment_size: 32
    .language:       OpenCL C
    .language_version:
      - 2
      - 0
    .max_flat_workgroup_size: 256
    .name:           _ZN6thrust23THRUST_200600_302600_NS11hip_rocprim14__parallel_for6kernelILj256ENS1_10for_each_fINS0_10device_ptrI14custom_numericEENS0_6detail16wrapped_functionINS8_23allocator_traits_detail24construct1_via_allocatorINS0_16device_allocatorIS6_EEEEvEEEEmLj1EEEvT0_T1_SI_
    .private_segment_fixed_size: 0
    .sgpr_count:     14
    .sgpr_spill_count: 0
    .symbol:         _ZN6thrust23THRUST_200600_302600_NS11hip_rocprim14__parallel_for6kernelILj256ENS1_10for_each_fINS0_10device_ptrI14custom_numericEENS0_6detail16wrapped_functionINS8_23allocator_traits_detail24construct1_via_allocatorINS0_16device_allocatorIS6_EEEEvEEEEmLj1EEEvT0_T1_SI_.kd
    .uniform_work_group_size: 1
    .uses_dynamic_stack: false
    .vgpr_count:     6
    .vgpr_spill_count: 0
    .wavefront_size: 64
  - .agpr_count:     0
    .args:
      - .offset:         0
        .size:           16
        .value_kind:     by_value
      - .offset:         16
        .size:           8
        .value_kind:     by_value
      - .offset:         24
        .size:           8
        .value_kind:     by_value
    .group_segment_fixed_size: 0
    .kernarg_segment_align: 8
    .kernarg_segment_size: 32
    .language:       OpenCL C
    .language_version:
      - 2
      - 0
    .max_flat_workgroup_size: 256
    .name:           _ZN6thrust23THRUST_200600_302600_NS11hip_rocprim14__parallel_for6kernelILj256ENS1_10for_each_fINS0_10device_ptrI14custom_numericEENS0_6detail16wrapped_functionINS8_23allocator_traits_detail5gozerEvEEEElLj1EEEvT0_T1_SF_
    .private_segment_fixed_size: 0
    .sgpr_count:     6
    .sgpr_spill_count: 0
    .symbol:         _ZN6thrust23THRUST_200600_302600_NS11hip_rocprim14__parallel_for6kernelILj256ENS1_10for_each_fINS0_10device_ptrI14custom_numericEENS0_6detail16wrapped_functionINS8_23allocator_traits_detail5gozerEvEEEElLj1EEEvT0_T1_SF_.kd
    .uniform_work_group_size: 1
    .uses_dynamic_stack: false
    .vgpr_count:     0
    .vgpr_spill_count: 0
    .wavefront_size: 64
  - .agpr_count:     0
    .args:
      - .offset:         0
        .size:           16
        .value_kind:     by_value
      - .offset:         16
        .size:           8
        .value_kind:     by_value
      - .offset:         24
        .size:           8
        .value_kind:     by_value
    .group_segment_fixed_size: 0
    .kernarg_segment_align: 8
    .kernarg_segment_size: 32
    .language:       OpenCL C
    .language_version:
      - 2
      - 0
    .max_flat_workgroup_size: 256
    .name:           _ZN6thrust23THRUST_200600_302600_NS11hip_rocprim14__parallel_for6kernelILj256ENS1_10for_each_fINS0_7pointerI14custom_numericNS1_3tagENS0_11use_defaultES8_EENS0_6detail16wrapped_functionINSA_23allocator_traits_detail24construct1_via_allocatorINSA_18no_throw_allocatorINSA_19temporary_allocatorIS6_S7_EEEEEEvEEEEmLj1EEEvT0_T1_SM_
    .private_segment_fixed_size: 0
    .sgpr_count:     14
    .sgpr_spill_count: 0
    .symbol:         _ZN6thrust23THRUST_200600_302600_NS11hip_rocprim14__parallel_for6kernelILj256ENS1_10for_each_fINS0_7pointerI14custom_numericNS1_3tagENS0_11use_defaultES8_EENS0_6detail16wrapped_functionINSA_23allocator_traits_detail24construct1_via_allocatorINSA_18no_throw_allocatorINSA_19temporary_allocatorIS6_S7_EEEEEEvEEEEmLj1EEEvT0_T1_SM_.kd
    .uniform_work_group_size: 1
    .uses_dynamic_stack: false
    .vgpr_count:     6
    .vgpr_spill_count: 0
    .wavefront_size: 64
  - .agpr_count:     0
    .args:
      - .offset:         0
        .size:           16
        .value_kind:     by_value
      - .offset:         16
        .size:           8
        .value_kind:     by_value
      - .offset:         24
        .size:           8
        .value_kind:     by_value
    .group_segment_fixed_size: 0
    .kernarg_segment_align: 8
    .kernarg_segment_size: 32
    .language:       OpenCL C
    .language_version:
      - 2
      - 0
    .max_flat_workgroup_size: 256
    .name:           _ZN6thrust23THRUST_200600_302600_NS11hip_rocprim14__parallel_for6kernelILj256ENS1_10for_each_fINS0_7pointerI14custom_numericNS1_3tagENS0_11use_defaultES8_EENS0_6detail16wrapped_functionINSA_23allocator_traits_detail5gozerEvEEEElLj1EEEvT0_T1_SH_
    .private_segment_fixed_size: 0
    .sgpr_count:     6
    .sgpr_spill_count: 0
    .symbol:         _ZN6thrust23THRUST_200600_302600_NS11hip_rocprim14__parallel_for6kernelILj256ENS1_10for_each_fINS0_7pointerI14custom_numericNS1_3tagENS0_11use_defaultES8_EENS0_6detail16wrapped_functionINSA_23allocator_traits_detail5gozerEvEEEElLj1EEEvT0_T1_SH_.kd
    .uniform_work_group_size: 1
    .uses_dynamic_stack: false
    .vgpr_count:     0
    .vgpr_spill_count: 0
    .wavefront_size: 64
  - .agpr_count:     0
    .args:
      - .offset:         0
        .size:           24
        .value_kind:     by_value
      - .offset:         24
        .size:           8
        .value_kind:     by_value
      - .offset:         32
        .size:           8
        .value_kind:     by_value
    .group_segment_fixed_size: 0
    .kernarg_segment_align: 8
    .kernarg_segment_size: 40
    .language:       OpenCL C
    .language_version:
      - 2
      - 0
    .max_flat_workgroup_size: 256
    .name:           _ZN6thrust23THRUST_200600_302600_NS11hip_rocprim14__parallel_for6kernelILj256ENS1_11__transform17unary_transform_fINS0_7pointerI14custom_numericNS1_3tagENS0_11use_defaultES9_EENS0_10device_ptrIS7_EENS4_14no_stencil_tagENS0_8identityIS7_EENS4_21always_true_predicateEEElLj1EEEvT0_T1_SJ_
    .private_segment_fixed_size: 0
    .sgpr_count:     14
    .sgpr_spill_count: 0
    .symbol:         _ZN6thrust23THRUST_200600_302600_NS11hip_rocprim14__parallel_for6kernelILj256ENS1_11__transform17unary_transform_fINS0_7pointerI14custom_numericNS1_3tagENS0_11use_defaultES9_EENS0_10device_ptrIS7_EENS4_14no_stencil_tagENS0_8identityIS7_EENS4_21always_true_predicateEEElLj1EEEvT0_T1_SJ_.kd
    .uniform_work_group_size: 1
    .uses_dynamic_stack: false
    .vgpr_count:     6
    .vgpr_spill_count: 0
    .wavefront_size: 64
  - .agpr_count:     0
    .args:
      - .offset:         0
        .size:           16
        .value_kind:     by_value
      - .offset:         16
        .size:           8
        .value_kind:     by_value
      - .offset:         24
        .size:           8
        .value_kind:     by_value
    .group_segment_fixed_size: 0
    .kernarg_segment_align: 8
    .kernarg_segment_size: 32
    .language:       OpenCL C
    .language_version:
      - 2
      - 0
    .max_flat_workgroup_size: 256
    .name:           _ZN6thrust23THRUST_200600_302600_NS11hip_rocprim14__parallel_for6kernelILj256ENS1_20__uninitialized_copy7functorINS0_7pointerI14custom_numericNS1_3tagENS0_11use_defaultES9_EESA_EEmLj1EEEvT0_T1_SD_
    .private_segment_fixed_size: 0
    .sgpr_count:     18
    .sgpr_spill_count: 0
    .symbol:         _ZN6thrust23THRUST_200600_302600_NS11hip_rocprim14__parallel_for6kernelILj256ENS1_20__uninitialized_copy7functorINS0_7pointerI14custom_numericNS1_3tagENS0_11use_defaultES9_EESA_EEmLj1EEEvT0_T1_SD_.kd
    .uniform_work_group_size: 1
    .uses_dynamic_stack: false
    .vgpr_count:     7
    .vgpr_spill_count: 0
    .wavefront_size: 64
  - .agpr_count:     0
    .args:
      - .offset:         0
        .size:           56
        .value_kind:     by_value
    .group_segment_fixed_size: 0
    .kernarg_segment_align: 8
    .kernarg_segment_size: 56
    .language:       OpenCL C
    .language_version:
      - 2
      - 0
    .max_flat_workgroup_size: 256
    .name:           _ZN7rocprim17ROCPRIM_400000_NS6detail17trampoline_kernelINS0_14default_configENS1_35adjacent_difference_config_selectorILb0E14custom_numericEEZNS1_24adjacent_difference_implIS3_Lb0ELb0EPS5_S8_N6thrust23THRUST_200600_302600_NS5minusIS5_EEEE10hipError_tPvRmT2_T3_mT4_P12ihipStream_tbEUlT_E_NS1_11comp_targetILNS1_3genE0ELNS1_11target_archE4294967295ELNS1_3gpuE0ELNS1_3repE0EEENS1_30default_config_static_selectorELNS0_4arch9wavefront6targetE1EEEvT1_
    .private_segment_fixed_size: 0
    .sgpr_count:     6
    .sgpr_spill_count: 0
    .symbol:         _ZN7rocprim17ROCPRIM_400000_NS6detail17trampoline_kernelINS0_14default_configENS1_35adjacent_difference_config_selectorILb0E14custom_numericEEZNS1_24adjacent_difference_implIS3_Lb0ELb0EPS5_S8_N6thrust23THRUST_200600_302600_NS5minusIS5_EEEE10hipError_tPvRmT2_T3_mT4_P12ihipStream_tbEUlT_E_NS1_11comp_targetILNS1_3genE0ELNS1_11target_archE4294967295ELNS1_3gpuE0ELNS1_3repE0EEENS1_30default_config_static_selectorELNS0_4arch9wavefront6targetE1EEEvT1_.kd
    .uniform_work_group_size: 1
    .uses_dynamic_stack: false
    .vgpr_count:     0
    .vgpr_spill_count: 0
    .wavefront_size: 64
  - .agpr_count:     0
    .args:
      - .offset:         0
        .size:           56
        .value_kind:     by_value
    .group_segment_fixed_size: 0
    .kernarg_segment_align: 8
    .kernarg_segment_size: 56
    .language:       OpenCL C
    .language_version:
      - 2
      - 0
    .max_flat_workgroup_size: 256
    .name:           _ZN7rocprim17ROCPRIM_400000_NS6detail17trampoline_kernelINS0_14default_configENS1_35adjacent_difference_config_selectorILb0E14custom_numericEEZNS1_24adjacent_difference_implIS3_Lb0ELb0EPS5_S8_N6thrust23THRUST_200600_302600_NS5minusIS5_EEEE10hipError_tPvRmT2_T3_mT4_P12ihipStream_tbEUlT_E_NS1_11comp_targetILNS1_3genE10ELNS1_11target_archE1201ELNS1_3gpuE5ELNS1_3repE0EEENS1_30default_config_static_selectorELNS0_4arch9wavefront6targetE1EEEvT1_
    .private_segment_fixed_size: 0
    .sgpr_count:     6
    .sgpr_spill_count: 0
    .symbol:         _ZN7rocprim17ROCPRIM_400000_NS6detail17trampoline_kernelINS0_14default_configENS1_35adjacent_difference_config_selectorILb0E14custom_numericEEZNS1_24adjacent_difference_implIS3_Lb0ELb0EPS5_S8_N6thrust23THRUST_200600_302600_NS5minusIS5_EEEE10hipError_tPvRmT2_T3_mT4_P12ihipStream_tbEUlT_E_NS1_11comp_targetILNS1_3genE10ELNS1_11target_archE1201ELNS1_3gpuE5ELNS1_3repE0EEENS1_30default_config_static_selectorELNS0_4arch9wavefront6targetE1EEEvT1_.kd
    .uniform_work_group_size: 1
    .uses_dynamic_stack: false
    .vgpr_count:     0
    .vgpr_spill_count: 0
    .wavefront_size: 64
  - .agpr_count:     0
    .args:
      - .offset:         0
        .size:           56
        .value_kind:     by_value
    .group_segment_fixed_size: 15360
    .kernarg_segment_align: 8
    .kernarg_segment_size: 56
    .language:       OpenCL C
    .language_version:
      - 2
      - 0
    .max_flat_workgroup_size: 256
    .name:           _ZN7rocprim17ROCPRIM_400000_NS6detail17trampoline_kernelINS0_14default_configENS1_35adjacent_difference_config_selectorILb0E14custom_numericEEZNS1_24adjacent_difference_implIS3_Lb0ELb0EPS5_S8_N6thrust23THRUST_200600_302600_NS5minusIS5_EEEE10hipError_tPvRmT2_T3_mT4_P12ihipStream_tbEUlT_E_NS1_11comp_targetILNS1_3genE5ELNS1_11target_archE942ELNS1_3gpuE9ELNS1_3repE0EEENS1_30default_config_static_selectorELNS0_4arch9wavefront6targetE1EEEvT1_
    .private_segment_fixed_size: 0
    .sgpr_count:     32
    .sgpr_spill_count: 0
    .symbol:         _ZN7rocprim17ROCPRIM_400000_NS6detail17trampoline_kernelINS0_14default_configENS1_35adjacent_difference_config_selectorILb0E14custom_numericEEZNS1_24adjacent_difference_implIS3_Lb0ELb0EPS5_S8_N6thrust23THRUST_200600_302600_NS5minusIS5_EEEE10hipError_tPvRmT2_T3_mT4_P12ihipStream_tbEUlT_E_NS1_11comp_targetILNS1_3genE5ELNS1_11target_archE942ELNS1_3gpuE9ELNS1_3repE0EEENS1_30default_config_static_selectorELNS0_4arch9wavefront6targetE1EEEvT1_.kd
    .uniform_work_group_size: 1
    .uses_dynamic_stack: false
    .vgpr_count:     16
    .vgpr_spill_count: 0
    .wavefront_size: 64
  - .agpr_count:     0
    .args:
      - .offset:         0
        .size:           56
        .value_kind:     by_value
    .group_segment_fixed_size: 0
    .kernarg_segment_align: 8
    .kernarg_segment_size: 56
    .language:       OpenCL C
    .language_version:
      - 2
      - 0
    .max_flat_workgroup_size: 256
    .name:           _ZN7rocprim17ROCPRIM_400000_NS6detail17trampoline_kernelINS0_14default_configENS1_35adjacent_difference_config_selectorILb0E14custom_numericEEZNS1_24adjacent_difference_implIS3_Lb0ELb0EPS5_S8_N6thrust23THRUST_200600_302600_NS5minusIS5_EEEE10hipError_tPvRmT2_T3_mT4_P12ihipStream_tbEUlT_E_NS1_11comp_targetILNS1_3genE4ELNS1_11target_archE910ELNS1_3gpuE8ELNS1_3repE0EEENS1_30default_config_static_selectorELNS0_4arch9wavefront6targetE1EEEvT1_
    .private_segment_fixed_size: 0
    .sgpr_count:     6
    .sgpr_spill_count: 0
    .symbol:         _ZN7rocprim17ROCPRIM_400000_NS6detail17trampoline_kernelINS0_14default_configENS1_35adjacent_difference_config_selectorILb0E14custom_numericEEZNS1_24adjacent_difference_implIS3_Lb0ELb0EPS5_S8_N6thrust23THRUST_200600_302600_NS5minusIS5_EEEE10hipError_tPvRmT2_T3_mT4_P12ihipStream_tbEUlT_E_NS1_11comp_targetILNS1_3genE4ELNS1_11target_archE910ELNS1_3gpuE8ELNS1_3repE0EEENS1_30default_config_static_selectorELNS0_4arch9wavefront6targetE1EEEvT1_.kd
    .uniform_work_group_size: 1
    .uses_dynamic_stack: false
    .vgpr_count:     0
    .vgpr_spill_count: 0
    .wavefront_size: 64
  - .agpr_count:     0
    .args:
      - .offset:         0
        .size:           56
        .value_kind:     by_value
    .group_segment_fixed_size: 0
    .kernarg_segment_align: 8
    .kernarg_segment_size: 56
    .language:       OpenCL C
    .language_version:
      - 2
      - 0
    .max_flat_workgroup_size: 256
    .name:           _ZN7rocprim17ROCPRIM_400000_NS6detail17trampoline_kernelINS0_14default_configENS1_35adjacent_difference_config_selectorILb0E14custom_numericEEZNS1_24adjacent_difference_implIS3_Lb0ELb0EPS5_S8_N6thrust23THRUST_200600_302600_NS5minusIS5_EEEE10hipError_tPvRmT2_T3_mT4_P12ihipStream_tbEUlT_E_NS1_11comp_targetILNS1_3genE3ELNS1_11target_archE908ELNS1_3gpuE7ELNS1_3repE0EEENS1_30default_config_static_selectorELNS0_4arch9wavefront6targetE1EEEvT1_
    .private_segment_fixed_size: 0
    .sgpr_count:     6
    .sgpr_spill_count: 0
    .symbol:         _ZN7rocprim17ROCPRIM_400000_NS6detail17trampoline_kernelINS0_14default_configENS1_35adjacent_difference_config_selectorILb0E14custom_numericEEZNS1_24adjacent_difference_implIS3_Lb0ELb0EPS5_S8_N6thrust23THRUST_200600_302600_NS5minusIS5_EEEE10hipError_tPvRmT2_T3_mT4_P12ihipStream_tbEUlT_E_NS1_11comp_targetILNS1_3genE3ELNS1_11target_archE908ELNS1_3gpuE7ELNS1_3repE0EEENS1_30default_config_static_selectorELNS0_4arch9wavefront6targetE1EEEvT1_.kd
    .uniform_work_group_size: 1
    .uses_dynamic_stack: false
    .vgpr_count:     0
    .vgpr_spill_count: 0
    .wavefront_size: 64
  - .agpr_count:     0
    .args:
      - .offset:         0
        .size:           56
        .value_kind:     by_value
    .group_segment_fixed_size: 0
    .kernarg_segment_align: 8
    .kernarg_segment_size: 56
    .language:       OpenCL C
    .language_version:
      - 2
      - 0
    .max_flat_workgroup_size: 256
    .name:           _ZN7rocprim17ROCPRIM_400000_NS6detail17trampoline_kernelINS0_14default_configENS1_35adjacent_difference_config_selectorILb0E14custom_numericEEZNS1_24adjacent_difference_implIS3_Lb0ELb0EPS5_S8_N6thrust23THRUST_200600_302600_NS5minusIS5_EEEE10hipError_tPvRmT2_T3_mT4_P12ihipStream_tbEUlT_E_NS1_11comp_targetILNS1_3genE2ELNS1_11target_archE906ELNS1_3gpuE6ELNS1_3repE0EEENS1_30default_config_static_selectorELNS0_4arch9wavefront6targetE1EEEvT1_
    .private_segment_fixed_size: 0
    .sgpr_count:     6
    .sgpr_spill_count: 0
    .symbol:         _ZN7rocprim17ROCPRIM_400000_NS6detail17trampoline_kernelINS0_14default_configENS1_35adjacent_difference_config_selectorILb0E14custom_numericEEZNS1_24adjacent_difference_implIS3_Lb0ELb0EPS5_S8_N6thrust23THRUST_200600_302600_NS5minusIS5_EEEE10hipError_tPvRmT2_T3_mT4_P12ihipStream_tbEUlT_E_NS1_11comp_targetILNS1_3genE2ELNS1_11target_archE906ELNS1_3gpuE6ELNS1_3repE0EEENS1_30default_config_static_selectorELNS0_4arch9wavefront6targetE1EEEvT1_.kd
    .uniform_work_group_size: 1
    .uses_dynamic_stack: false
    .vgpr_count:     0
    .vgpr_spill_count: 0
    .wavefront_size: 64
  - .agpr_count:     0
    .args:
      - .offset:         0
        .size:           56
        .value_kind:     by_value
    .group_segment_fixed_size: 0
    .kernarg_segment_align: 8
    .kernarg_segment_size: 56
    .language:       OpenCL C
    .language_version:
      - 2
      - 0
    .max_flat_workgroup_size: 256
    .name:           _ZN7rocprim17ROCPRIM_400000_NS6detail17trampoline_kernelINS0_14default_configENS1_35adjacent_difference_config_selectorILb0E14custom_numericEEZNS1_24adjacent_difference_implIS3_Lb0ELb0EPS5_S8_N6thrust23THRUST_200600_302600_NS5minusIS5_EEEE10hipError_tPvRmT2_T3_mT4_P12ihipStream_tbEUlT_E_NS1_11comp_targetILNS1_3genE9ELNS1_11target_archE1100ELNS1_3gpuE3ELNS1_3repE0EEENS1_30default_config_static_selectorELNS0_4arch9wavefront6targetE1EEEvT1_
    .private_segment_fixed_size: 0
    .sgpr_count:     6
    .sgpr_spill_count: 0
    .symbol:         _ZN7rocprim17ROCPRIM_400000_NS6detail17trampoline_kernelINS0_14default_configENS1_35adjacent_difference_config_selectorILb0E14custom_numericEEZNS1_24adjacent_difference_implIS3_Lb0ELb0EPS5_S8_N6thrust23THRUST_200600_302600_NS5minusIS5_EEEE10hipError_tPvRmT2_T3_mT4_P12ihipStream_tbEUlT_E_NS1_11comp_targetILNS1_3genE9ELNS1_11target_archE1100ELNS1_3gpuE3ELNS1_3repE0EEENS1_30default_config_static_selectorELNS0_4arch9wavefront6targetE1EEEvT1_.kd
    .uniform_work_group_size: 1
    .uses_dynamic_stack: false
    .vgpr_count:     0
    .vgpr_spill_count: 0
    .wavefront_size: 64
  - .agpr_count:     0
    .args:
      - .offset:         0
        .size:           56
        .value_kind:     by_value
    .group_segment_fixed_size: 0
    .kernarg_segment_align: 8
    .kernarg_segment_size: 56
    .language:       OpenCL C
    .language_version:
      - 2
      - 0
    .max_flat_workgroup_size: 256
    .name:           _ZN7rocprim17ROCPRIM_400000_NS6detail17trampoline_kernelINS0_14default_configENS1_35adjacent_difference_config_selectorILb0E14custom_numericEEZNS1_24adjacent_difference_implIS3_Lb0ELb0EPS5_S8_N6thrust23THRUST_200600_302600_NS5minusIS5_EEEE10hipError_tPvRmT2_T3_mT4_P12ihipStream_tbEUlT_E_NS1_11comp_targetILNS1_3genE8ELNS1_11target_archE1030ELNS1_3gpuE2ELNS1_3repE0EEENS1_30default_config_static_selectorELNS0_4arch9wavefront6targetE1EEEvT1_
    .private_segment_fixed_size: 0
    .sgpr_count:     6
    .sgpr_spill_count: 0
    .symbol:         _ZN7rocprim17ROCPRIM_400000_NS6detail17trampoline_kernelINS0_14default_configENS1_35adjacent_difference_config_selectorILb0E14custom_numericEEZNS1_24adjacent_difference_implIS3_Lb0ELb0EPS5_S8_N6thrust23THRUST_200600_302600_NS5minusIS5_EEEE10hipError_tPvRmT2_T3_mT4_P12ihipStream_tbEUlT_E_NS1_11comp_targetILNS1_3genE8ELNS1_11target_archE1030ELNS1_3gpuE2ELNS1_3repE0EEENS1_30default_config_static_selectorELNS0_4arch9wavefront6targetE1EEEvT1_.kd
    .uniform_work_group_size: 1
    .uses_dynamic_stack: false
    .vgpr_count:     0
    .vgpr_spill_count: 0
    .wavefront_size: 64
  - .agpr_count:     0
    .args:
      - .offset:         0
        .size:           56
        .value_kind:     by_value
    .group_segment_fixed_size: 0
    .kernarg_segment_align: 8
    .kernarg_segment_size: 56
    .language:       OpenCL C
    .language_version:
      - 2
      - 0
    .max_flat_workgroup_size: 256
    .name:           _ZN7rocprim17ROCPRIM_400000_NS6detail17trampoline_kernelINS0_14default_configENS1_25transform_config_selectorI14custom_numericLb0EEEZNS1_14transform_implILb0ES3_S6_NS0_18transform_iteratorINS0_17counting_iteratorImlEEZNS1_24adjacent_difference_implIS3_Lb1ELb0EPS5_SC_N6thrust23THRUST_200600_302600_NS5minusIS5_EEEE10hipError_tPvRmT2_T3_mT4_P12ihipStream_tbEUlmE_S5_EESC_NS0_8identityIvEEEESH_SK_SL_mSM_SO_bEUlT_E_NS1_11comp_targetILNS1_3genE0ELNS1_11target_archE4294967295ELNS1_3gpuE0ELNS1_3repE0EEENS1_30default_config_static_selectorELNS0_4arch9wavefront6targetE1EEEvT1_
    .private_segment_fixed_size: 0
    .sgpr_count:     6
    .sgpr_spill_count: 0
    .symbol:         _ZN7rocprim17ROCPRIM_400000_NS6detail17trampoline_kernelINS0_14default_configENS1_25transform_config_selectorI14custom_numericLb0EEEZNS1_14transform_implILb0ES3_S6_NS0_18transform_iteratorINS0_17counting_iteratorImlEEZNS1_24adjacent_difference_implIS3_Lb1ELb0EPS5_SC_N6thrust23THRUST_200600_302600_NS5minusIS5_EEEE10hipError_tPvRmT2_T3_mT4_P12ihipStream_tbEUlmE_S5_EESC_NS0_8identityIvEEEESH_SK_SL_mSM_SO_bEUlT_E_NS1_11comp_targetILNS1_3genE0ELNS1_11target_archE4294967295ELNS1_3gpuE0ELNS1_3repE0EEENS1_30default_config_static_selectorELNS0_4arch9wavefront6targetE1EEEvT1_.kd
    .uniform_work_group_size: 1
    .uses_dynamic_stack: false
    .vgpr_count:     0
    .vgpr_spill_count: 0
    .wavefront_size: 64
  - .agpr_count:     0
    .args:
      - .offset:         0
        .size:           56
        .value_kind:     by_value
      - .offset:         56
        .size:           4
        .value_kind:     hidden_block_count_x
      - .offset:         60
        .size:           4
        .value_kind:     hidden_block_count_y
      - .offset:         64
        .size:           4
        .value_kind:     hidden_block_count_z
      - .offset:         68
        .size:           2
        .value_kind:     hidden_group_size_x
      - .offset:         70
        .size:           2
        .value_kind:     hidden_group_size_y
      - .offset:         72
        .size:           2
        .value_kind:     hidden_group_size_z
      - .offset:         74
        .size:           2
        .value_kind:     hidden_remainder_x
      - .offset:         76
        .size:           2
        .value_kind:     hidden_remainder_y
      - .offset:         78
        .size:           2
        .value_kind:     hidden_remainder_z
      - .offset:         96
        .size:           8
        .value_kind:     hidden_global_offset_x
      - .offset:         104
        .size:           8
        .value_kind:     hidden_global_offset_y
      - .offset:         112
        .size:           8
        .value_kind:     hidden_global_offset_z
      - .offset:         120
        .size:           2
        .value_kind:     hidden_grid_dims
    .group_segment_fixed_size: 0
    .kernarg_segment_align: 8
    .kernarg_segment_size: 312
    .language:       OpenCL C
    .language_version:
      - 2
      - 0
    .max_flat_workgroup_size: 256
    .name:           _ZN7rocprim17ROCPRIM_400000_NS6detail17trampoline_kernelINS0_14default_configENS1_25transform_config_selectorI14custom_numericLb0EEEZNS1_14transform_implILb0ES3_S6_NS0_18transform_iteratorINS0_17counting_iteratorImlEEZNS1_24adjacent_difference_implIS3_Lb1ELb0EPS5_SC_N6thrust23THRUST_200600_302600_NS5minusIS5_EEEE10hipError_tPvRmT2_T3_mT4_P12ihipStream_tbEUlmE_S5_EESC_NS0_8identityIvEEEESH_SK_SL_mSM_SO_bEUlT_E_NS1_11comp_targetILNS1_3genE5ELNS1_11target_archE942ELNS1_3gpuE9ELNS1_3repE0EEENS1_30default_config_static_selectorELNS0_4arch9wavefront6targetE1EEEvT1_
    .private_segment_fixed_size: 0
    .sgpr_count:     24
    .sgpr_spill_count: 0
    .symbol:         _ZN7rocprim17ROCPRIM_400000_NS6detail17trampoline_kernelINS0_14default_configENS1_25transform_config_selectorI14custom_numericLb0EEEZNS1_14transform_implILb0ES3_S6_NS0_18transform_iteratorINS0_17counting_iteratorImlEEZNS1_24adjacent_difference_implIS3_Lb1ELb0EPS5_SC_N6thrust23THRUST_200600_302600_NS5minusIS5_EEEE10hipError_tPvRmT2_T3_mT4_P12ihipStream_tbEUlmE_S5_EESC_NS0_8identityIvEEEESH_SK_SL_mSM_SO_bEUlT_E_NS1_11comp_targetILNS1_3genE5ELNS1_11target_archE942ELNS1_3gpuE9ELNS1_3repE0EEENS1_30default_config_static_selectorELNS0_4arch9wavefront6targetE1EEEvT1_.kd
    .uniform_work_group_size: 1
    .uses_dynamic_stack: false
    .vgpr_count:     16
    .vgpr_spill_count: 0
    .wavefront_size: 64
  - .agpr_count:     0
    .args:
      - .offset:         0
        .size:           56
        .value_kind:     by_value
    .group_segment_fixed_size: 0
    .kernarg_segment_align: 8
    .kernarg_segment_size: 56
    .language:       OpenCL C
    .language_version:
      - 2
      - 0
    .max_flat_workgroup_size: 256
    .name:           _ZN7rocprim17ROCPRIM_400000_NS6detail17trampoline_kernelINS0_14default_configENS1_25transform_config_selectorI14custom_numericLb0EEEZNS1_14transform_implILb0ES3_S6_NS0_18transform_iteratorINS0_17counting_iteratorImlEEZNS1_24adjacent_difference_implIS3_Lb1ELb0EPS5_SC_N6thrust23THRUST_200600_302600_NS5minusIS5_EEEE10hipError_tPvRmT2_T3_mT4_P12ihipStream_tbEUlmE_S5_EESC_NS0_8identityIvEEEESH_SK_SL_mSM_SO_bEUlT_E_NS1_11comp_targetILNS1_3genE4ELNS1_11target_archE910ELNS1_3gpuE8ELNS1_3repE0EEENS1_30default_config_static_selectorELNS0_4arch9wavefront6targetE1EEEvT1_
    .private_segment_fixed_size: 0
    .sgpr_count:     6
    .sgpr_spill_count: 0
    .symbol:         _ZN7rocprim17ROCPRIM_400000_NS6detail17trampoline_kernelINS0_14default_configENS1_25transform_config_selectorI14custom_numericLb0EEEZNS1_14transform_implILb0ES3_S6_NS0_18transform_iteratorINS0_17counting_iteratorImlEEZNS1_24adjacent_difference_implIS3_Lb1ELb0EPS5_SC_N6thrust23THRUST_200600_302600_NS5minusIS5_EEEE10hipError_tPvRmT2_T3_mT4_P12ihipStream_tbEUlmE_S5_EESC_NS0_8identityIvEEEESH_SK_SL_mSM_SO_bEUlT_E_NS1_11comp_targetILNS1_3genE4ELNS1_11target_archE910ELNS1_3gpuE8ELNS1_3repE0EEENS1_30default_config_static_selectorELNS0_4arch9wavefront6targetE1EEEvT1_.kd
    .uniform_work_group_size: 1
    .uses_dynamic_stack: false
    .vgpr_count:     0
    .vgpr_spill_count: 0
    .wavefront_size: 64
  - .agpr_count:     0
    .args:
      - .offset:         0
        .size:           56
        .value_kind:     by_value
    .group_segment_fixed_size: 0
    .kernarg_segment_align: 8
    .kernarg_segment_size: 56
    .language:       OpenCL C
    .language_version:
      - 2
      - 0
    .max_flat_workgroup_size: 256
    .name:           _ZN7rocprim17ROCPRIM_400000_NS6detail17trampoline_kernelINS0_14default_configENS1_25transform_config_selectorI14custom_numericLb0EEEZNS1_14transform_implILb0ES3_S6_NS0_18transform_iteratorINS0_17counting_iteratorImlEEZNS1_24adjacent_difference_implIS3_Lb1ELb0EPS5_SC_N6thrust23THRUST_200600_302600_NS5minusIS5_EEEE10hipError_tPvRmT2_T3_mT4_P12ihipStream_tbEUlmE_S5_EESC_NS0_8identityIvEEEESH_SK_SL_mSM_SO_bEUlT_E_NS1_11comp_targetILNS1_3genE3ELNS1_11target_archE908ELNS1_3gpuE7ELNS1_3repE0EEENS1_30default_config_static_selectorELNS0_4arch9wavefront6targetE1EEEvT1_
    .private_segment_fixed_size: 0
    .sgpr_count:     6
    .sgpr_spill_count: 0
    .symbol:         _ZN7rocprim17ROCPRIM_400000_NS6detail17trampoline_kernelINS0_14default_configENS1_25transform_config_selectorI14custom_numericLb0EEEZNS1_14transform_implILb0ES3_S6_NS0_18transform_iteratorINS0_17counting_iteratorImlEEZNS1_24adjacent_difference_implIS3_Lb1ELb0EPS5_SC_N6thrust23THRUST_200600_302600_NS5minusIS5_EEEE10hipError_tPvRmT2_T3_mT4_P12ihipStream_tbEUlmE_S5_EESC_NS0_8identityIvEEEESH_SK_SL_mSM_SO_bEUlT_E_NS1_11comp_targetILNS1_3genE3ELNS1_11target_archE908ELNS1_3gpuE7ELNS1_3repE0EEENS1_30default_config_static_selectorELNS0_4arch9wavefront6targetE1EEEvT1_.kd
    .uniform_work_group_size: 1
    .uses_dynamic_stack: false
    .vgpr_count:     0
    .vgpr_spill_count: 0
    .wavefront_size: 64
  - .agpr_count:     0
    .args:
      - .offset:         0
        .size:           56
        .value_kind:     by_value
    .group_segment_fixed_size: 0
    .kernarg_segment_align: 8
    .kernarg_segment_size: 56
    .language:       OpenCL C
    .language_version:
      - 2
      - 0
    .max_flat_workgroup_size: 256
    .name:           _ZN7rocprim17ROCPRIM_400000_NS6detail17trampoline_kernelINS0_14default_configENS1_25transform_config_selectorI14custom_numericLb0EEEZNS1_14transform_implILb0ES3_S6_NS0_18transform_iteratorINS0_17counting_iteratorImlEEZNS1_24adjacent_difference_implIS3_Lb1ELb0EPS5_SC_N6thrust23THRUST_200600_302600_NS5minusIS5_EEEE10hipError_tPvRmT2_T3_mT4_P12ihipStream_tbEUlmE_S5_EESC_NS0_8identityIvEEEESH_SK_SL_mSM_SO_bEUlT_E_NS1_11comp_targetILNS1_3genE2ELNS1_11target_archE906ELNS1_3gpuE6ELNS1_3repE0EEENS1_30default_config_static_selectorELNS0_4arch9wavefront6targetE1EEEvT1_
    .private_segment_fixed_size: 0
    .sgpr_count:     6
    .sgpr_spill_count: 0
    .symbol:         _ZN7rocprim17ROCPRIM_400000_NS6detail17trampoline_kernelINS0_14default_configENS1_25transform_config_selectorI14custom_numericLb0EEEZNS1_14transform_implILb0ES3_S6_NS0_18transform_iteratorINS0_17counting_iteratorImlEEZNS1_24adjacent_difference_implIS3_Lb1ELb0EPS5_SC_N6thrust23THRUST_200600_302600_NS5minusIS5_EEEE10hipError_tPvRmT2_T3_mT4_P12ihipStream_tbEUlmE_S5_EESC_NS0_8identityIvEEEESH_SK_SL_mSM_SO_bEUlT_E_NS1_11comp_targetILNS1_3genE2ELNS1_11target_archE906ELNS1_3gpuE6ELNS1_3repE0EEENS1_30default_config_static_selectorELNS0_4arch9wavefront6targetE1EEEvT1_.kd
    .uniform_work_group_size: 1
    .uses_dynamic_stack: false
    .vgpr_count:     0
    .vgpr_spill_count: 0
    .wavefront_size: 64
  - .agpr_count:     0
    .args:
      - .offset:         0
        .size:           56
        .value_kind:     by_value
    .group_segment_fixed_size: 0
    .kernarg_segment_align: 8
    .kernarg_segment_size: 56
    .language:       OpenCL C
    .language_version:
      - 2
      - 0
    .max_flat_workgroup_size: 256
    .name:           _ZN7rocprim17ROCPRIM_400000_NS6detail17trampoline_kernelINS0_14default_configENS1_25transform_config_selectorI14custom_numericLb0EEEZNS1_14transform_implILb0ES3_S6_NS0_18transform_iteratorINS0_17counting_iteratorImlEEZNS1_24adjacent_difference_implIS3_Lb1ELb0EPS5_SC_N6thrust23THRUST_200600_302600_NS5minusIS5_EEEE10hipError_tPvRmT2_T3_mT4_P12ihipStream_tbEUlmE_S5_EESC_NS0_8identityIvEEEESH_SK_SL_mSM_SO_bEUlT_E_NS1_11comp_targetILNS1_3genE10ELNS1_11target_archE1201ELNS1_3gpuE5ELNS1_3repE0EEENS1_30default_config_static_selectorELNS0_4arch9wavefront6targetE1EEEvT1_
    .private_segment_fixed_size: 0
    .sgpr_count:     6
    .sgpr_spill_count: 0
    .symbol:         _ZN7rocprim17ROCPRIM_400000_NS6detail17trampoline_kernelINS0_14default_configENS1_25transform_config_selectorI14custom_numericLb0EEEZNS1_14transform_implILb0ES3_S6_NS0_18transform_iteratorINS0_17counting_iteratorImlEEZNS1_24adjacent_difference_implIS3_Lb1ELb0EPS5_SC_N6thrust23THRUST_200600_302600_NS5minusIS5_EEEE10hipError_tPvRmT2_T3_mT4_P12ihipStream_tbEUlmE_S5_EESC_NS0_8identityIvEEEESH_SK_SL_mSM_SO_bEUlT_E_NS1_11comp_targetILNS1_3genE10ELNS1_11target_archE1201ELNS1_3gpuE5ELNS1_3repE0EEENS1_30default_config_static_selectorELNS0_4arch9wavefront6targetE1EEEvT1_.kd
    .uniform_work_group_size: 1
    .uses_dynamic_stack: false
    .vgpr_count:     0
    .vgpr_spill_count: 0
    .wavefront_size: 64
  - .agpr_count:     0
    .args:
      - .offset:         0
        .size:           56
        .value_kind:     by_value
    .group_segment_fixed_size: 0
    .kernarg_segment_align: 8
    .kernarg_segment_size: 56
    .language:       OpenCL C
    .language_version:
      - 2
      - 0
    .max_flat_workgroup_size: 256
    .name:           _ZN7rocprim17ROCPRIM_400000_NS6detail17trampoline_kernelINS0_14default_configENS1_25transform_config_selectorI14custom_numericLb0EEEZNS1_14transform_implILb0ES3_S6_NS0_18transform_iteratorINS0_17counting_iteratorImlEEZNS1_24adjacent_difference_implIS3_Lb1ELb0EPS5_SC_N6thrust23THRUST_200600_302600_NS5minusIS5_EEEE10hipError_tPvRmT2_T3_mT4_P12ihipStream_tbEUlmE_S5_EESC_NS0_8identityIvEEEESH_SK_SL_mSM_SO_bEUlT_E_NS1_11comp_targetILNS1_3genE10ELNS1_11target_archE1200ELNS1_3gpuE4ELNS1_3repE0EEENS1_30default_config_static_selectorELNS0_4arch9wavefront6targetE1EEEvT1_
    .private_segment_fixed_size: 0
    .sgpr_count:     6
    .sgpr_spill_count: 0
    .symbol:         _ZN7rocprim17ROCPRIM_400000_NS6detail17trampoline_kernelINS0_14default_configENS1_25transform_config_selectorI14custom_numericLb0EEEZNS1_14transform_implILb0ES3_S6_NS0_18transform_iteratorINS0_17counting_iteratorImlEEZNS1_24adjacent_difference_implIS3_Lb1ELb0EPS5_SC_N6thrust23THRUST_200600_302600_NS5minusIS5_EEEE10hipError_tPvRmT2_T3_mT4_P12ihipStream_tbEUlmE_S5_EESC_NS0_8identityIvEEEESH_SK_SL_mSM_SO_bEUlT_E_NS1_11comp_targetILNS1_3genE10ELNS1_11target_archE1200ELNS1_3gpuE4ELNS1_3repE0EEENS1_30default_config_static_selectorELNS0_4arch9wavefront6targetE1EEEvT1_.kd
    .uniform_work_group_size: 1
    .uses_dynamic_stack: false
    .vgpr_count:     0
    .vgpr_spill_count: 0
    .wavefront_size: 64
  - .agpr_count:     0
    .args:
      - .offset:         0
        .size:           56
        .value_kind:     by_value
    .group_segment_fixed_size: 0
    .kernarg_segment_align: 8
    .kernarg_segment_size: 56
    .language:       OpenCL C
    .language_version:
      - 2
      - 0
    .max_flat_workgroup_size: 256
    .name:           _ZN7rocprim17ROCPRIM_400000_NS6detail17trampoline_kernelINS0_14default_configENS1_25transform_config_selectorI14custom_numericLb0EEEZNS1_14transform_implILb0ES3_S6_NS0_18transform_iteratorINS0_17counting_iteratorImlEEZNS1_24adjacent_difference_implIS3_Lb1ELb0EPS5_SC_N6thrust23THRUST_200600_302600_NS5minusIS5_EEEE10hipError_tPvRmT2_T3_mT4_P12ihipStream_tbEUlmE_S5_EESC_NS0_8identityIvEEEESH_SK_SL_mSM_SO_bEUlT_E_NS1_11comp_targetILNS1_3genE9ELNS1_11target_archE1100ELNS1_3gpuE3ELNS1_3repE0EEENS1_30default_config_static_selectorELNS0_4arch9wavefront6targetE1EEEvT1_
    .private_segment_fixed_size: 0
    .sgpr_count:     6
    .sgpr_spill_count: 0
    .symbol:         _ZN7rocprim17ROCPRIM_400000_NS6detail17trampoline_kernelINS0_14default_configENS1_25transform_config_selectorI14custom_numericLb0EEEZNS1_14transform_implILb0ES3_S6_NS0_18transform_iteratorINS0_17counting_iteratorImlEEZNS1_24adjacent_difference_implIS3_Lb1ELb0EPS5_SC_N6thrust23THRUST_200600_302600_NS5minusIS5_EEEE10hipError_tPvRmT2_T3_mT4_P12ihipStream_tbEUlmE_S5_EESC_NS0_8identityIvEEEESH_SK_SL_mSM_SO_bEUlT_E_NS1_11comp_targetILNS1_3genE9ELNS1_11target_archE1100ELNS1_3gpuE3ELNS1_3repE0EEENS1_30default_config_static_selectorELNS0_4arch9wavefront6targetE1EEEvT1_.kd
    .uniform_work_group_size: 1
    .uses_dynamic_stack: false
    .vgpr_count:     0
    .vgpr_spill_count: 0
    .wavefront_size: 64
  - .agpr_count:     0
    .args:
      - .offset:         0
        .size:           56
        .value_kind:     by_value
    .group_segment_fixed_size: 0
    .kernarg_segment_align: 8
    .kernarg_segment_size: 56
    .language:       OpenCL C
    .language_version:
      - 2
      - 0
    .max_flat_workgroup_size: 256
    .name:           _ZN7rocprim17ROCPRIM_400000_NS6detail17trampoline_kernelINS0_14default_configENS1_25transform_config_selectorI14custom_numericLb0EEEZNS1_14transform_implILb0ES3_S6_NS0_18transform_iteratorINS0_17counting_iteratorImlEEZNS1_24adjacent_difference_implIS3_Lb1ELb0EPS5_SC_N6thrust23THRUST_200600_302600_NS5minusIS5_EEEE10hipError_tPvRmT2_T3_mT4_P12ihipStream_tbEUlmE_S5_EESC_NS0_8identityIvEEEESH_SK_SL_mSM_SO_bEUlT_E_NS1_11comp_targetILNS1_3genE8ELNS1_11target_archE1030ELNS1_3gpuE2ELNS1_3repE0EEENS1_30default_config_static_selectorELNS0_4arch9wavefront6targetE1EEEvT1_
    .private_segment_fixed_size: 0
    .sgpr_count:     6
    .sgpr_spill_count: 0
    .symbol:         _ZN7rocprim17ROCPRIM_400000_NS6detail17trampoline_kernelINS0_14default_configENS1_25transform_config_selectorI14custom_numericLb0EEEZNS1_14transform_implILb0ES3_S6_NS0_18transform_iteratorINS0_17counting_iteratorImlEEZNS1_24adjacent_difference_implIS3_Lb1ELb0EPS5_SC_N6thrust23THRUST_200600_302600_NS5minusIS5_EEEE10hipError_tPvRmT2_T3_mT4_P12ihipStream_tbEUlmE_S5_EESC_NS0_8identityIvEEEESH_SK_SL_mSM_SO_bEUlT_E_NS1_11comp_targetILNS1_3genE8ELNS1_11target_archE1030ELNS1_3gpuE2ELNS1_3repE0EEENS1_30default_config_static_selectorELNS0_4arch9wavefront6targetE1EEEvT1_.kd
    .uniform_work_group_size: 1
    .uses_dynamic_stack: false
    .vgpr_count:     0
    .vgpr_spill_count: 0
    .wavefront_size: 64
  - .agpr_count:     0
    .args:
      - .offset:         0
        .size:           56
        .value_kind:     by_value
    .group_segment_fixed_size: 0
    .kernarg_segment_align: 8
    .kernarg_segment_size: 56
    .language:       OpenCL C
    .language_version:
      - 2
      - 0
    .max_flat_workgroup_size: 256
    .name:           _ZN7rocprim17ROCPRIM_400000_NS6detail17trampoline_kernelINS0_14default_configENS1_35adjacent_difference_config_selectorILb1E14custom_numericEEZNS1_24adjacent_difference_implIS3_Lb1ELb0EPS5_S8_N6thrust23THRUST_200600_302600_NS5minusIS5_EEEE10hipError_tPvRmT2_T3_mT4_P12ihipStream_tbEUlT_E_NS1_11comp_targetILNS1_3genE0ELNS1_11target_archE4294967295ELNS1_3gpuE0ELNS1_3repE0EEENS1_30default_config_static_selectorELNS0_4arch9wavefront6targetE1EEEvT1_
    .private_segment_fixed_size: 0
    .sgpr_count:     6
    .sgpr_spill_count: 0
    .symbol:         _ZN7rocprim17ROCPRIM_400000_NS6detail17trampoline_kernelINS0_14default_configENS1_35adjacent_difference_config_selectorILb1E14custom_numericEEZNS1_24adjacent_difference_implIS3_Lb1ELb0EPS5_S8_N6thrust23THRUST_200600_302600_NS5minusIS5_EEEE10hipError_tPvRmT2_T3_mT4_P12ihipStream_tbEUlT_E_NS1_11comp_targetILNS1_3genE0ELNS1_11target_archE4294967295ELNS1_3gpuE0ELNS1_3repE0EEENS1_30default_config_static_selectorELNS0_4arch9wavefront6targetE1EEEvT1_.kd
    .uniform_work_group_size: 1
    .uses_dynamic_stack: false
    .vgpr_count:     0
    .vgpr_spill_count: 0
    .wavefront_size: 64
  - .agpr_count:     0
    .args:
      - .offset:         0
        .size:           56
        .value_kind:     by_value
    .group_segment_fixed_size: 0
    .kernarg_segment_align: 8
    .kernarg_segment_size: 56
    .language:       OpenCL C
    .language_version:
      - 2
      - 0
    .max_flat_workgroup_size: 256
    .name:           _ZN7rocprim17ROCPRIM_400000_NS6detail17trampoline_kernelINS0_14default_configENS1_35adjacent_difference_config_selectorILb1E14custom_numericEEZNS1_24adjacent_difference_implIS3_Lb1ELb0EPS5_S8_N6thrust23THRUST_200600_302600_NS5minusIS5_EEEE10hipError_tPvRmT2_T3_mT4_P12ihipStream_tbEUlT_E_NS1_11comp_targetILNS1_3genE10ELNS1_11target_archE1201ELNS1_3gpuE5ELNS1_3repE0EEENS1_30default_config_static_selectorELNS0_4arch9wavefront6targetE1EEEvT1_
    .private_segment_fixed_size: 0
    .sgpr_count:     6
    .sgpr_spill_count: 0
    .symbol:         _ZN7rocprim17ROCPRIM_400000_NS6detail17trampoline_kernelINS0_14default_configENS1_35adjacent_difference_config_selectorILb1E14custom_numericEEZNS1_24adjacent_difference_implIS3_Lb1ELb0EPS5_S8_N6thrust23THRUST_200600_302600_NS5minusIS5_EEEE10hipError_tPvRmT2_T3_mT4_P12ihipStream_tbEUlT_E_NS1_11comp_targetILNS1_3genE10ELNS1_11target_archE1201ELNS1_3gpuE5ELNS1_3repE0EEENS1_30default_config_static_selectorELNS0_4arch9wavefront6targetE1EEEvT1_.kd
    .uniform_work_group_size: 1
    .uses_dynamic_stack: false
    .vgpr_count:     0
    .vgpr_spill_count: 0
    .wavefront_size: 64
  - .agpr_count:     0
    .args:
      - .offset:         0
        .size:           56
        .value_kind:     by_value
    .group_segment_fixed_size: 15360
    .kernarg_segment_align: 8
    .kernarg_segment_size: 56
    .language:       OpenCL C
    .language_version:
      - 2
      - 0
    .max_flat_workgroup_size: 256
    .name:           _ZN7rocprim17ROCPRIM_400000_NS6detail17trampoline_kernelINS0_14default_configENS1_35adjacent_difference_config_selectorILb1E14custom_numericEEZNS1_24adjacent_difference_implIS3_Lb1ELb0EPS5_S8_N6thrust23THRUST_200600_302600_NS5minusIS5_EEEE10hipError_tPvRmT2_T3_mT4_P12ihipStream_tbEUlT_E_NS1_11comp_targetILNS1_3genE5ELNS1_11target_archE942ELNS1_3gpuE9ELNS1_3repE0EEENS1_30default_config_static_selectorELNS0_4arch9wavefront6targetE1EEEvT1_
    .private_segment_fixed_size: 0
    .sgpr_count:     36
    .sgpr_spill_count: 0
    .symbol:         _ZN7rocprim17ROCPRIM_400000_NS6detail17trampoline_kernelINS0_14default_configENS1_35adjacent_difference_config_selectorILb1E14custom_numericEEZNS1_24adjacent_difference_implIS3_Lb1ELb0EPS5_S8_N6thrust23THRUST_200600_302600_NS5minusIS5_EEEE10hipError_tPvRmT2_T3_mT4_P12ihipStream_tbEUlT_E_NS1_11comp_targetILNS1_3genE5ELNS1_11target_archE942ELNS1_3gpuE9ELNS1_3repE0EEENS1_30default_config_static_selectorELNS0_4arch9wavefront6targetE1EEEvT1_.kd
    .uniform_work_group_size: 1
    .uses_dynamic_stack: false
    .vgpr_count:     16
    .vgpr_spill_count: 0
    .wavefront_size: 64
  - .agpr_count:     0
    .args:
      - .offset:         0
        .size:           56
        .value_kind:     by_value
    .group_segment_fixed_size: 0
    .kernarg_segment_align: 8
    .kernarg_segment_size: 56
    .language:       OpenCL C
    .language_version:
      - 2
      - 0
    .max_flat_workgroup_size: 256
    .name:           _ZN7rocprim17ROCPRIM_400000_NS6detail17trampoline_kernelINS0_14default_configENS1_35adjacent_difference_config_selectorILb1E14custom_numericEEZNS1_24adjacent_difference_implIS3_Lb1ELb0EPS5_S8_N6thrust23THRUST_200600_302600_NS5minusIS5_EEEE10hipError_tPvRmT2_T3_mT4_P12ihipStream_tbEUlT_E_NS1_11comp_targetILNS1_3genE4ELNS1_11target_archE910ELNS1_3gpuE8ELNS1_3repE0EEENS1_30default_config_static_selectorELNS0_4arch9wavefront6targetE1EEEvT1_
    .private_segment_fixed_size: 0
    .sgpr_count:     6
    .sgpr_spill_count: 0
    .symbol:         _ZN7rocprim17ROCPRIM_400000_NS6detail17trampoline_kernelINS0_14default_configENS1_35adjacent_difference_config_selectorILb1E14custom_numericEEZNS1_24adjacent_difference_implIS3_Lb1ELb0EPS5_S8_N6thrust23THRUST_200600_302600_NS5minusIS5_EEEE10hipError_tPvRmT2_T3_mT4_P12ihipStream_tbEUlT_E_NS1_11comp_targetILNS1_3genE4ELNS1_11target_archE910ELNS1_3gpuE8ELNS1_3repE0EEENS1_30default_config_static_selectorELNS0_4arch9wavefront6targetE1EEEvT1_.kd
    .uniform_work_group_size: 1
    .uses_dynamic_stack: false
    .vgpr_count:     0
    .vgpr_spill_count: 0
    .wavefront_size: 64
  - .agpr_count:     0
    .args:
      - .offset:         0
        .size:           56
        .value_kind:     by_value
    .group_segment_fixed_size: 0
    .kernarg_segment_align: 8
    .kernarg_segment_size: 56
    .language:       OpenCL C
    .language_version:
      - 2
      - 0
    .max_flat_workgroup_size: 256
    .name:           _ZN7rocprim17ROCPRIM_400000_NS6detail17trampoline_kernelINS0_14default_configENS1_35adjacent_difference_config_selectorILb1E14custom_numericEEZNS1_24adjacent_difference_implIS3_Lb1ELb0EPS5_S8_N6thrust23THRUST_200600_302600_NS5minusIS5_EEEE10hipError_tPvRmT2_T3_mT4_P12ihipStream_tbEUlT_E_NS1_11comp_targetILNS1_3genE3ELNS1_11target_archE908ELNS1_3gpuE7ELNS1_3repE0EEENS1_30default_config_static_selectorELNS0_4arch9wavefront6targetE1EEEvT1_
    .private_segment_fixed_size: 0
    .sgpr_count:     6
    .sgpr_spill_count: 0
    .symbol:         _ZN7rocprim17ROCPRIM_400000_NS6detail17trampoline_kernelINS0_14default_configENS1_35adjacent_difference_config_selectorILb1E14custom_numericEEZNS1_24adjacent_difference_implIS3_Lb1ELb0EPS5_S8_N6thrust23THRUST_200600_302600_NS5minusIS5_EEEE10hipError_tPvRmT2_T3_mT4_P12ihipStream_tbEUlT_E_NS1_11comp_targetILNS1_3genE3ELNS1_11target_archE908ELNS1_3gpuE7ELNS1_3repE0EEENS1_30default_config_static_selectorELNS0_4arch9wavefront6targetE1EEEvT1_.kd
    .uniform_work_group_size: 1
    .uses_dynamic_stack: false
    .vgpr_count:     0
    .vgpr_spill_count: 0
    .wavefront_size: 64
  - .agpr_count:     0
    .args:
      - .offset:         0
        .size:           56
        .value_kind:     by_value
    .group_segment_fixed_size: 0
    .kernarg_segment_align: 8
    .kernarg_segment_size: 56
    .language:       OpenCL C
    .language_version:
      - 2
      - 0
    .max_flat_workgroup_size: 256
    .name:           _ZN7rocprim17ROCPRIM_400000_NS6detail17trampoline_kernelINS0_14default_configENS1_35adjacent_difference_config_selectorILb1E14custom_numericEEZNS1_24adjacent_difference_implIS3_Lb1ELb0EPS5_S8_N6thrust23THRUST_200600_302600_NS5minusIS5_EEEE10hipError_tPvRmT2_T3_mT4_P12ihipStream_tbEUlT_E_NS1_11comp_targetILNS1_3genE2ELNS1_11target_archE906ELNS1_3gpuE6ELNS1_3repE0EEENS1_30default_config_static_selectorELNS0_4arch9wavefront6targetE1EEEvT1_
    .private_segment_fixed_size: 0
    .sgpr_count:     6
    .sgpr_spill_count: 0
    .symbol:         _ZN7rocprim17ROCPRIM_400000_NS6detail17trampoline_kernelINS0_14default_configENS1_35adjacent_difference_config_selectorILb1E14custom_numericEEZNS1_24adjacent_difference_implIS3_Lb1ELb0EPS5_S8_N6thrust23THRUST_200600_302600_NS5minusIS5_EEEE10hipError_tPvRmT2_T3_mT4_P12ihipStream_tbEUlT_E_NS1_11comp_targetILNS1_3genE2ELNS1_11target_archE906ELNS1_3gpuE6ELNS1_3repE0EEENS1_30default_config_static_selectorELNS0_4arch9wavefront6targetE1EEEvT1_.kd
    .uniform_work_group_size: 1
    .uses_dynamic_stack: false
    .vgpr_count:     0
    .vgpr_spill_count: 0
    .wavefront_size: 64
  - .agpr_count:     0
    .args:
      - .offset:         0
        .size:           56
        .value_kind:     by_value
    .group_segment_fixed_size: 0
    .kernarg_segment_align: 8
    .kernarg_segment_size: 56
    .language:       OpenCL C
    .language_version:
      - 2
      - 0
    .max_flat_workgroup_size: 256
    .name:           _ZN7rocprim17ROCPRIM_400000_NS6detail17trampoline_kernelINS0_14default_configENS1_35adjacent_difference_config_selectorILb1E14custom_numericEEZNS1_24adjacent_difference_implIS3_Lb1ELb0EPS5_S8_N6thrust23THRUST_200600_302600_NS5minusIS5_EEEE10hipError_tPvRmT2_T3_mT4_P12ihipStream_tbEUlT_E_NS1_11comp_targetILNS1_3genE9ELNS1_11target_archE1100ELNS1_3gpuE3ELNS1_3repE0EEENS1_30default_config_static_selectorELNS0_4arch9wavefront6targetE1EEEvT1_
    .private_segment_fixed_size: 0
    .sgpr_count:     6
    .sgpr_spill_count: 0
    .symbol:         _ZN7rocprim17ROCPRIM_400000_NS6detail17trampoline_kernelINS0_14default_configENS1_35adjacent_difference_config_selectorILb1E14custom_numericEEZNS1_24adjacent_difference_implIS3_Lb1ELb0EPS5_S8_N6thrust23THRUST_200600_302600_NS5minusIS5_EEEE10hipError_tPvRmT2_T3_mT4_P12ihipStream_tbEUlT_E_NS1_11comp_targetILNS1_3genE9ELNS1_11target_archE1100ELNS1_3gpuE3ELNS1_3repE0EEENS1_30default_config_static_selectorELNS0_4arch9wavefront6targetE1EEEvT1_.kd
    .uniform_work_group_size: 1
    .uses_dynamic_stack: false
    .vgpr_count:     0
    .vgpr_spill_count: 0
    .wavefront_size: 64
  - .agpr_count:     0
    .args:
      - .offset:         0
        .size:           56
        .value_kind:     by_value
    .group_segment_fixed_size: 0
    .kernarg_segment_align: 8
    .kernarg_segment_size: 56
    .language:       OpenCL C
    .language_version:
      - 2
      - 0
    .max_flat_workgroup_size: 256
    .name:           _ZN7rocprim17ROCPRIM_400000_NS6detail17trampoline_kernelINS0_14default_configENS1_35adjacent_difference_config_selectorILb1E14custom_numericEEZNS1_24adjacent_difference_implIS3_Lb1ELb0EPS5_S8_N6thrust23THRUST_200600_302600_NS5minusIS5_EEEE10hipError_tPvRmT2_T3_mT4_P12ihipStream_tbEUlT_E_NS1_11comp_targetILNS1_3genE8ELNS1_11target_archE1030ELNS1_3gpuE2ELNS1_3repE0EEENS1_30default_config_static_selectorELNS0_4arch9wavefront6targetE1EEEvT1_
    .private_segment_fixed_size: 0
    .sgpr_count:     6
    .sgpr_spill_count: 0
    .symbol:         _ZN7rocprim17ROCPRIM_400000_NS6detail17trampoline_kernelINS0_14default_configENS1_35adjacent_difference_config_selectorILb1E14custom_numericEEZNS1_24adjacent_difference_implIS3_Lb1ELb0EPS5_S8_N6thrust23THRUST_200600_302600_NS5minusIS5_EEEE10hipError_tPvRmT2_T3_mT4_P12ihipStream_tbEUlT_E_NS1_11comp_targetILNS1_3genE8ELNS1_11target_archE1030ELNS1_3gpuE2ELNS1_3repE0EEENS1_30default_config_static_selectorELNS0_4arch9wavefront6targetE1EEEvT1_.kd
    .uniform_work_group_size: 1
    .uses_dynamic_stack: false
    .vgpr_count:     0
    .vgpr_spill_count: 0
    .wavefront_size: 64
  - .agpr_count:     0
    .args:
      - .offset:         0
        .size:           16
        .value_kind:     by_value
      - .offset:         16
        .size:           8
        .value_kind:     by_value
      - .offset:         24
        .size:           8
        .value_kind:     by_value
    .group_segment_fixed_size: 0
    .kernarg_segment_align: 8
    .kernarg_segment_size: 32
    .language:       OpenCL C
    .language_version:
      - 2
      - 0
    .max_flat_workgroup_size: 256
    .name:           _ZN6thrust23THRUST_200600_302600_NS11hip_rocprim14__parallel_for6kernelILj256ENS1_20__uninitialized_copy7functorINS0_10device_ptrI14custom_numericEENS0_7pointerIS7_NS1_3tagENS0_11use_defaultESB_EEEEmLj1EEEvT0_T1_SF_
    .private_segment_fixed_size: 0
    .sgpr_count:     18
    .sgpr_spill_count: 0
    .symbol:         _ZN6thrust23THRUST_200600_302600_NS11hip_rocprim14__parallel_for6kernelILj256ENS1_20__uninitialized_copy7functorINS0_10device_ptrI14custom_numericEENS0_7pointerIS7_NS1_3tagENS0_11use_defaultESB_EEEEmLj1EEEvT0_T1_SF_.kd
    .uniform_work_group_size: 1
    .uses_dynamic_stack: false
    .vgpr_count:     7
    .vgpr_spill_count: 0
    .wavefront_size: 64
  - .agpr_count:     0
    .args:
      - .offset:         0
        .size:           56
        .value_kind:     by_value
    .group_segment_fixed_size: 0
    .kernarg_segment_align: 8
    .kernarg_segment_size: 56
    .language:       OpenCL C
    .language_version:
      - 2
      - 0
    .max_flat_workgroup_size: 256
    .name:           _ZN7rocprim17ROCPRIM_400000_NS6detail17trampoline_kernelINS0_14default_configENS1_35adjacent_difference_config_selectorILb0E14custom_numericEEZNS1_24adjacent_difference_implIS3_Lb0ELb0EPS5_S8_N6thrust23THRUST_200600_302600_NS4plusIS5_EEEE10hipError_tPvRmT2_T3_mT4_P12ihipStream_tbEUlT_E_NS1_11comp_targetILNS1_3genE0ELNS1_11target_archE4294967295ELNS1_3gpuE0ELNS1_3repE0EEENS1_30default_config_static_selectorELNS0_4arch9wavefront6targetE1EEEvT1_
    .private_segment_fixed_size: 0
    .sgpr_count:     6
    .sgpr_spill_count: 0
    .symbol:         _ZN7rocprim17ROCPRIM_400000_NS6detail17trampoline_kernelINS0_14default_configENS1_35adjacent_difference_config_selectorILb0E14custom_numericEEZNS1_24adjacent_difference_implIS3_Lb0ELb0EPS5_S8_N6thrust23THRUST_200600_302600_NS4plusIS5_EEEE10hipError_tPvRmT2_T3_mT4_P12ihipStream_tbEUlT_E_NS1_11comp_targetILNS1_3genE0ELNS1_11target_archE4294967295ELNS1_3gpuE0ELNS1_3repE0EEENS1_30default_config_static_selectorELNS0_4arch9wavefront6targetE1EEEvT1_.kd
    .uniform_work_group_size: 1
    .uses_dynamic_stack: false
    .vgpr_count:     0
    .vgpr_spill_count: 0
    .wavefront_size: 64
  - .agpr_count:     0
    .args:
      - .offset:         0
        .size:           56
        .value_kind:     by_value
    .group_segment_fixed_size: 0
    .kernarg_segment_align: 8
    .kernarg_segment_size: 56
    .language:       OpenCL C
    .language_version:
      - 2
      - 0
    .max_flat_workgroup_size: 256
    .name:           _ZN7rocprim17ROCPRIM_400000_NS6detail17trampoline_kernelINS0_14default_configENS1_35adjacent_difference_config_selectorILb0E14custom_numericEEZNS1_24adjacent_difference_implIS3_Lb0ELb0EPS5_S8_N6thrust23THRUST_200600_302600_NS4plusIS5_EEEE10hipError_tPvRmT2_T3_mT4_P12ihipStream_tbEUlT_E_NS1_11comp_targetILNS1_3genE10ELNS1_11target_archE1201ELNS1_3gpuE5ELNS1_3repE0EEENS1_30default_config_static_selectorELNS0_4arch9wavefront6targetE1EEEvT1_
    .private_segment_fixed_size: 0
    .sgpr_count:     6
    .sgpr_spill_count: 0
    .symbol:         _ZN7rocprim17ROCPRIM_400000_NS6detail17trampoline_kernelINS0_14default_configENS1_35adjacent_difference_config_selectorILb0E14custom_numericEEZNS1_24adjacent_difference_implIS3_Lb0ELb0EPS5_S8_N6thrust23THRUST_200600_302600_NS4plusIS5_EEEE10hipError_tPvRmT2_T3_mT4_P12ihipStream_tbEUlT_E_NS1_11comp_targetILNS1_3genE10ELNS1_11target_archE1201ELNS1_3gpuE5ELNS1_3repE0EEENS1_30default_config_static_selectorELNS0_4arch9wavefront6targetE1EEEvT1_.kd
    .uniform_work_group_size: 1
    .uses_dynamic_stack: false
    .vgpr_count:     0
    .vgpr_spill_count: 0
    .wavefront_size: 64
  - .agpr_count:     0
    .args:
      - .offset:         0
        .size:           56
        .value_kind:     by_value
    .group_segment_fixed_size: 15360
    .kernarg_segment_align: 8
    .kernarg_segment_size: 56
    .language:       OpenCL C
    .language_version:
      - 2
      - 0
    .max_flat_workgroup_size: 256
    .name:           _ZN7rocprim17ROCPRIM_400000_NS6detail17trampoline_kernelINS0_14default_configENS1_35adjacent_difference_config_selectorILb0E14custom_numericEEZNS1_24adjacent_difference_implIS3_Lb0ELb0EPS5_S8_N6thrust23THRUST_200600_302600_NS4plusIS5_EEEE10hipError_tPvRmT2_T3_mT4_P12ihipStream_tbEUlT_E_NS1_11comp_targetILNS1_3genE5ELNS1_11target_archE942ELNS1_3gpuE9ELNS1_3repE0EEENS1_30default_config_static_selectorELNS0_4arch9wavefront6targetE1EEEvT1_
    .private_segment_fixed_size: 0
    .sgpr_count:     32
    .sgpr_spill_count: 0
    .symbol:         _ZN7rocprim17ROCPRIM_400000_NS6detail17trampoline_kernelINS0_14default_configENS1_35adjacent_difference_config_selectorILb0E14custom_numericEEZNS1_24adjacent_difference_implIS3_Lb0ELb0EPS5_S8_N6thrust23THRUST_200600_302600_NS4plusIS5_EEEE10hipError_tPvRmT2_T3_mT4_P12ihipStream_tbEUlT_E_NS1_11comp_targetILNS1_3genE5ELNS1_11target_archE942ELNS1_3gpuE9ELNS1_3repE0EEENS1_30default_config_static_selectorELNS0_4arch9wavefront6targetE1EEEvT1_.kd
    .uniform_work_group_size: 1
    .uses_dynamic_stack: false
    .vgpr_count:     16
    .vgpr_spill_count: 0
    .wavefront_size: 64
  - .agpr_count:     0
    .args:
      - .offset:         0
        .size:           56
        .value_kind:     by_value
    .group_segment_fixed_size: 0
    .kernarg_segment_align: 8
    .kernarg_segment_size: 56
    .language:       OpenCL C
    .language_version:
      - 2
      - 0
    .max_flat_workgroup_size: 256
    .name:           _ZN7rocprim17ROCPRIM_400000_NS6detail17trampoline_kernelINS0_14default_configENS1_35adjacent_difference_config_selectorILb0E14custom_numericEEZNS1_24adjacent_difference_implIS3_Lb0ELb0EPS5_S8_N6thrust23THRUST_200600_302600_NS4plusIS5_EEEE10hipError_tPvRmT2_T3_mT4_P12ihipStream_tbEUlT_E_NS1_11comp_targetILNS1_3genE4ELNS1_11target_archE910ELNS1_3gpuE8ELNS1_3repE0EEENS1_30default_config_static_selectorELNS0_4arch9wavefront6targetE1EEEvT1_
    .private_segment_fixed_size: 0
    .sgpr_count:     6
    .sgpr_spill_count: 0
    .symbol:         _ZN7rocprim17ROCPRIM_400000_NS6detail17trampoline_kernelINS0_14default_configENS1_35adjacent_difference_config_selectorILb0E14custom_numericEEZNS1_24adjacent_difference_implIS3_Lb0ELb0EPS5_S8_N6thrust23THRUST_200600_302600_NS4plusIS5_EEEE10hipError_tPvRmT2_T3_mT4_P12ihipStream_tbEUlT_E_NS1_11comp_targetILNS1_3genE4ELNS1_11target_archE910ELNS1_3gpuE8ELNS1_3repE0EEENS1_30default_config_static_selectorELNS0_4arch9wavefront6targetE1EEEvT1_.kd
    .uniform_work_group_size: 1
    .uses_dynamic_stack: false
    .vgpr_count:     0
    .vgpr_spill_count: 0
    .wavefront_size: 64
  - .agpr_count:     0
    .args:
      - .offset:         0
        .size:           56
        .value_kind:     by_value
    .group_segment_fixed_size: 0
    .kernarg_segment_align: 8
    .kernarg_segment_size: 56
    .language:       OpenCL C
    .language_version:
      - 2
      - 0
    .max_flat_workgroup_size: 256
    .name:           _ZN7rocprim17ROCPRIM_400000_NS6detail17trampoline_kernelINS0_14default_configENS1_35adjacent_difference_config_selectorILb0E14custom_numericEEZNS1_24adjacent_difference_implIS3_Lb0ELb0EPS5_S8_N6thrust23THRUST_200600_302600_NS4plusIS5_EEEE10hipError_tPvRmT2_T3_mT4_P12ihipStream_tbEUlT_E_NS1_11comp_targetILNS1_3genE3ELNS1_11target_archE908ELNS1_3gpuE7ELNS1_3repE0EEENS1_30default_config_static_selectorELNS0_4arch9wavefront6targetE1EEEvT1_
    .private_segment_fixed_size: 0
    .sgpr_count:     6
    .sgpr_spill_count: 0
    .symbol:         _ZN7rocprim17ROCPRIM_400000_NS6detail17trampoline_kernelINS0_14default_configENS1_35adjacent_difference_config_selectorILb0E14custom_numericEEZNS1_24adjacent_difference_implIS3_Lb0ELb0EPS5_S8_N6thrust23THRUST_200600_302600_NS4plusIS5_EEEE10hipError_tPvRmT2_T3_mT4_P12ihipStream_tbEUlT_E_NS1_11comp_targetILNS1_3genE3ELNS1_11target_archE908ELNS1_3gpuE7ELNS1_3repE0EEENS1_30default_config_static_selectorELNS0_4arch9wavefront6targetE1EEEvT1_.kd
    .uniform_work_group_size: 1
    .uses_dynamic_stack: false
    .vgpr_count:     0
    .vgpr_spill_count: 0
    .wavefront_size: 64
  - .agpr_count:     0
    .args:
      - .offset:         0
        .size:           56
        .value_kind:     by_value
    .group_segment_fixed_size: 0
    .kernarg_segment_align: 8
    .kernarg_segment_size: 56
    .language:       OpenCL C
    .language_version:
      - 2
      - 0
    .max_flat_workgroup_size: 256
    .name:           _ZN7rocprim17ROCPRIM_400000_NS6detail17trampoline_kernelINS0_14default_configENS1_35adjacent_difference_config_selectorILb0E14custom_numericEEZNS1_24adjacent_difference_implIS3_Lb0ELb0EPS5_S8_N6thrust23THRUST_200600_302600_NS4plusIS5_EEEE10hipError_tPvRmT2_T3_mT4_P12ihipStream_tbEUlT_E_NS1_11comp_targetILNS1_3genE2ELNS1_11target_archE906ELNS1_3gpuE6ELNS1_3repE0EEENS1_30default_config_static_selectorELNS0_4arch9wavefront6targetE1EEEvT1_
    .private_segment_fixed_size: 0
    .sgpr_count:     6
    .sgpr_spill_count: 0
    .symbol:         _ZN7rocprim17ROCPRIM_400000_NS6detail17trampoline_kernelINS0_14default_configENS1_35adjacent_difference_config_selectorILb0E14custom_numericEEZNS1_24adjacent_difference_implIS3_Lb0ELb0EPS5_S8_N6thrust23THRUST_200600_302600_NS4plusIS5_EEEE10hipError_tPvRmT2_T3_mT4_P12ihipStream_tbEUlT_E_NS1_11comp_targetILNS1_3genE2ELNS1_11target_archE906ELNS1_3gpuE6ELNS1_3repE0EEENS1_30default_config_static_selectorELNS0_4arch9wavefront6targetE1EEEvT1_.kd
    .uniform_work_group_size: 1
    .uses_dynamic_stack: false
    .vgpr_count:     0
    .vgpr_spill_count: 0
    .wavefront_size: 64
  - .agpr_count:     0
    .args:
      - .offset:         0
        .size:           56
        .value_kind:     by_value
    .group_segment_fixed_size: 0
    .kernarg_segment_align: 8
    .kernarg_segment_size: 56
    .language:       OpenCL C
    .language_version:
      - 2
      - 0
    .max_flat_workgroup_size: 256
    .name:           _ZN7rocprim17ROCPRIM_400000_NS6detail17trampoline_kernelINS0_14default_configENS1_35adjacent_difference_config_selectorILb0E14custom_numericEEZNS1_24adjacent_difference_implIS3_Lb0ELb0EPS5_S8_N6thrust23THRUST_200600_302600_NS4plusIS5_EEEE10hipError_tPvRmT2_T3_mT4_P12ihipStream_tbEUlT_E_NS1_11comp_targetILNS1_3genE9ELNS1_11target_archE1100ELNS1_3gpuE3ELNS1_3repE0EEENS1_30default_config_static_selectorELNS0_4arch9wavefront6targetE1EEEvT1_
    .private_segment_fixed_size: 0
    .sgpr_count:     6
    .sgpr_spill_count: 0
    .symbol:         _ZN7rocprim17ROCPRIM_400000_NS6detail17trampoline_kernelINS0_14default_configENS1_35adjacent_difference_config_selectorILb0E14custom_numericEEZNS1_24adjacent_difference_implIS3_Lb0ELb0EPS5_S8_N6thrust23THRUST_200600_302600_NS4plusIS5_EEEE10hipError_tPvRmT2_T3_mT4_P12ihipStream_tbEUlT_E_NS1_11comp_targetILNS1_3genE9ELNS1_11target_archE1100ELNS1_3gpuE3ELNS1_3repE0EEENS1_30default_config_static_selectorELNS0_4arch9wavefront6targetE1EEEvT1_.kd
    .uniform_work_group_size: 1
    .uses_dynamic_stack: false
    .vgpr_count:     0
    .vgpr_spill_count: 0
    .wavefront_size: 64
  - .agpr_count:     0
    .args:
      - .offset:         0
        .size:           56
        .value_kind:     by_value
    .group_segment_fixed_size: 0
    .kernarg_segment_align: 8
    .kernarg_segment_size: 56
    .language:       OpenCL C
    .language_version:
      - 2
      - 0
    .max_flat_workgroup_size: 256
    .name:           _ZN7rocprim17ROCPRIM_400000_NS6detail17trampoline_kernelINS0_14default_configENS1_35adjacent_difference_config_selectorILb0E14custom_numericEEZNS1_24adjacent_difference_implIS3_Lb0ELb0EPS5_S8_N6thrust23THRUST_200600_302600_NS4plusIS5_EEEE10hipError_tPvRmT2_T3_mT4_P12ihipStream_tbEUlT_E_NS1_11comp_targetILNS1_3genE8ELNS1_11target_archE1030ELNS1_3gpuE2ELNS1_3repE0EEENS1_30default_config_static_selectorELNS0_4arch9wavefront6targetE1EEEvT1_
    .private_segment_fixed_size: 0
    .sgpr_count:     6
    .sgpr_spill_count: 0
    .symbol:         _ZN7rocprim17ROCPRIM_400000_NS6detail17trampoline_kernelINS0_14default_configENS1_35adjacent_difference_config_selectorILb0E14custom_numericEEZNS1_24adjacent_difference_implIS3_Lb0ELb0EPS5_S8_N6thrust23THRUST_200600_302600_NS4plusIS5_EEEE10hipError_tPvRmT2_T3_mT4_P12ihipStream_tbEUlT_E_NS1_11comp_targetILNS1_3genE8ELNS1_11target_archE1030ELNS1_3gpuE2ELNS1_3repE0EEENS1_30default_config_static_selectorELNS0_4arch9wavefront6targetE1EEEvT1_.kd
    .uniform_work_group_size: 1
    .uses_dynamic_stack: false
    .vgpr_count:     0
    .vgpr_spill_count: 0
    .wavefront_size: 64
  - .agpr_count:     0
    .args:
      - .offset:         0
        .size:           56
        .value_kind:     by_value
    .group_segment_fixed_size: 0
    .kernarg_segment_align: 8
    .kernarg_segment_size: 56
    .language:       OpenCL C
    .language_version:
      - 2
      - 0
    .max_flat_workgroup_size: 256
    .name:           _ZN7rocprim17ROCPRIM_400000_NS6detail17trampoline_kernelINS0_14default_configENS1_25transform_config_selectorI14custom_numericLb0EEEZNS1_14transform_implILb0ES3_S6_NS0_18transform_iteratorINS0_17counting_iteratorImlEEZNS1_24adjacent_difference_implIS3_Lb1ELb0EPS5_SC_N6thrust23THRUST_200600_302600_NS4plusIS5_EEEE10hipError_tPvRmT2_T3_mT4_P12ihipStream_tbEUlmE_S5_EESC_NS0_8identityIvEEEESH_SK_SL_mSM_SO_bEUlT_E_NS1_11comp_targetILNS1_3genE0ELNS1_11target_archE4294967295ELNS1_3gpuE0ELNS1_3repE0EEENS1_30default_config_static_selectorELNS0_4arch9wavefront6targetE1EEEvT1_
    .private_segment_fixed_size: 0
    .sgpr_count:     6
    .sgpr_spill_count: 0
    .symbol:         _ZN7rocprim17ROCPRIM_400000_NS6detail17trampoline_kernelINS0_14default_configENS1_25transform_config_selectorI14custom_numericLb0EEEZNS1_14transform_implILb0ES3_S6_NS0_18transform_iteratorINS0_17counting_iteratorImlEEZNS1_24adjacent_difference_implIS3_Lb1ELb0EPS5_SC_N6thrust23THRUST_200600_302600_NS4plusIS5_EEEE10hipError_tPvRmT2_T3_mT4_P12ihipStream_tbEUlmE_S5_EESC_NS0_8identityIvEEEESH_SK_SL_mSM_SO_bEUlT_E_NS1_11comp_targetILNS1_3genE0ELNS1_11target_archE4294967295ELNS1_3gpuE0ELNS1_3repE0EEENS1_30default_config_static_selectorELNS0_4arch9wavefront6targetE1EEEvT1_.kd
    .uniform_work_group_size: 1
    .uses_dynamic_stack: false
    .vgpr_count:     0
    .vgpr_spill_count: 0
    .wavefront_size: 64
  - .agpr_count:     0
    .args:
      - .offset:         0
        .size:           56
        .value_kind:     by_value
      - .offset:         56
        .size:           4
        .value_kind:     hidden_block_count_x
      - .offset:         60
        .size:           4
        .value_kind:     hidden_block_count_y
      - .offset:         64
        .size:           4
        .value_kind:     hidden_block_count_z
      - .offset:         68
        .size:           2
        .value_kind:     hidden_group_size_x
      - .offset:         70
        .size:           2
        .value_kind:     hidden_group_size_y
      - .offset:         72
        .size:           2
        .value_kind:     hidden_group_size_z
      - .offset:         74
        .size:           2
        .value_kind:     hidden_remainder_x
      - .offset:         76
        .size:           2
        .value_kind:     hidden_remainder_y
      - .offset:         78
        .size:           2
        .value_kind:     hidden_remainder_z
      - .offset:         96
        .size:           8
        .value_kind:     hidden_global_offset_x
      - .offset:         104
        .size:           8
        .value_kind:     hidden_global_offset_y
      - .offset:         112
        .size:           8
        .value_kind:     hidden_global_offset_z
      - .offset:         120
        .size:           2
        .value_kind:     hidden_grid_dims
    .group_segment_fixed_size: 0
    .kernarg_segment_align: 8
    .kernarg_segment_size: 312
    .language:       OpenCL C
    .language_version:
      - 2
      - 0
    .max_flat_workgroup_size: 256
    .name:           _ZN7rocprim17ROCPRIM_400000_NS6detail17trampoline_kernelINS0_14default_configENS1_25transform_config_selectorI14custom_numericLb0EEEZNS1_14transform_implILb0ES3_S6_NS0_18transform_iteratorINS0_17counting_iteratorImlEEZNS1_24adjacent_difference_implIS3_Lb1ELb0EPS5_SC_N6thrust23THRUST_200600_302600_NS4plusIS5_EEEE10hipError_tPvRmT2_T3_mT4_P12ihipStream_tbEUlmE_S5_EESC_NS0_8identityIvEEEESH_SK_SL_mSM_SO_bEUlT_E_NS1_11comp_targetILNS1_3genE5ELNS1_11target_archE942ELNS1_3gpuE9ELNS1_3repE0EEENS1_30default_config_static_selectorELNS0_4arch9wavefront6targetE1EEEvT1_
    .private_segment_fixed_size: 0
    .sgpr_count:     24
    .sgpr_spill_count: 0
    .symbol:         _ZN7rocprim17ROCPRIM_400000_NS6detail17trampoline_kernelINS0_14default_configENS1_25transform_config_selectorI14custom_numericLb0EEEZNS1_14transform_implILb0ES3_S6_NS0_18transform_iteratorINS0_17counting_iteratorImlEEZNS1_24adjacent_difference_implIS3_Lb1ELb0EPS5_SC_N6thrust23THRUST_200600_302600_NS4plusIS5_EEEE10hipError_tPvRmT2_T3_mT4_P12ihipStream_tbEUlmE_S5_EESC_NS0_8identityIvEEEESH_SK_SL_mSM_SO_bEUlT_E_NS1_11comp_targetILNS1_3genE5ELNS1_11target_archE942ELNS1_3gpuE9ELNS1_3repE0EEENS1_30default_config_static_selectorELNS0_4arch9wavefront6targetE1EEEvT1_.kd
    .uniform_work_group_size: 1
    .uses_dynamic_stack: false
    .vgpr_count:     16
    .vgpr_spill_count: 0
    .wavefront_size: 64
  - .agpr_count:     0
    .args:
      - .offset:         0
        .size:           56
        .value_kind:     by_value
    .group_segment_fixed_size: 0
    .kernarg_segment_align: 8
    .kernarg_segment_size: 56
    .language:       OpenCL C
    .language_version:
      - 2
      - 0
    .max_flat_workgroup_size: 256
    .name:           _ZN7rocprim17ROCPRIM_400000_NS6detail17trampoline_kernelINS0_14default_configENS1_25transform_config_selectorI14custom_numericLb0EEEZNS1_14transform_implILb0ES3_S6_NS0_18transform_iteratorINS0_17counting_iteratorImlEEZNS1_24adjacent_difference_implIS3_Lb1ELb0EPS5_SC_N6thrust23THRUST_200600_302600_NS4plusIS5_EEEE10hipError_tPvRmT2_T3_mT4_P12ihipStream_tbEUlmE_S5_EESC_NS0_8identityIvEEEESH_SK_SL_mSM_SO_bEUlT_E_NS1_11comp_targetILNS1_3genE4ELNS1_11target_archE910ELNS1_3gpuE8ELNS1_3repE0EEENS1_30default_config_static_selectorELNS0_4arch9wavefront6targetE1EEEvT1_
    .private_segment_fixed_size: 0
    .sgpr_count:     6
    .sgpr_spill_count: 0
    .symbol:         _ZN7rocprim17ROCPRIM_400000_NS6detail17trampoline_kernelINS0_14default_configENS1_25transform_config_selectorI14custom_numericLb0EEEZNS1_14transform_implILb0ES3_S6_NS0_18transform_iteratorINS0_17counting_iteratorImlEEZNS1_24adjacent_difference_implIS3_Lb1ELb0EPS5_SC_N6thrust23THRUST_200600_302600_NS4plusIS5_EEEE10hipError_tPvRmT2_T3_mT4_P12ihipStream_tbEUlmE_S5_EESC_NS0_8identityIvEEEESH_SK_SL_mSM_SO_bEUlT_E_NS1_11comp_targetILNS1_3genE4ELNS1_11target_archE910ELNS1_3gpuE8ELNS1_3repE0EEENS1_30default_config_static_selectorELNS0_4arch9wavefront6targetE1EEEvT1_.kd
    .uniform_work_group_size: 1
    .uses_dynamic_stack: false
    .vgpr_count:     0
    .vgpr_spill_count: 0
    .wavefront_size: 64
  - .agpr_count:     0
    .args:
      - .offset:         0
        .size:           56
        .value_kind:     by_value
    .group_segment_fixed_size: 0
    .kernarg_segment_align: 8
    .kernarg_segment_size: 56
    .language:       OpenCL C
    .language_version:
      - 2
      - 0
    .max_flat_workgroup_size: 256
    .name:           _ZN7rocprim17ROCPRIM_400000_NS6detail17trampoline_kernelINS0_14default_configENS1_25transform_config_selectorI14custom_numericLb0EEEZNS1_14transform_implILb0ES3_S6_NS0_18transform_iteratorINS0_17counting_iteratorImlEEZNS1_24adjacent_difference_implIS3_Lb1ELb0EPS5_SC_N6thrust23THRUST_200600_302600_NS4plusIS5_EEEE10hipError_tPvRmT2_T3_mT4_P12ihipStream_tbEUlmE_S5_EESC_NS0_8identityIvEEEESH_SK_SL_mSM_SO_bEUlT_E_NS1_11comp_targetILNS1_3genE3ELNS1_11target_archE908ELNS1_3gpuE7ELNS1_3repE0EEENS1_30default_config_static_selectorELNS0_4arch9wavefront6targetE1EEEvT1_
    .private_segment_fixed_size: 0
    .sgpr_count:     6
    .sgpr_spill_count: 0
    .symbol:         _ZN7rocprim17ROCPRIM_400000_NS6detail17trampoline_kernelINS0_14default_configENS1_25transform_config_selectorI14custom_numericLb0EEEZNS1_14transform_implILb0ES3_S6_NS0_18transform_iteratorINS0_17counting_iteratorImlEEZNS1_24adjacent_difference_implIS3_Lb1ELb0EPS5_SC_N6thrust23THRUST_200600_302600_NS4plusIS5_EEEE10hipError_tPvRmT2_T3_mT4_P12ihipStream_tbEUlmE_S5_EESC_NS0_8identityIvEEEESH_SK_SL_mSM_SO_bEUlT_E_NS1_11comp_targetILNS1_3genE3ELNS1_11target_archE908ELNS1_3gpuE7ELNS1_3repE0EEENS1_30default_config_static_selectorELNS0_4arch9wavefront6targetE1EEEvT1_.kd
    .uniform_work_group_size: 1
    .uses_dynamic_stack: false
    .vgpr_count:     0
    .vgpr_spill_count: 0
    .wavefront_size: 64
  - .agpr_count:     0
    .args:
      - .offset:         0
        .size:           56
        .value_kind:     by_value
    .group_segment_fixed_size: 0
    .kernarg_segment_align: 8
    .kernarg_segment_size: 56
    .language:       OpenCL C
    .language_version:
      - 2
      - 0
    .max_flat_workgroup_size: 256
    .name:           _ZN7rocprim17ROCPRIM_400000_NS6detail17trampoline_kernelINS0_14default_configENS1_25transform_config_selectorI14custom_numericLb0EEEZNS1_14transform_implILb0ES3_S6_NS0_18transform_iteratorINS0_17counting_iteratorImlEEZNS1_24adjacent_difference_implIS3_Lb1ELb0EPS5_SC_N6thrust23THRUST_200600_302600_NS4plusIS5_EEEE10hipError_tPvRmT2_T3_mT4_P12ihipStream_tbEUlmE_S5_EESC_NS0_8identityIvEEEESH_SK_SL_mSM_SO_bEUlT_E_NS1_11comp_targetILNS1_3genE2ELNS1_11target_archE906ELNS1_3gpuE6ELNS1_3repE0EEENS1_30default_config_static_selectorELNS0_4arch9wavefront6targetE1EEEvT1_
    .private_segment_fixed_size: 0
    .sgpr_count:     6
    .sgpr_spill_count: 0
    .symbol:         _ZN7rocprim17ROCPRIM_400000_NS6detail17trampoline_kernelINS0_14default_configENS1_25transform_config_selectorI14custom_numericLb0EEEZNS1_14transform_implILb0ES3_S6_NS0_18transform_iteratorINS0_17counting_iteratorImlEEZNS1_24adjacent_difference_implIS3_Lb1ELb0EPS5_SC_N6thrust23THRUST_200600_302600_NS4plusIS5_EEEE10hipError_tPvRmT2_T3_mT4_P12ihipStream_tbEUlmE_S5_EESC_NS0_8identityIvEEEESH_SK_SL_mSM_SO_bEUlT_E_NS1_11comp_targetILNS1_3genE2ELNS1_11target_archE906ELNS1_3gpuE6ELNS1_3repE0EEENS1_30default_config_static_selectorELNS0_4arch9wavefront6targetE1EEEvT1_.kd
    .uniform_work_group_size: 1
    .uses_dynamic_stack: false
    .vgpr_count:     0
    .vgpr_spill_count: 0
    .wavefront_size: 64
  - .agpr_count:     0
    .args:
      - .offset:         0
        .size:           56
        .value_kind:     by_value
    .group_segment_fixed_size: 0
    .kernarg_segment_align: 8
    .kernarg_segment_size: 56
    .language:       OpenCL C
    .language_version:
      - 2
      - 0
    .max_flat_workgroup_size: 256
    .name:           _ZN7rocprim17ROCPRIM_400000_NS6detail17trampoline_kernelINS0_14default_configENS1_25transform_config_selectorI14custom_numericLb0EEEZNS1_14transform_implILb0ES3_S6_NS0_18transform_iteratorINS0_17counting_iteratorImlEEZNS1_24adjacent_difference_implIS3_Lb1ELb0EPS5_SC_N6thrust23THRUST_200600_302600_NS4plusIS5_EEEE10hipError_tPvRmT2_T3_mT4_P12ihipStream_tbEUlmE_S5_EESC_NS0_8identityIvEEEESH_SK_SL_mSM_SO_bEUlT_E_NS1_11comp_targetILNS1_3genE10ELNS1_11target_archE1201ELNS1_3gpuE5ELNS1_3repE0EEENS1_30default_config_static_selectorELNS0_4arch9wavefront6targetE1EEEvT1_
    .private_segment_fixed_size: 0
    .sgpr_count:     6
    .sgpr_spill_count: 0
    .symbol:         _ZN7rocprim17ROCPRIM_400000_NS6detail17trampoline_kernelINS0_14default_configENS1_25transform_config_selectorI14custom_numericLb0EEEZNS1_14transform_implILb0ES3_S6_NS0_18transform_iteratorINS0_17counting_iteratorImlEEZNS1_24adjacent_difference_implIS3_Lb1ELb0EPS5_SC_N6thrust23THRUST_200600_302600_NS4plusIS5_EEEE10hipError_tPvRmT2_T3_mT4_P12ihipStream_tbEUlmE_S5_EESC_NS0_8identityIvEEEESH_SK_SL_mSM_SO_bEUlT_E_NS1_11comp_targetILNS1_3genE10ELNS1_11target_archE1201ELNS1_3gpuE5ELNS1_3repE0EEENS1_30default_config_static_selectorELNS0_4arch9wavefront6targetE1EEEvT1_.kd
    .uniform_work_group_size: 1
    .uses_dynamic_stack: false
    .vgpr_count:     0
    .vgpr_spill_count: 0
    .wavefront_size: 64
  - .agpr_count:     0
    .args:
      - .offset:         0
        .size:           56
        .value_kind:     by_value
    .group_segment_fixed_size: 0
    .kernarg_segment_align: 8
    .kernarg_segment_size: 56
    .language:       OpenCL C
    .language_version:
      - 2
      - 0
    .max_flat_workgroup_size: 256
    .name:           _ZN7rocprim17ROCPRIM_400000_NS6detail17trampoline_kernelINS0_14default_configENS1_25transform_config_selectorI14custom_numericLb0EEEZNS1_14transform_implILb0ES3_S6_NS0_18transform_iteratorINS0_17counting_iteratorImlEEZNS1_24adjacent_difference_implIS3_Lb1ELb0EPS5_SC_N6thrust23THRUST_200600_302600_NS4plusIS5_EEEE10hipError_tPvRmT2_T3_mT4_P12ihipStream_tbEUlmE_S5_EESC_NS0_8identityIvEEEESH_SK_SL_mSM_SO_bEUlT_E_NS1_11comp_targetILNS1_3genE10ELNS1_11target_archE1200ELNS1_3gpuE4ELNS1_3repE0EEENS1_30default_config_static_selectorELNS0_4arch9wavefront6targetE1EEEvT1_
    .private_segment_fixed_size: 0
    .sgpr_count:     6
    .sgpr_spill_count: 0
    .symbol:         _ZN7rocprim17ROCPRIM_400000_NS6detail17trampoline_kernelINS0_14default_configENS1_25transform_config_selectorI14custom_numericLb0EEEZNS1_14transform_implILb0ES3_S6_NS0_18transform_iteratorINS0_17counting_iteratorImlEEZNS1_24adjacent_difference_implIS3_Lb1ELb0EPS5_SC_N6thrust23THRUST_200600_302600_NS4plusIS5_EEEE10hipError_tPvRmT2_T3_mT4_P12ihipStream_tbEUlmE_S5_EESC_NS0_8identityIvEEEESH_SK_SL_mSM_SO_bEUlT_E_NS1_11comp_targetILNS1_3genE10ELNS1_11target_archE1200ELNS1_3gpuE4ELNS1_3repE0EEENS1_30default_config_static_selectorELNS0_4arch9wavefront6targetE1EEEvT1_.kd
    .uniform_work_group_size: 1
    .uses_dynamic_stack: false
    .vgpr_count:     0
    .vgpr_spill_count: 0
    .wavefront_size: 64
  - .agpr_count:     0
    .args:
      - .offset:         0
        .size:           56
        .value_kind:     by_value
    .group_segment_fixed_size: 0
    .kernarg_segment_align: 8
    .kernarg_segment_size: 56
    .language:       OpenCL C
    .language_version:
      - 2
      - 0
    .max_flat_workgroup_size: 256
    .name:           _ZN7rocprim17ROCPRIM_400000_NS6detail17trampoline_kernelINS0_14default_configENS1_25transform_config_selectorI14custom_numericLb0EEEZNS1_14transform_implILb0ES3_S6_NS0_18transform_iteratorINS0_17counting_iteratorImlEEZNS1_24adjacent_difference_implIS3_Lb1ELb0EPS5_SC_N6thrust23THRUST_200600_302600_NS4plusIS5_EEEE10hipError_tPvRmT2_T3_mT4_P12ihipStream_tbEUlmE_S5_EESC_NS0_8identityIvEEEESH_SK_SL_mSM_SO_bEUlT_E_NS1_11comp_targetILNS1_3genE9ELNS1_11target_archE1100ELNS1_3gpuE3ELNS1_3repE0EEENS1_30default_config_static_selectorELNS0_4arch9wavefront6targetE1EEEvT1_
    .private_segment_fixed_size: 0
    .sgpr_count:     6
    .sgpr_spill_count: 0
    .symbol:         _ZN7rocprim17ROCPRIM_400000_NS6detail17trampoline_kernelINS0_14default_configENS1_25transform_config_selectorI14custom_numericLb0EEEZNS1_14transform_implILb0ES3_S6_NS0_18transform_iteratorINS0_17counting_iteratorImlEEZNS1_24adjacent_difference_implIS3_Lb1ELb0EPS5_SC_N6thrust23THRUST_200600_302600_NS4plusIS5_EEEE10hipError_tPvRmT2_T3_mT4_P12ihipStream_tbEUlmE_S5_EESC_NS0_8identityIvEEEESH_SK_SL_mSM_SO_bEUlT_E_NS1_11comp_targetILNS1_3genE9ELNS1_11target_archE1100ELNS1_3gpuE3ELNS1_3repE0EEENS1_30default_config_static_selectorELNS0_4arch9wavefront6targetE1EEEvT1_.kd
    .uniform_work_group_size: 1
    .uses_dynamic_stack: false
    .vgpr_count:     0
    .vgpr_spill_count: 0
    .wavefront_size: 64
  - .agpr_count:     0
    .args:
      - .offset:         0
        .size:           56
        .value_kind:     by_value
    .group_segment_fixed_size: 0
    .kernarg_segment_align: 8
    .kernarg_segment_size: 56
    .language:       OpenCL C
    .language_version:
      - 2
      - 0
    .max_flat_workgroup_size: 256
    .name:           _ZN7rocprim17ROCPRIM_400000_NS6detail17trampoline_kernelINS0_14default_configENS1_25transform_config_selectorI14custom_numericLb0EEEZNS1_14transform_implILb0ES3_S6_NS0_18transform_iteratorINS0_17counting_iteratorImlEEZNS1_24adjacent_difference_implIS3_Lb1ELb0EPS5_SC_N6thrust23THRUST_200600_302600_NS4plusIS5_EEEE10hipError_tPvRmT2_T3_mT4_P12ihipStream_tbEUlmE_S5_EESC_NS0_8identityIvEEEESH_SK_SL_mSM_SO_bEUlT_E_NS1_11comp_targetILNS1_3genE8ELNS1_11target_archE1030ELNS1_3gpuE2ELNS1_3repE0EEENS1_30default_config_static_selectorELNS0_4arch9wavefront6targetE1EEEvT1_
    .private_segment_fixed_size: 0
    .sgpr_count:     6
    .sgpr_spill_count: 0
    .symbol:         _ZN7rocprim17ROCPRIM_400000_NS6detail17trampoline_kernelINS0_14default_configENS1_25transform_config_selectorI14custom_numericLb0EEEZNS1_14transform_implILb0ES3_S6_NS0_18transform_iteratorINS0_17counting_iteratorImlEEZNS1_24adjacent_difference_implIS3_Lb1ELb0EPS5_SC_N6thrust23THRUST_200600_302600_NS4plusIS5_EEEE10hipError_tPvRmT2_T3_mT4_P12ihipStream_tbEUlmE_S5_EESC_NS0_8identityIvEEEESH_SK_SL_mSM_SO_bEUlT_E_NS1_11comp_targetILNS1_3genE8ELNS1_11target_archE1030ELNS1_3gpuE2ELNS1_3repE0EEENS1_30default_config_static_selectorELNS0_4arch9wavefront6targetE1EEEvT1_.kd
    .uniform_work_group_size: 1
    .uses_dynamic_stack: false
    .vgpr_count:     0
    .vgpr_spill_count: 0
    .wavefront_size: 64
  - .agpr_count:     0
    .args:
      - .offset:         0
        .size:           56
        .value_kind:     by_value
    .group_segment_fixed_size: 0
    .kernarg_segment_align: 8
    .kernarg_segment_size: 56
    .language:       OpenCL C
    .language_version:
      - 2
      - 0
    .max_flat_workgroup_size: 256
    .name:           _ZN7rocprim17ROCPRIM_400000_NS6detail17trampoline_kernelINS0_14default_configENS1_35adjacent_difference_config_selectorILb1E14custom_numericEEZNS1_24adjacent_difference_implIS3_Lb1ELb0EPS5_S8_N6thrust23THRUST_200600_302600_NS4plusIS5_EEEE10hipError_tPvRmT2_T3_mT4_P12ihipStream_tbEUlT_E_NS1_11comp_targetILNS1_3genE0ELNS1_11target_archE4294967295ELNS1_3gpuE0ELNS1_3repE0EEENS1_30default_config_static_selectorELNS0_4arch9wavefront6targetE1EEEvT1_
    .private_segment_fixed_size: 0
    .sgpr_count:     6
    .sgpr_spill_count: 0
    .symbol:         _ZN7rocprim17ROCPRIM_400000_NS6detail17trampoline_kernelINS0_14default_configENS1_35adjacent_difference_config_selectorILb1E14custom_numericEEZNS1_24adjacent_difference_implIS3_Lb1ELb0EPS5_S8_N6thrust23THRUST_200600_302600_NS4plusIS5_EEEE10hipError_tPvRmT2_T3_mT4_P12ihipStream_tbEUlT_E_NS1_11comp_targetILNS1_3genE0ELNS1_11target_archE4294967295ELNS1_3gpuE0ELNS1_3repE0EEENS1_30default_config_static_selectorELNS0_4arch9wavefront6targetE1EEEvT1_.kd
    .uniform_work_group_size: 1
    .uses_dynamic_stack: false
    .vgpr_count:     0
    .vgpr_spill_count: 0
    .wavefront_size: 64
  - .agpr_count:     0
    .args:
      - .offset:         0
        .size:           56
        .value_kind:     by_value
    .group_segment_fixed_size: 0
    .kernarg_segment_align: 8
    .kernarg_segment_size: 56
    .language:       OpenCL C
    .language_version:
      - 2
      - 0
    .max_flat_workgroup_size: 256
    .name:           _ZN7rocprim17ROCPRIM_400000_NS6detail17trampoline_kernelINS0_14default_configENS1_35adjacent_difference_config_selectorILb1E14custom_numericEEZNS1_24adjacent_difference_implIS3_Lb1ELb0EPS5_S8_N6thrust23THRUST_200600_302600_NS4plusIS5_EEEE10hipError_tPvRmT2_T3_mT4_P12ihipStream_tbEUlT_E_NS1_11comp_targetILNS1_3genE10ELNS1_11target_archE1201ELNS1_3gpuE5ELNS1_3repE0EEENS1_30default_config_static_selectorELNS0_4arch9wavefront6targetE1EEEvT1_
    .private_segment_fixed_size: 0
    .sgpr_count:     6
    .sgpr_spill_count: 0
    .symbol:         _ZN7rocprim17ROCPRIM_400000_NS6detail17trampoline_kernelINS0_14default_configENS1_35adjacent_difference_config_selectorILb1E14custom_numericEEZNS1_24adjacent_difference_implIS3_Lb1ELb0EPS5_S8_N6thrust23THRUST_200600_302600_NS4plusIS5_EEEE10hipError_tPvRmT2_T3_mT4_P12ihipStream_tbEUlT_E_NS1_11comp_targetILNS1_3genE10ELNS1_11target_archE1201ELNS1_3gpuE5ELNS1_3repE0EEENS1_30default_config_static_selectorELNS0_4arch9wavefront6targetE1EEEvT1_.kd
    .uniform_work_group_size: 1
    .uses_dynamic_stack: false
    .vgpr_count:     0
    .vgpr_spill_count: 0
    .wavefront_size: 64
  - .agpr_count:     0
    .args:
      - .offset:         0
        .size:           56
        .value_kind:     by_value
    .group_segment_fixed_size: 15360
    .kernarg_segment_align: 8
    .kernarg_segment_size: 56
    .language:       OpenCL C
    .language_version:
      - 2
      - 0
    .max_flat_workgroup_size: 256
    .name:           _ZN7rocprim17ROCPRIM_400000_NS6detail17trampoline_kernelINS0_14default_configENS1_35adjacent_difference_config_selectorILb1E14custom_numericEEZNS1_24adjacent_difference_implIS3_Lb1ELb0EPS5_S8_N6thrust23THRUST_200600_302600_NS4plusIS5_EEEE10hipError_tPvRmT2_T3_mT4_P12ihipStream_tbEUlT_E_NS1_11comp_targetILNS1_3genE5ELNS1_11target_archE942ELNS1_3gpuE9ELNS1_3repE0EEENS1_30default_config_static_selectorELNS0_4arch9wavefront6targetE1EEEvT1_
    .private_segment_fixed_size: 0
    .sgpr_count:     36
    .sgpr_spill_count: 0
    .symbol:         _ZN7rocprim17ROCPRIM_400000_NS6detail17trampoline_kernelINS0_14default_configENS1_35adjacent_difference_config_selectorILb1E14custom_numericEEZNS1_24adjacent_difference_implIS3_Lb1ELb0EPS5_S8_N6thrust23THRUST_200600_302600_NS4plusIS5_EEEE10hipError_tPvRmT2_T3_mT4_P12ihipStream_tbEUlT_E_NS1_11comp_targetILNS1_3genE5ELNS1_11target_archE942ELNS1_3gpuE9ELNS1_3repE0EEENS1_30default_config_static_selectorELNS0_4arch9wavefront6targetE1EEEvT1_.kd
    .uniform_work_group_size: 1
    .uses_dynamic_stack: false
    .vgpr_count:     16
    .vgpr_spill_count: 0
    .wavefront_size: 64
  - .agpr_count:     0
    .args:
      - .offset:         0
        .size:           56
        .value_kind:     by_value
    .group_segment_fixed_size: 0
    .kernarg_segment_align: 8
    .kernarg_segment_size: 56
    .language:       OpenCL C
    .language_version:
      - 2
      - 0
    .max_flat_workgroup_size: 256
    .name:           _ZN7rocprim17ROCPRIM_400000_NS6detail17trampoline_kernelINS0_14default_configENS1_35adjacent_difference_config_selectorILb1E14custom_numericEEZNS1_24adjacent_difference_implIS3_Lb1ELb0EPS5_S8_N6thrust23THRUST_200600_302600_NS4plusIS5_EEEE10hipError_tPvRmT2_T3_mT4_P12ihipStream_tbEUlT_E_NS1_11comp_targetILNS1_3genE4ELNS1_11target_archE910ELNS1_3gpuE8ELNS1_3repE0EEENS1_30default_config_static_selectorELNS0_4arch9wavefront6targetE1EEEvT1_
    .private_segment_fixed_size: 0
    .sgpr_count:     6
    .sgpr_spill_count: 0
    .symbol:         _ZN7rocprim17ROCPRIM_400000_NS6detail17trampoline_kernelINS0_14default_configENS1_35adjacent_difference_config_selectorILb1E14custom_numericEEZNS1_24adjacent_difference_implIS3_Lb1ELb0EPS5_S8_N6thrust23THRUST_200600_302600_NS4plusIS5_EEEE10hipError_tPvRmT2_T3_mT4_P12ihipStream_tbEUlT_E_NS1_11comp_targetILNS1_3genE4ELNS1_11target_archE910ELNS1_3gpuE8ELNS1_3repE0EEENS1_30default_config_static_selectorELNS0_4arch9wavefront6targetE1EEEvT1_.kd
    .uniform_work_group_size: 1
    .uses_dynamic_stack: false
    .vgpr_count:     0
    .vgpr_spill_count: 0
    .wavefront_size: 64
  - .agpr_count:     0
    .args:
      - .offset:         0
        .size:           56
        .value_kind:     by_value
    .group_segment_fixed_size: 0
    .kernarg_segment_align: 8
    .kernarg_segment_size: 56
    .language:       OpenCL C
    .language_version:
      - 2
      - 0
    .max_flat_workgroup_size: 256
    .name:           _ZN7rocprim17ROCPRIM_400000_NS6detail17trampoline_kernelINS0_14default_configENS1_35adjacent_difference_config_selectorILb1E14custom_numericEEZNS1_24adjacent_difference_implIS3_Lb1ELb0EPS5_S8_N6thrust23THRUST_200600_302600_NS4plusIS5_EEEE10hipError_tPvRmT2_T3_mT4_P12ihipStream_tbEUlT_E_NS1_11comp_targetILNS1_3genE3ELNS1_11target_archE908ELNS1_3gpuE7ELNS1_3repE0EEENS1_30default_config_static_selectorELNS0_4arch9wavefront6targetE1EEEvT1_
    .private_segment_fixed_size: 0
    .sgpr_count:     6
    .sgpr_spill_count: 0
    .symbol:         _ZN7rocprim17ROCPRIM_400000_NS6detail17trampoline_kernelINS0_14default_configENS1_35adjacent_difference_config_selectorILb1E14custom_numericEEZNS1_24adjacent_difference_implIS3_Lb1ELb0EPS5_S8_N6thrust23THRUST_200600_302600_NS4plusIS5_EEEE10hipError_tPvRmT2_T3_mT4_P12ihipStream_tbEUlT_E_NS1_11comp_targetILNS1_3genE3ELNS1_11target_archE908ELNS1_3gpuE7ELNS1_3repE0EEENS1_30default_config_static_selectorELNS0_4arch9wavefront6targetE1EEEvT1_.kd
    .uniform_work_group_size: 1
    .uses_dynamic_stack: false
    .vgpr_count:     0
    .vgpr_spill_count: 0
    .wavefront_size: 64
  - .agpr_count:     0
    .args:
      - .offset:         0
        .size:           56
        .value_kind:     by_value
    .group_segment_fixed_size: 0
    .kernarg_segment_align: 8
    .kernarg_segment_size: 56
    .language:       OpenCL C
    .language_version:
      - 2
      - 0
    .max_flat_workgroup_size: 256
    .name:           _ZN7rocprim17ROCPRIM_400000_NS6detail17trampoline_kernelINS0_14default_configENS1_35adjacent_difference_config_selectorILb1E14custom_numericEEZNS1_24adjacent_difference_implIS3_Lb1ELb0EPS5_S8_N6thrust23THRUST_200600_302600_NS4plusIS5_EEEE10hipError_tPvRmT2_T3_mT4_P12ihipStream_tbEUlT_E_NS1_11comp_targetILNS1_3genE2ELNS1_11target_archE906ELNS1_3gpuE6ELNS1_3repE0EEENS1_30default_config_static_selectorELNS0_4arch9wavefront6targetE1EEEvT1_
    .private_segment_fixed_size: 0
    .sgpr_count:     6
    .sgpr_spill_count: 0
    .symbol:         _ZN7rocprim17ROCPRIM_400000_NS6detail17trampoline_kernelINS0_14default_configENS1_35adjacent_difference_config_selectorILb1E14custom_numericEEZNS1_24adjacent_difference_implIS3_Lb1ELb0EPS5_S8_N6thrust23THRUST_200600_302600_NS4plusIS5_EEEE10hipError_tPvRmT2_T3_mT4_P12ihipStream_tbEUlT_E_NS1_11comp_targetILNS1_3genE2ELNS1_11target_archE906ELNS1_3gpuE6ELNS1_3repE0EEENS1_30default_config_static_selectorELNS0_4arch9wavefront6targetE1EEEvT1_.kd
    .uniform_work_group_size: 1
    .uses_dynamic_stack: false
    .vgpr_count:     0
    .vgpr_spill_count: 0
    .wavefront_size: 64
  - .agpr_count:     0
    .args:
      - .offset:         0
        .size:           56
        .value_kind:     by_value
    .group_segment_fixed_size: 0
    .kernarg_segment_align: 8
    .kernarg_segment_size: 56
    .language:       OpenCL C
    .language_version:
      - 2
      - 0
    .max_flat_workgroup_size: 256
    .name:           _ZN7rocprim17ROCPRIM_400000_NS6detail17trampoline_kernelINS0_14default_configENS1_35adjacent_difference_config_selectorILb1E14custom_numericEEZNS1_24adjacent_difference_implIS3_Lb1ELb0EPS5_S8_N6thrust23THRUST_200600_302600_NS4plusIS5_EEEE10hipError_tPvRmT2_T3_mT4_P12ihipStream_tbEUlT_E_NS1_11comp_targetILNS1_3genE9ELNS1_11target_archE1100ELNS1_3gpuE3ELNS1_3repE0EEENS1_30default_config_static_selectorELNS0_4arch9wavefront6targetE1EEEvT1_
    .private_segment_fixed_size: 0
    .sgpr_count:     6
    .sgpr_spill_count: 0
    .symbol:         _ZN7rocprim17ROCPRIM_400000_NS6detail17trampoline_kernelINS0_14default_configENS1_35adjacent_difference_config_selectorILb1E14custom_numericEEZNS1_24adjacent_difference_implIS3_Lb1ELb0EPS5_S8_N6thrust23THRUST_200600_302600_NS4plusIS5_EEEE10hipError_tPvRmT2_T3_mT4_P12ihipStream_tbEUlT_E_NS1_11comp_targetILNS1_3genE9ELNS1_11target_archE1100ELNS1_3gpuE3ELNS1_3repE0EEENS1_30default_config_static_selectorELNS0_4arch9wavefront6targetE1EEEvT1_.kd
    .uniform_work_group_size: 1
    .uses_dynamic_stack: false
    .vgpr_count:     0
    .vgpr_spill_count: 0
    .wavefront_size: 64
  - .agpr_count:     0
    .args:
      - .offset:         0
        .size:           56
        .value_kind:     by_value
    .group_segment_fixed_size: 0
    .kernarg_segment_align: 8
    .kernarg_segment_size: 56
    .language:       OpenCL C
    .language_version:
      - 2
      - 0
    .max_flat_workgroup_size: 256
    .name:           _ZN7rocprim17ROCPRIM_400000_NS6detail17trampoline_kernelINS0_14default_configENS1_35adjacent_difference_config_selectorILb1E14custom_numericEEZNS1_24adjacent_difference_implIS3_Lb1ELb0EPS5_S8_N6thrust23THRUST_200600_302600_NS4plusIS5_EEEE10hipError_tPvRmT2_T3_mT4_P12ihipStream_tbEUlT_E_NS1_11comp_targetILNS1_3genE8ELNS1_11target_archE1030ELNS1_3gpuE2ELNS1_3repE0EEENS1_30default_config_static_selectorELNS0_4arch9wavefront6targetE1EEEvT1_
    .private_segment_fixed_size: 0
    .sgpr_count:     6
    .sgpr_spill_count: 0
    .symbol:         _ZN7rocprim17ROCPRIM_400000_NS6detail17trampoline_kernelINS0_14default_configENS1_35adjacent_difference_config_selectorILb1E14custom_numericEEZNS1_24adjacent_difference_implIS3_Lb1ELb0EPS5_S8_N6thrust23THRUST_200600_302600_NS4plusIS5_EEEE10hipError_tPvRmT2_T3_mT4_P12ihipStream_tbEUlT_E_NS1_11comp_targetILNS1_3genE8ELNS1_11target_archE1030ELNS1_3gpuE2ELNS1_3repE0EEENS1_30default_config_static_selectorELNS0_4arch9wavefront6targetE1EEEvT1_.kd
    .uniform_work_group_size: 1
    .uses_dynamic_stack: false
    .vgpr_count:     0
    .vgpr_spill_count: 0
    .wavefront_size: 64
  - .agpr_count:     0
    .args:
      - .offset:         0
        .size:           16
        .value_kind:     by_value
      - .offset:         16
        .size:           8
        .value_kind:     by_value
      - .offset:         24
        .size:           8
        .value_kind:     by_value
    .group_segment_fixed_size: 0
    .kernarg_segment_align: 8
    .kernarg_segment_size: 32
    .language:       OpenCL C
    .language_version:
      - 2
      - 0
    .max_flat_workgroup_size: 256
    .name:           _ZN6thrust23THRUST_200600_302600_NS11hip_rocprim14__parallel_for6kernelILj256ENS1_20__uninitialized_fill7functorINS0_7pointerIiNS1_3tagENS0_16tagged_referenceIiS7_EENS0_11use_defaultEEEiEEmLj1EEEvT0_T1_SE_
    .private_segment_fixed_size: 0
    .sgpr_count:     14
    .sgpr_spill_count: 0
    .symbol:         _ZN6thrust23THRUST_200600_302600_NS11hip_rocprim14__parallel_for6kernelILj256ENS1_20__uninitialized_fill7functorINS0_7pointerIiNS1_3tagENS0_16tagged_referenceIiS7_EENS0_11use_defaultEEEiEEmLj1EEEvT0_T1_SE_.kd
    .uniform_work_group_size: 1
    .uses_dynamic_stack: false
    .vgpr_count:     4
    .vgpr_spill_count: 0
    .wavefront_size: 64
  - .agpr_count:     0
    .args:
      - .offset:         0
        .size:           16
        .value_kind:     by_value
      - .offset:         16
        .size:           8
        .value_kind:     by_value
      - .offset:         24
        .size:           8
        .value_kind:     by_value
    .group_segment_fixed_size: 0
    .kernarg_segment_align: 8
    .kernarg_segment_size: 32
    .language:       OpenCL C
    .language_version:
      - 2
      - 0
    .max_flat_workgroup_size: 256
    .name:           _ZN6thrust23THRUST_200600_302600_NS11hip_rocprim14__parallel_for6kernelILj256ENS1_20__uninitialized_fill7functorINS0_7pointerIiNS1_3tagERiNS0_11use_defaultEEEiEEmLj1EEEvT0_T1_SD_
    .private_segment_fixed_size: 0
    .sgpr_count:     14
    .sgpr_spill_count: 0
    .symbol:         _ZN6thrust23THRUST_200600_302600_NS11hip_rocprim14__parallel_for6kernelILj256ENS1_20__uninitialized_fill7functorINS0_7pointerIiNS1_3tagERiNS0_11use_defaultEEEiEEmLj1EEEvT0_T1_SD_.kd
    .uniform_work_group_size: 1
    .uses_dynamic_stack: false
    .vgpr_count:     4
    .vgpr_spill_count: 0
    .wavefront_size: 64
  - .agpr_count:     0
    .args:
      - .offset:         0
        .size:           16
        .value_kind:     by_value
      - .offset:         16
        .size:           8
        .value_kind:     by_value
      - .offset:         24
        .size:           8
        .value_kind:     by_value
    .group_segment_fixed_size: 0
    .kernarg_segment_align: 8
    .kernarg_segment_size: 32
    .language:       OpenCL C
    .language_version:
      - 2
      - 0
    .max_flat_workgroup_size: 256
    .name:           _ZN6thrust23THRUST_200600_302600_NS11hip_rocprim14__parallel_for6kernelILj256ENS1_20__uninitialized_fill7functorINS0_10device_ptrIhEEhEEmLj1EEEvT0_T1_SA_
    .private_segment_fixed_size: 0
    .sgpr_count:     14
    .sgpr_spill_count: 0
    .symbol:         _ZN6thrust23THRUST_200600_302600_NS11hip_rocprim14__parallel_for6kernelILj256ENS1_20__uninitialized_fill7functorINS0_10device_ptrIhEEhEEmLj1EEEvT0_T1_SA_.kd
    .uniform_work_group_size: 1
    .uses_dynamic_stack: false
    .vgpr_count:     4
    .vgpr_spill_count: 0
    .wavefront_size: 64
  - .agpr_count:     0
    .args:
      - .offset:         0
        .size:           56
        .value_kind:     by_value
    .group_segment_fixed_size: 0
    .kernarg_segment_align: 8
    .kernarg_segment_size: 56
    .language:       OpenCL C
    .language_version:
      - 2
      - 0
    .max_flat_workgroup_size: 64
    .name:           _ZN7rocprim17ROCPRIM_400000_NS6detail17trampoline_kernelINS0_14default_configENS1_35adjacent_difference_config_selectorILb0EhEEZNS1_24adjacent_difference_implIS3_Lb0ELb0EPhS7_N6thrust23THRUST_200600_302600_NS5minusIhEEEE10hipError_tPvRmT2_T3_mT4_P12ihipStream_tbEUlT_E_NS1_11comp_targetILNS1_3genE0ELNS1_11target_archE4294967295ELNS1_3gpuE0ELNS1_3repE0EEENS1_30default_config_static_selectorELNS0_4arch9wavefront6targetE1EEEvT1_
    .private_segment_fixed_size: 0
    .sgpr_count:     6
    .sgpr_spill_count: 0
    .symbol:         _ZN7rocprim17ROCPRIM_400000_NS6detail17trampoline_kernelINS0_14default_configENS1_35adjacent_difference_config_selectorILb0EhEEZNS1_24adjacent_difference_implIS3_Lb0ELb0EPhS7_N6thrust23THRUST_200600_302600_NS5minusIhEEEE10hipError_tPvRmT2_T3_mT4_P12ihipStream_tbEUlT_E_NS1_11comp_targetILNS1_3genE0ELNS1_11target_archE4294967295ELNS1_3gpuE0ELNS1_3repE0EEENS1_30default_config_static_selectorELNS0_4arch9wavefront6targetE1EEEvT1_.kd
    .uniform_work_group_size: 1
    .uses_dynamic_stack: false
    .vgpr_count:     0
    .vgpr_spill_count: 0
    .wavefront_size: 64
  - .agpr_count:     0
    .args:
      - .offset:         0
        .size:           56
        .value_kind:     by_value
    .group_segment_fixed_size: 0
    .kernarg_segment_align: 8
    .kernarg_segment_size: 56
    .language:       OpenCL C
    .language_version:
      - 2
      - 0
    .max_flat_workgroup_size: 1024
    .name:           _ZN7rocprim17ROCPRIM_400000_NS6detail17trampoline_kernelINS0_14default_configENS1_35adjacent_difference_config_selectorILb0EhEEZNS1_24adjacent_difference_implIS3_Lb0ELb0EPhS7_N6thrust23THRUST_200600_302600_NS5minusIhEEEE10hipError_tPvRmT2_T3_mT4_P12ihipStream_tbEUlT_E_NS1_11comp_targetILNS1_3genE10ELNS1_11target_archE1201ELNS1_3gpuE5ELNS1_3repE0EEENS1_30default_config_static_selectorELNS0_4arch9wavefront6targetE1EEEvT1_
    .private_segment_fixed_size: 0
    .sgpr_count:     6
    .sgpr_spill_count: 0
    .symbol:         _ZN7rocprim17ROCPRIM_400000_NS6detail17trampoline_kernelINS0_14default_configENS1_35adjacent_difference_config_selectorILb0EhEEZNS1_24adjacent_difference_implIS3_Lb0ELb0EPhS7_N6thrust23THRUST_200600_302600_NS5minusIhEEEE10hipError_tPvRmT2_T3_mT4_P12ihipStream_tbEUlT_E_NS1_11comp_targetILNS1_3genE10ELNS1_11target_archE1201ELNS1_3gpuE5ELNS1_3repE0EEENS1_30default_config_static_selectorELNS0_4arch9wavefront6targetE1EEEvT1_.kd
    .uniform_work_group_size: 1
    .uses_dynamic_stack: false
    .vgpr_count:     0
    .vgpr_spill_count: 0
    .wavefront_size: 64
  - .agpr_count:     0
    .args:
      - .offset:         0
        .size:           56
        .value_kind:     by_value
    .group_segment_fixed_size: 2432
    .kernarg_segment_align: 8
    .kernarg_segment_size: 56
    .language:       OpenCL C
    .language_version:
      - 2
      - 0
    .max_flat_workgroup_size: 128
    .name:           _ZN7rocprim17ROCPRIM_400000_NS6detail17trampoline_kernelINS0_14default_configENS1_35adjacent_difference_config_selectorILb0EhEEZNS1_24adjacent_difference_implIS3_Lb0ELb0EPhS7_N6thrust23THRUST_200600_302600_NS5minusIhEEEE10hipError_tPvRmT2_T3_mT4_P12ihipStream_tbEUlT_E_NS1_11comp_targetILNS1_3genE5ELNS1_11target_archE942ELNS1_3gpuE9ELNS1_3repE0EEENS1_30default_config_static_selectorELNS0_4arch9wavefront6targetE1EEEvT1_
    .private_segment_fixed_size: 0
    .sgpr_count:     28
    .sgpr_spill_count: 0
    .symbol:         _ZN7rocprim17ROCPRIM_400000_NS6detail17trampoline_kernelINS0_14default_configENS1_35adjacent_difference_config_selectorILb0EhEEZNS1_24adjacent_difference_implIS3_Lb0ELb0EPhS7_N6thrust23THRUST_200600_302600_NS5minusIhEEEE10hipError_tPvRmT2_T3_mT4_P12ihipStream_tbEUlT_E_NS1_11comp_targetILNS1_3genE5ELNS1_11target_archE942ELNS1_3gpuE9ELNS1_3repE0EEENS1_30default_config_static_selectorELNS0_4arch9wavefront6targetE1EEEvT1_.kd
    .uniform_work_group_size: 1
    .uses_dynamic_stack: false
    .vgpr_count:     34
    .vgpr_spill_count: 0
    .wavefront_size: 64
  - .agpr_count:     0
    .args:
      - .offset:         0
        .size:           56
        .value_kind:     by_value
    .group_segment_fixed_size: 0
    .kernarg_segment_align: 8
    .kernarg_segment_size: 56
    .language:       OpenCL C
    .language_version:
      - 2
      - 0
    .max_flat_workgroup_size: 64
    .name:           _ZN7rocprim17ROCPRIM_400000_NS6detail17trampoline_kernelINS0_14default_configENS1_35adjacent_difference_config_selectorILb0EhEEZNS1_24adjacent_difference_implIS3_Lb0ELb0EPhS7_N6thrust23THRUST_200600_302600_NS5minusIhEEEE10hipError_tPvRmT2_T3_mT4_P12ihipStream_tbEUlT_E_NS1_11comp_targetILNS1_3genE4ELNS1_11target_archE910ELNS1_3gpuE8ELNS1_3repE0EEENS1_30default_config_static_selectorELNS0_4arch9wavefront6targetE1EEEvT1_
    .private_segment_fixed_size: 0
    .sgpr_count:     6
    .sgpr_spill_count: 0
    .symbol:         _ZN7rocprim17ROCPRIM_400000_NS6detail17trampoline_kernelINS0_14default_configENS1_35adjacent_difference_config_selectorILb0EhEEZNS1_24adjacent_difference_implIS3_Lb0ELb0EPhS7_N6thrust23THRUST_200600_302600_NS5minusIhEEEE10hipError_tPvRmT2_T3_mT4_P12ihipStream_tbEUlT_E_NS1_11comp_targetILNS1_3genE4ELNS1_11target_archE910ELNS1_3gpuE8ELNS1_3repE0EEENS1_30default_config_static_selectorELNS0_4arch9wavefront6targetE1EEEvT1_.kd
    .uniform_work_group_size: 1
    .uses_dynamic_stack: false
    .vgpr_count:     0
    .vgpr_spill_count: 0
    .wavefront_size: 64
  - .agpr_count:     0
    .args:
      - .offset:         0
        .size:           56
        .value_kind:     by_value
    .group_segment_fixed_size: 0
    .kernarg_segment_align: 8
    .kernarg_segment_size: 56
    .language:       OpenCL C
    .language_version:
      - 2
      - 0
    .max_flat_workgroup_size: 64
    .name:           _ZN7rocprim17ROCPRIM_400000_NS6detail17trampoline_kernelINS0_14default_configENS1_35adjacent_difference_config_selectorILb0EhEEZNS1_24adjacent_difference_implIS3_Lb0ELb0EPhS7_N6thrust23THRUST_200600_302600_NS5minusIhEEEE10hipError_tPvRmT2_T3_mT4_P12ihipStream_tbEUlT_E_NS1_11comp_targetILNS1_3genE3ELNS1_11target_archE908ELNS1_3gpuE7ELNS1_3repE0EEENS1_30default_config_static_selectorELNS0_4arch9wavefront6targetE1EEEvT1_
    .private_segment_fixed_size: 0
    .sgpr_count:     6
    .sgpr_spill_count: 0
    .symbol:         _ZN7rocprim17ROCPRIM_400000_NS6detail17trampoline_kernelINS0_14default_configENS1_35adjacent_difference_config_selectorILb0EhEEZNS1_24adjacent_difference_implIS3_Lb0ELb0EPhS7_N6thrust23THRUST_200600_302600_NS5minusIhEEEE10hipError_tPvRmT2_T3_mT4_P12ihipStream_tbEUlT_E_NS1_11comp_targetILNS1_3genE3ELNS1_11target_archE908ELNS1_3gpuE7ELNS1_3repE0EEENS1_30default_config_static_selectorELNS0_4arch9wavefront6targetE1EEEvT1_.kd
    .uniform_work_group_size: 1
    .uses_dynamic_stack: false
    .vgpr_count:     0
    .vgpr_spill_count: 0
    .wavefront_size: 64
  - .agpr_count:     0
    .args:
      - .offset:         0
        .size:           56
        .value_kind:     by_value
    .group_segment_fixed_size: 0
    .kernarg_segment_align: 8
    .kernarg_segment_size: 56
    .language:       OpenCL C
    .language_version:
      - 2
      - 0
    .max_flat_workgroup_size: 64
    .name:           _ZN7rocprim17ROCPRIM_400000_NS6detail17trampoline_kernelINS0_14default_configENS1_35adjacent_difference_config_selectorILb0EhEEZNS1_24adjacent_difference_implIS3_Lb0ELb0EPhS7_N6thrust23THRUST_200600_302600_NS5minusIhEEEE10hipError_tPvRmT2_T3_mT4_P12ihipStream_tbEUlT_E_NS1_11comp_targetILNS1_3genE2ELNS1_11target_archE906ELNS1_3gpuE6ELNS1_3repE0EEENS1_30default_config_static_selectorELNS0_4arch9wavefront6targetE1EEEvT1_
    .private_segment_fixed_size: 0
    .sgpr_count:     6
    .sgpr_spill_count: 0
    .symbol:         _ZN7rocprim17ROCPRIM_400000_NS6detail17trampoline_kernelINS0_14default_configENS1_35adjacent_difference_config_selectorILb0EhEEZNS1_24adjacent_difference_implIS3_Lb0ELb0EPhS7_N6thrust23THRUST_200600_302600_NS5minusIhEEEE10hipError_tPvRmT2_T3_mT4_P12ihipStream_tbEUlT_E_NS1_11comp_targetILNS1_3genE2ELNS1_11target_archE906ELNS1_3gpuE6ELNS1_3repE0EEENS1_30default_config_static_selectorELNS0_4arch9wavefront6targetE1EEEvT1_.kd
    .uniform_work_group_size: 1
    .uses_dynamic_stack: false
    .vgpr_count:     0
    .vgpr_spill_count: 0
    .wavefront_size: 64
  - .agpr_count:     0
    .args:
      - .offset:         0
        .size:           56
        .value_kind:     by_value
    .group_segment_fixed_size: 0
    .kernarg_segment_align: 8
    .kernarg_segment_size: 56
    .language:       OpenCL C
    .language_version:
      - 2
      - 0
    .max_flat_workgroup_size: 64
    .name:           _ZN7rocprim17ROCPRIM_400000_NS6detail17trampoline_kernelINS0_14default_configENS1_35adjacent_difference_config_selectorILb0EhEEZNS1_24adjacent_difference_implIS3_Lb0ELb0EPhS7_N6thrust23THRUST_200600_302600_NS5minusIhEEEE10hipError_tPvRmT2_T3_mT4_P12ihipStream_tbEUlT_E_NS1_11comp_targetILNS1_3genE9ELNS1_11target_archE1100ELNS1_3gpuE3ELNS1_3repE0EEENS1_30default_config_static_selectorELNS0_4arch9wavefront6targetE1EEEvT1_
    .private_segment_fixed_size: 0
    .sgpr_count:     6
    .sgpr_spill_count: 0
    .symbol:         _ZN7rocprim17ROCPRIM_400000_NS6detail17trampoline_kernelINS0_14default_configENS1_35adjacent_difference_config_selectorILb0EhEEZNS1_24adjacent_difference_implIS3_Lb0ELb0EPhS7_N6thrust23THRUST_200600_302600_NS5minusIhEEEE10hipError_tPvRmT2_T3_mT4_P12ihipStream_tbEUlT_E_NS1_11comp_targetILNS1_3genE9ELNS1_11target_archE1100ELNS1_3gpuE3ELNS1_3repE0EEENS1_30default_config_static_selectorELNS0_4arch9wavefront6targetE1EEEvT1_.kd
    .uniform_work_group_size: 1
    .uses_dynamic_stack: false
    .vgpr_count:     0
    .vgpr_spill_count: 0
    .wavefront_size: 64
  - .agpr_count:     0
    .args:
      - .offset:         0
        .size:           56
        .value_kind:     by_value
    .group_segment_fixed_size: 0
    .kernarg_segment_align: 8
    .kernarg_segment_size: 56
    .language:       OpenCL C
    .language_version:
      - 2
      - 0
    .max_flat_workgroup_size: 64
    .name:           _ZN7rocprim17ROCPRIM_400000_NS6detail17trampoline_kernelINS0_14default_configENS1_35adjacent_difference_config_selectorILb0EhEEZNS1_24adjacent_difference_implIS3_Lb0ELb0EPhS7_N6thrust23THRUST_200600_302600_NS5minusIhEEEE10hipError_tPvRmT2_T3_mT4_P12ihipStream_tbEUlT_E_NS1_11comp_targetILNS1_3genE8ELNS1_11target_archE1030ELNS1_3gpuE2ELNS1_3repE0EEENS1_30default_config_static_selectorELNS0_4arch9wavefront6targetE1EEEvT1_
    .private_segment_fixed_size: 0
    .sgpr_count:     6
    .sgpr_spill_count: 0
    .symbol:         _ZN7rocprim17ROCPRIM_400000_NS6detail17trampoline_kernelINS0_14default_configENS1_35adjacent_difference_config_selectorILb0EhEEZNS1_24adjacent_difference_implIS3_Lb0ELb0EPhS7_N6thrust23THRUST_200600_302600_NS5minusIhEEEE10hipError_tPvRmT2_T3_mT4_P12ihipStream_tbEUlT_E_NS1_11comp_targetILNS1_3genE8ELNS1_11target_archE1030ELNS1_3gpuE2ELNS1_3repE0EEENS1_30default_config_static_selectorELNS0_4arch9wavefront6targetE1EEEvT1_.kd
    .uniform_work_group_size: 1
    .uses_dynamic_stack: false
    .vgpr_count:     0
    .vgpr_spill_count: 0
    .wavefront_size: 64
  - .agpr_count:     0
    .args:
      - .offset:         0
        .size:           56
        .value_kind:     by_value
    .group_segment_fixed_size: 0
    .kernarg_segment_align: 8
    .kernarg_segment_size: 56
    .language:       OpenCL C
    .language_version:
      - 2
      - 0
    .max_flat_workgroup_size: 128
    .name:           _ZN7rocprim17ROCPRIM_400000_NS6detail17trampoline_kernelINS0_14default_configENS1_25transform_config_selectorIhLb0EEEZNS1_14transform_implILb0ES3_S5_NS0_18transform_iteratorINS0_17counting_iteratorImlEEZNS1_24adjacent_difference_implIS3_Lb1ELb0EPhSB_N6thrust23THRUST_200600_302600_NS5minusIhEEEE10hipError_tPvRmT2_T3_mT4_P12ihipStream_tbEUlmE_hEESB_NS0_8identityIvEEEESG_SJ_SK_mSL_SN_bEUlT_E_NS1_11comp_targetILNS1_3genE0ELNS1_11target_archE4294967295ELNS1_3gpuE0ELNS1_3repE0EEENS1_30default_config_static_selectorELNS0_4arch9wavefront6targetE1EEEvT1_
    .private_segment_fixed_size: 0
    .sgpr_count:     6
    .sgpr_spill_count: 0
    .symbol:         _ZN7rocprim17ROCPRIM_400000_NS6detail17trampoline_kernelINS0_14default_configENS1_25transform_config_selectorIhLb0EEEZNS1_14transform_implILb0ES3_S5_NS0_18transform_iteratorINS0_17counting_iteratorImlEEZNS1_24adjacent_difference_implIS3_Lb1ELb0EPhSB_N6thrust23THRUST_200600_302600_NS5minusIhEEEE10hipError_tPvRmT2_T3_mT4_P12ihipStream_tbEUlmE_hEESB_NS0_8identityIvEEEESG_SJ_SK_mSL_SN_bEUlT_E_NS1_11comp_targetILNS1_3genE0ELNS1_11target_archE4294967295ELNS1_3gpuE0ELNS1_3repE0EEENS1_30default_config_static_selectorELNS0_4arch9wavefront6targetE1EEEvT1_.kd
    .uniform_work_group_size: 1
    .uses_dynamic_stack: false
    .vgpr_count:     0
    .vgpr_spill_count: 0
    .wavefront_size: 64
  - .agpr_count:     0
    .args:
      - .offset:         0
        .size:           56
        .value_kind:     by_value
      - .offset:         56
        .size:           4
        .value_kind:     hidden_block_count_x
      - .offset:         60
        .size:           4
        .value_kind:     hidden_block_count_y
      - .offset:         64
        .size:           4
        .value_kind:     hidden_block_count_z
      - .offset:         68
        .size:           2
        .value_kind:     hidden_group_size_x
      - .offset:         70
        .size:           2
        .value_kind:     hidden_group_size_y
      - .offset:         72
        .size:           2
        .value_kind:     hidden_group_size_z
      - .offset:         74
        .size:           2
        .value_kind:     hidden_remainder_x
      - .offset:         76
        .size:           2
        .value_kind:     hidden_remainder_y
      - .offset:         78
        .size:           2
        .value_kind:     hidden_remainder_z
      - .offset:         96
        .size:           8
        .value_kind:     hidden_global_offset_x
      - .offset:         104
        .size:           8
        .value_kind:     hidden_global_offset_y
      - .offset:         112
        .size:           8
        .value_kind:     hidden_global_offset_z
      - .offset:         120
        .size:           2
        .value_kind:     hidden_grid_dims
    .group_segment_fixed_size: 0
    .kernarg_segment_align: 8
    .kernarg_segment_size: 312
    .language:       OpenCL C
    .language_version:
      - 2
      - 0
    .max_flat_workgroup_size: 1024
    .name:           _ZN7rocprim17ROCPRIM_400000_NS6detail17trampoline_kernelINS0_14default_configENS1_25transform_config_selectorIhLb0EEEZNS1_14transform_implILb0ES3_S5_NS0_18transform_iteratorINS0_17counting_iteratorImlEEZNS1_24adjacent_difference_implIS3_Lb1ELb0EPhSB_N6thrust23THRUST_200600_302600_NS5minusIhEEEE10hipError_tPvRmT2_T3_mT4_P12ihipStream_tbEUlmE_hEESB_NS0_8identityIvEEEESG_SJ_SK_mSL_SN_bEUlT_E_NS1_11comp_targetILNS1_3genE5ELNS1_11target_archE942ELNS1_3gpuE9ELNS1_3repE0EEENS1_30default_config_static_selectorELNS0_4arch9wavefront6targetE1EEEvT1_
    .private_segment_fixed_size: 0
    .sgpr_count:     33
    .sgpr_spill_count: 0
    .symbol:         _ZN7rocprim17ROCPRIM_400000_NS6detail17trampoline_kernelINS0_14default_configENS1_25transform_config_selectorIhLb0EEEZNS1_14transform_implILb0ES3_S5_NS0_18transform_iteratorINS0_17counting_iteratorImlEEZNS1_24adjacent_difference_implIS3_Lb1ELb0EPhSB_N6thrust23THRUST_200600_302600_NS5minusIhEEEE10hipError_tPvRmT2_T3_mT4_P12ihipStream_tbEUlmE_hEESB_NS0_8identityIvEEEESG_SJ_SK_mSL_SN_bEUlT_E_NS1_11comp_targetILNS1_3genE5ELNS1_11target_archE942ELNS1_3gpuE9ELNS1_3repE0EEENS1_30default_config_static_selectorELNS0_4arch9wavefront6targetE1EEEvT1_.kd
    .uniform_work_group_size: 1
    .uses_dynamic_stack: false
    .vgpr_count:     15
    .vgpr_spill_count: 0
    .wavefront_size: 64
  - .agpr_count:     0
    .args:
      - .offset:         0
        .size:           56
        .value_kind:     by_value
    .group_segment_fixed_size: 0
    .kernarg_segment_align: 8
    .kernarg_segment_size: 56
    .language:       OpenCL C
    .language_version:
      - 2
      - 0
    .max_flat_workgroup_size: 64
    .name:           _ZN7rocprim17ROCPRIM_400000_NS6detail17trampoline_kernelINS0_14default_configENS1_25transform_config_selectorIhLb0EEEZNS1_14transform_implILb0ES3_S5_NS0_18transform_iteratorINS0_17counting_iteratorImlEEZNS1_24adjacent_difference_implIS3_Lb1ELb0EPhSB_N6thrust23THRUST_200600_302600_NS5minusIhEEEE10hipError_tPvRmT2_T3_mT4_P12ihipStream_tbEUlmE_hEESB_NS0_8identityIvEEEESG_SJ_SK_mSL_SN_bEUlT_E_NS1_11comp_targetILNS1_3genE4ELNS1_11target_archE910ELNS1_3gpuE8ELNS1_3repE0EEENS1_30default_config_static_selectorELNS0_4arch9wavefront6targetE1EEEvT1_
    .private_segment_fixed_size: 0
    .sgpr_count:     6
    .sgpr_spill_count: 0
    .symbol:         _ZN7rocprim17ROCPRIM_400000_NS6detail17trampoline_kernelINS0_14default_configENS1_25transform_config_selectorIhLb0EEEZNS1_14transform_implILb0ES3_S5_NS0_18transform_iteratorINS0_17counting_iteratorImlEEZNS1_24adjacent_difference_implIS3_Lb1ELb0EPhSB_N6thrust23THRUST_200600_302600_NS5minusIhEEEE10hipError_tPvRmT2_T3_mT4_P12ihipStream_tbEUlmE_hEESB_NS0_8identityIvEEEESG_SJ_SK_mSL_SN_bEUlT_E_NS1_11comp_targetILNS1_3genE4ELNS1_11target_archE910ELNS1_3gpuE8ELNS1_3repE0EEENS1_30default_config_static_selectorELNS0_4arch9wavefront6targetE1EEEvT1_.kd
    .uniform_work_group_size: 1
    .uses_dynamic_stack: false
    .vgpr_count:     0
    .vgpr_spill_count: 0
    .wavefront_size: 64
  - .agpr_count:     0
    .args:
      - .offset:         0
        .size:           56
        .value_kind:     by_value
    .group_segment_fixed_size: 0
    .kernarg_segment_align: 8
    .kernarg_segment_size: 56
    .language:       OpenCL C
    .language_version:
      - 2
      - 0
    .max_flat_workgroup_size: 128
    .name:           _ZN7rocprim17ROCPRIM_400000_NS6detail17trampoline_kernelINS0_14default_configENS1_25transform_config_selectorIhLb0EEEZNS1_14transform_implILb0ES3_S5_NS0_18transform_iteratorINS0_17counting_iteratorImlEEZNS1_24adjacent_difference_implIS3_Lb1ELb0EPhSB_N6thrust23THRUST_200600_302600_NS5minusIhEEEE10hipError_tPvRmT2_T3_mT4_P12ihipStream_tbEUlmE_hEESB_NS0_8identityIvEEEESG_SJ_SK_mSL_SN_bEUlT_E_NS1_11comp_targetILNS1_3genE3ELNS1_11target_archE908ELNS1_3gpuE7ELNS1_3repE0EEENS1_30default_config_static_selectorELNS0_4arch9wavefront6targetE1EEEvT1_
    .private_segment_fixed_size: 0
    .sgpr_count:     6
    .sgpr_spill_count: 0
    .symbol:         _ZN7rocprim17ROCPRIM_400000_NS6detail17trampoline_kernelINS0_14default_configENS1_25transform_config_selectorIhLb0EEEZNS1_14transform_implILb0ES3_S5_NS0_18transform_iteratorINS0_17counting_iteratorImlEEZNS1_24adjacent_difference_implIS3_Lb1ELb0EPhSB_N6thrust23THRUST_200600_302600_NS5minusIhEEEE10hipError_tPvRmT2_T3_mT4_P12ihipStream_tbEUlmE_hEESB_NS0_8identityIvEEEESG_SJ_SK_mSL_SN_bEUlT_E_NS1_11comp_targetILNS1_3genE3ELNS1_11target_archE908ELNS1_3gpuE7ELNS1_3repE0EEENS1_30default_config_static_selectorELNS0_4arch9wavefront6targetE1EEEvT1_.kd
    .uniform_work_group_size: 1
    .uses_dynamic_stack: false
    .vgpr_count:     0
    .vgpr_spill_count: 0
    .wavefront_size: 64
  - .agpr_count:     0
    .args:
      - .offset:         0
        .size:           56
        .value_kind:     by_value
    .group_segment_fixed_size: 0
    .kernarg_segment_align: 8
    .kernarg_segment_size: 56
    .language:       OpenCL C
    .language_version:
      - 2
      - 0
    .max_flat_workgroup_size: 64
    .name:           _ZN7rocprim17ROCPRIM_400000_NS6detail17trampoline_kernelINS0_14default_configENS1_25transform_config_selectorIhLb0EEEZNS1_14transform_implILb0ES3_S5_NS0_18transform_iteratorINS0_17counting_iteratorImlEEZNS1_24adjacent_difference_implIS3_Lb1ELb0EPhSB_N6thrust23THRUST_200600_302600_NS5minusIhEEEE10hipError_tPvRmT2_T3_mT4_P12ihipStream_tbEUlmE_hEESB_NS0_8identityIvEEEESG_SJ_SK_mSL_SN_bEUlT_E_NS1_11comp_targetILNS1_3genE2ELNS1_11target_archE906ELNS1_3gpuE6ELNS1_3repE0EEENS1_30default_config_static_selectorELNS0_4arch9wavefront6targetE1EEEvT1_
    .private_segment_fixed_size: 0
    .sgpr_count:     6
    .sgpr_spill_count: 0
    .symbol:         _ZN7rocprim17ROCPRIM_400000_NS6detail17trampoline_kernelINS0_14default_configENS1_25transform_config_selectorIhLb0EEEZNS1_14transform_implILb0ES3_S5_NS0_18transform_iteratorINS0_17counting_iteratorImlEEZNS1_24adjacent_difference_implIS3_Lb1ELb0EPhSB_N6thrust23THRUST_200600_302600_NS5minusIhEEEE10hipError_tPvRmT2_T3_mT4_P12ihipStream_tbEUlmE_hEESB_NS0_8identityIvEEEESG_SJ_SK_mSL_SN_bEUlT_E_NS1_11comp_targetILNS1_3genE2ELNS1_11target_archE906ELNS1_3gpuE6ELNS1_3repE0EEENS1_30default_config_static_selectorELNS0_4arch9wavefront6targetE1EEEvT1_.kd
    .uniform_work_group_size: 1
    .uses_dynamic_stack: false
    .vgpr_count:     0
    .vgpr_spill_count: 0
    .wavefront_size: 64
  - .agpr_count:     0
    .args:
      - .offset:         0
        .size:           56
        .value_kind:     by_value
    .group_segment_fixed_size: 0
    .kernarg_segment_align: 8
    .kernarg_segment_size: 56
    .language:       OpenCL C
    .language_version:
      - 2
      - 0
    .max_flat_workgroup_size: 256
    .name:           _ZN7rocprim17ROCPRIM_400000_NS6detail17trampoline_kernelINS0_14default_configENS1_25transform_config_selectorIhLb0EEEZNS1_14transform_implILb0ES3_S5_NS0_18transform_iteratorINS0_17counting_iteratorImlEEZNS1_24adjacent_difference_implIS3_Lb1ELb0EPhSB_N6thrust23THRUST_200600_302600_NS5minusIhEEEE10hipError_tPvRmT2_T3_mT4_P12ihipStream_tbEUlmE_hEESB_NS0_8identityIvEEEESG_SJ_SK_mSL_SN_bEUlT_E_NS1_11comp_targetILNS1_3genE10ELNS1_11target_archE1201ELNS1_3gpuE5ELNS1_3repE0EEENS1_30default_config_static_selectorELNS0_4arch9wavefront6targetE1EEEvT1_
    .private_segment_fixed_size: 0
    .sgpr_count:     6
    .sgpr_spill_count: 0
    .symbol:         _ZN7rocprim17ROCPRIM_400000_NS6detail17trampoline_kernelINS0_14default_configENS1_25transform_config_selectorIhLb0EEEZNS1_14transform_implILb0ES3_S5_NS0_18transform_iteratorINS0_17counting_iteratorImlEEZNS1_24adjacent_difference_implIS3_Lb1ELb0EPhSB_N6thrust23THRUST_200600_302600_NS5minusIhEEEE10hipError_tPvRmT2_T3_mT4_P12ihipStream_tbEUlmE_hEESB_NS0_8identityIvEEEESG_SJ_SK_mSL_SN_bEUlT_E_NS1_11comp_targetILNS1_3genE10ELNS1_11target_archE1201ELNS1_3gpuE5ELNS1_3repE0EEENS1_30default_config_static_selectorELNS0_4arch9wavefront6targetE1EEEvT1_.kd
    .uniform_work_group_size: 1
    .uses_dynamic_stack: false
    .vgpr_count:     0
    .vgpr_spill_count: 0
    .wavefront_size: 64
  - .agpr_count:     0
    .args:
      - .offset:         0
        .size:           56
        .value_kind:     by_value
    .group_segment_fixed_size: 0
    .kernarg_segment_align: 8
    .kernarg_segment_size: 56
    .language:       OpenCL C
    .language_version:
      - 2
      - 0
    .max_flat_workgroup_size: 256
    .name:           _ZN7rocprim17ROCPRIM_400000_NS6detail17trampoline_kernelINS0_14default_configENS1_25transform_config_selectorIhLb0EEEZNS1_14transform_implILb0ES3_S5_NS0_18transform_iteratorINS0_17counting_iteratorImlEEZNS1_24adjacent_difference_implIS3_Lb1ELb0EPhSB_N6thrust23THRUST_200600_302600_NS5minusIhEEEE10hipError_tPvRmT2_T3_mT4_P12ihipStream_tbEUlmE_hEESB_NS0_8identityIvEEEESG_SJ_SK_mSL_SN_bEUlT_E_NS1_11comp_targetILNS1_3genE10ELNS1_11target_archE1200ELNS1_3gpuE4ELNS1_3repE0EEENS1_30default_config_static_selectorELNS0_4arch9wavefront6targetE1EEEvT1_
    .private_segment_fixed_size: 0
    .sgpr_count:     6
    .sgpr_spill_count: 0
    .symbol:         _ZN7rocprim17ROCPRIM_400000_NS6detail17trampoline_kernelINS0_14default_configENS1_25transform_config_selectorIhLb0EEEZNS1_14transform_implILb0ES3_S5_NS0_18transform_iteratorINS0_17counting_iteratorImlEEZNS1_24adjacent_difference_implIS3_Lb1ELb0EPhSB_N6thrust23THRUST_200600_302600_NS5minusIhEEEE10hipError_tPvRmT2_T3_mT4_P12ihipStream_tbEUlmE_hEESB_NS0_8identityIvEEEESG_SJ_SK_mSL_SN_bEUlT_E_NS1_11comp_targetILNS1_3genE10ELNS1_11target_archE1200ELNS1_3gpuE4ELNS1_3repE0EEENS1_30default_config_static_selectorELNS0_4arch9wavefront6targetE1EEEvT1_.kd
    .uniform_work_group_size: 1
    .uses_dynamic_stack: false
    .vgpr_count:     0
    .vgpr_spill_count: 0
    .wavefront_size: 64
  - .agpr_count:     0
    .args:
      - .offset:         0
        .size:           56
        .value_kind:     by_value
    .group_segment_fixed_size: 0
    .kernarg_segment_align: 8
    .kernarg_segment_size: 56
    .language:       OpenCL C
    .language_version:
      - 2
      - 0
    .max_flat_workgroup_size: 1024
    .name:           _ZN7rocprim17ROCPRIM_400000_NS6detail17trampoline_kernelINS0_14default_configENS1_25transform_config_selectorIhLb0EEEZNS1_14transform_implILb0ES3_S5_NS0_18transform_iteratorINS0_17counting_iteratorImlEEZNS1_24adjacent_difference_implIS3_Lb1ELb0EPhSB_N6thrust23THRUST_200600_302600_NS5minusIhEEEE10hipError_tPvRmT2_T3_mT4_P12ihipStream_tbEUlmE_hEESB_NS0_8identityIvEEEESG_SJ_SK_mSL_SN_bEUlT_E_NS1_11comp_targetILNS1_3genE9ELNS1_11target_archE1100ELNS1_3gpuE3ELNS1_3repE0EEENS1_30default_config_static_selectorELNS0_4arch9wavefront6targetE1EEEvT1_
    .private_segment_fixed_size: 0
    .sgpr_count:     6
    .sgpr_spill_count: 0
    .symbol:         _ZN7rocprim17ROCPRIM_400000_NS6detail17trampoline_kernelINS0_14default_configENS1_25transform_config_selectorIhLb0EEEZNS1_14transform_implILb0ES3_S5_NS0_18transform_iteratorINS0_17counting_iteratorImlEEZNS1_24adjacent_difference_implIS3_Lb1ELb0EPhSB_N6thrust23THRUST_200600_302600_NS5minusIhEEEE10hipError_tPvRmT2_T3_mT4_P12ihipStream_tbEUlmE_hEESB_NS0_8identityIvEEEESG_SJ_SK_mSL_SN_bEUlT_E_NS1_11comp_targetILNS1_3genE9ELNS1_11target_archE1100ELNS1_3gpuE3ELNS1_3repE0EEENS1_30default_config_static_selectorELNS0_4arch9wavefront6targetE1EEEvT1_.kd
    .uniform_work_group_size: 1
    .uses_dynamic_stack: false
    .vgpr_count:     0
    .vgpr_spill_count: 0
    .wavefront_size: 64
  - .agpr_count:     0
    .args:
      - .offset:         0
        .size:           56
        .value_kind:     by_value
    .group_segment_fixed_size: 0
    .kernarg_segment_align: 8
    .kernarg_segment_size: 56
    .language:       OpenCL C
    .language_version:
      - 2
      - 0
    .max_flat_workgroup_size: 128
    .name:           _ZN7rocprim17ROCPRIM_400000_NS6detail17trampoline_kernelINS0_14default_configENS1_25transform_config_selectorIhLb0EEEZNS1_14transform_implILb0ES3_S5_NS0_18transform_iteratorINS0_17counting_iteratorImlEEZNS1_24adjacent_difference_implIS3_Lb1ELb0EPhSB_N6thrust23THRUST_200600_302600_NS5minusIhEEEE10hipError_tPvRmT2_T3_mT4_P12ihipStream_tbEUlmE_hEESB_NS0_8identityIvEEEESG_SJ_SK_mSL_SN_bEUlT_E_NS1_11comp_targetILNS1_3genE8ELNS1_11target_archE1030ELNS1_3gpuE2ELNS1_3repE0EEENS1_30default_config_static_selectorELNS0_4arch9wavefront6targetE1EEEvT1_
    .private_segment_fixed_size: 0
    .sgpr_count:     6
    .sgpr_spill_count: 0
    .symbol:         _ZN7rocprim17ROCPRIM_400000_NS6detail17trampoline_kernelINS0_14default_configENS1_25transform_config_selectorIhLb0EEEZNS1_14transform_implILb0ES3_S5_NS0_18transform_iteratorINS0_17counting_iteratorImlEEZNS1_24adjacent_difference_implIS3_Lb1ELb0EPhSB_N6thrust23THRUST_200600_302600_NS5minusIhEEEE10hipError_tPvRmT2_T3_mT4_P12ihipStream_tbEUlmE_hEESB_NS0_8identityIvEEEESG_SJ_SK_mSL_SN_bEUlT_E_NS1_11comp_targetILNS1_3genE8ELNS1_11target_archE1030ELNS1_3gpuE2ELNS1_3repE0EEENS1_30default_config_static_selectorELNS0_4arch9wavefront6targetE1EEEvT1_.kd
    .uniform_work_group_size: 1
    .uses_dynamic_stack: false
    .vgpr_count:     0
    .vgpr_spill_count: 0
    .wavefront_size: 64
  - .agpr_count:     0
    .args:
      - .offset:         0
        .size:           56
        .value_kind:     by_value
    .group_segment_fixed_size: 0
    .kernarg_segment_align: 8
    .kernarg_segment_size: 56
    .language:       OpenCL C
    .language_version:
      - 2
      - 0
    .max_flat_workgroup_size: 64
    .name:           _ZN7rocprim17ROCPRIM_400000_NS6detail17trampoline_kernelINS0_14default_configENS1_35adjacent_difference_config_selectorILb1EhEEZNS1_24adjacent_difference_implIS3_Lb1ELb0EPhS7_N6thrust23THRUST_200600_302600_NS5minusIhEEEE10hipError_tPvRmT2_T3_mT4_P12ihipStream_tbEUlT_E_NS1_11comp_targetILNS1_3genE0ELNS1_11target_archE4294967295ELNS1_3gpuE0ELNS1_3repE0EEENS1_30default_config_static_selectorELNS0_4arch9wavefront6targetE1EEEvT1_
    .private_segment_fixed_size: 0
    .sgpr_count:     6
    .sgpr_spill_count: 0
    .symbol:         _ZN7rocprim17ROCPRIM_400000_NS6detail17trampoline_kernelINS0_14default_configENS1_35adjacent_difference_config_selectorILb1EhEEZNS1_24adjacent_difference_implIS3_Lb1ELb0EPhS7_N6thrust23THRUST_200600_302600_NS5minusIhEEEE10hipError_tPvRmT2_T3_mT4_P12ihipStream_tbEUlT_E_NS1_11comp_targetILNS1_3genE0ELNS1_11target_archE4294967295ELNS1_3gpuE0ELNS1_3repE0EEENS1_30default_config_static_selectorELNS0_4arch9wavefront6targetE1EEEvT1_.kd
    .uniform_work_group_size: 1
    .uses_dynamic_stack: false
    .vgpr_count:     0
    .vgpr_spill_count: 0
    .wavefront_size: 64
  - .agpr_count:     0
    .args:
      - .offset:         0
        .size:           56
        .value_kind:     by_value
    .group_segment_fixed_size: 0
    .kernarg_segment_align: 8
    .kernarg_segment_size: 56
    .language:       OpenCL C
    .language_version:
      - 2
      - 0
    .max_flat_workgroup_size: 128
    .name:           _ZN7rocprim17ROCPRIM_400000_NS6detail17trampoline_kernelINS0_14default_configENS1_35adjacent_difference_config_selectorILb1EhEEZNS1_24adjacent_difference_implIS3_Lb1ELb0EPhS7_N6thrust23THRUST_200600_302600_NS5minusIhEEEE10hipError_tPvRmT2_T3_mT4_P12ihipStream_tbEUlT_E_NS1_11comp_targetILNS1_3genE10ELNS1_11target_archE1201ELNS1_3gpuE5ELNS1_3repE0EEENS1_30default_config_static_selectorELNS0_4arch9wavefront6targetE1EEEvT1_
    .private_segment_fixed_size: 0
    .sgpr_count:     6
    .sgpr_spill_count: 0
    .symbol:         _ZN7rocprim17ROCPRIM_400000_NS6detail17trampoline_kernelINS0_14default_configENS1_35adjacent_difference_config_selectorILb1EhEEZNS1_24adjacent_difference_implIS3_Lb1ELb0EPhS7_N6thrust23THRUST_200600_302600_NS5minusIhEEEE10hipError_tPvRmT2_T3_mT4_P12ihipStream_tbEUlT_E_NS1_11comp_targetILNS1_3genE10ELNS1_11target_archE1201ELNS1_3gpuE5ELNS1_3repE0EEENS1_30default_config_static_selectorELNS0_4arch9wavefront6targetE1EEEvT1_.kd
    .uniform_work_group_size: 1
    .uses_dynamic_stack: false
    .vgpr_count:     0
    .vgpr_spill_count: 0
    .wavefront_size: 64
  - .agpr_count:     0
    .args:
      - .offset:         0
        .size:           56
        .value_kind:     by_value
    .group_segment_fixed_size: 2944
    .kernarg_segment_align: 8
    .kernarg_segment_size: 56
    .language:       OpenCL C
    .language_version:
      - 2
      - 0
    .max_flat_workgroup_size: 128
    .name:           _ZN7rocprim17ROCPRIM_400000_NS6detail17trampoline_kernelINS0_14default_configENS1_35adjacent_difference_config_selectorILb1EhEEZNS1_24adjacent_difference_implIS3_Lb1ELb0EPhS7_N6thrust23THRUST_200600_302600_NS5minusIhEEEE10hipError_tPvRmT2_T3_mT4_P12ihipStream_tbEUlT_E_NS1_11comp_targetILNS1_3genE5ELNS1_11target_archE942ELNS1_3gpuE9ELNS1_3repE0EEENS1_30default_config_static_selectorELNS0_4arch9wavefront6targetE1EEEvT1_
    .private_segment_fixed_size: 0
    .sgpr_count:     33
    .sgpr_spill_count: 0
    .symbol:         _ZN7rocprim17ROCPRIM_400000_NS6detail17trampoline_kernelINS0_14default_configENS1_35adjacent_difference_config_selectorILb1EhEEZNS1_24adjacent_difference_implIS3_Lb1ELb0EPhS7_N6thrust23THRUST_200600_302600_NS5minusIhEEEE10hipError_tPvRmT2_T3_mT4_P12ihipStream_tbEUlT_E_NS1_11comp_targetILNS1_3genE5ELNS1_11target_archE942ELNS1_3gpuE9ELNS1_3repE0EEENS1_30default_config_static_selectorELNS0_4arch9wavefront6targetE1EEEvT1_.kd
    .uniform_work_group_size: 1
    .uses_dynamic_stack: false
    .vgpr_count:     42
    .vgpr_spill_count: 0
    .wavefront_size: 64
  - .agpr_count:     0
    .args:
      - .offset:         0
        .size:           56
        .value_kind:     by_value
    .group_segment_fixed_size: 0
    .kernarg_segment_align: 8
    .kernarg_segment_size: 56
    .language:       OpenCL C
    .language_version:
      - 2
      - 0
    .max_flat_workgroup_size: 128
    .name:           _ZN7rocprim17ROCPRIM_400000_NS6detail17trampoline_kernelINS0_14default_configENS1_35adjacent_difference_config_selectorILb1EhEEZNS1_24adjacent_difference_implIS3_Lb1ELb0EPhS7_N6thrust23THRUST_200600_302600_NS5minusIhEEEE10hipError_tPvRmT2_T3_mT4_P12ihipStream_tbEUlT_E_NS1_11comp_targetILNS1_3genE4ELNS1_11target_archE910ELNS1_3gpuE8ELNS1_3repE0EEENS1_30default_config_static_selectorELNS0_4arch9wavefront6targetE1EEEvT1_
    .private_segment_fixed_size: 0
    .sgpr_count:     6
    .sgpr_spill_count: 0
    .symbol:         _ZN7rocprim17ROCPRIM_400000_NS6detail17trampoline_kernelINS0_14default_configENS1_35adjacent_difference_config_selectorILb1EhEEZNS1_24adjacent_difference_implIS3_Lb1ELb0EPhS7_N6thrust23THRUST_200600_302600_NS5minusIhEEEE10hipError_tPvRmT2_T3_mT4_P12ihipStream_tbEUlT_E_NS1_11comp_targetILNS1_3genE4ELNS1_11target_archE910ELNS1_3gpuE8ELNS1_3repE0EEENS1_30default_config_static_selectorELNS0_4arch9wavefront6targetE1EEEvT1_.kd
    .uniform_work_group_size: 1
    .uses_dynamic_stack: false
    .vgpr_count:     0
    .vgpr_spill_count: 0
    .wavefront_size: 64
  - .agpr_count:     0
    .args:
      - .offset:         0
        .size:           56
        .value_kind:     by_value
    .group_segment_fixed_size: 0
    .kernarg_segment_align: 8
    .kernarg_segment_size: 56
    .language:       OpenCL C
    .language_version:
      - 2
      - 0
    .max_flat_workgroup_size: 64
    .name:           _ZN7rocprim17ROCPRIM_400000_NS6detail17trampoline_kernelINS0_14default_configENS1_35adjacent_difference_config_selectorILb1EhEEZNS1_24adjacent_difference_implIS3_Lb1ELb0EPhS7_N6thrust23THRUST_200600_302600_NS5minusIhEEEE10hipError_tPvRmT2_T3_mT4_P12ihipStream_tbEUlT_E_NS1_11comp_targetILNS1_3genE3ELNS1_11target_archE908ELNS1_3gpuE7ELNS1_3repE0EEENS1_30default_config_static_selectorELNS0_4arch9wavefront6targetE1EEEvT1_
    .private_segment_fixed_size: 0
    .sgpr_count:     6
    .sgpr_spill_count: 0
    .symbol:         _ZN7rocprim17ROCPRIM_400000_NS6detail17trampoline_kernelINS0_14default_configENS1_35adjacent_difference_config_selectorILb1EhEEZNS1_24adjacent_difference_implIS3_Lb1ELb0EPhS7_N6thrust23THRUST_200600_302600_NS5minusIhEEEE10hipError_tPvRmT2_T3_mT4_P12ihipStream_tbEUlT_E_NS1_11comp_targetILNS1_3genE3ELNS1_11target_archE908ELNS1_3gpuE7ELNS1_3repE0EEENS1_30default_config_static_selectorELNS0_4arch9wavefront6targetE1EEEvT1_.kd
    .uniform_work_group_size: 1
    .uses_dynamic_stack: false
    .vgpr_count:     0
    .vgpr_spill_count: 0
    .wavefront_size: 64
  - .agpr_count:     0
    .args:
      - .offset:         0
        .size:           56
        .value_kind:     by_value
    .group_segment_fixed_size: 0
    .kernarg_segment_align: 8
    .kernarg_segment_size: 56
    .language:       OpenCL C
    .language_version:
      - 2
      - 0
    .max_flat_workgroup_size: 64
    .name:           _ZN7rocprim17ROCPRIM_400000_NS6detail17trampoline_kernelINS0_14default_configENS1_35adjacent_difference_config_selectorILb1EhEEZNS1_24adjacent_difference_implIS3_Lb1ELb0EPhS7_N6thrust23THRUST_200600_302600_NS5minusIhEEEE10hipError_tPvRmT2_T3_mT4_P12ihipStream_tbEUlT_E_NS1_11comp_targetILNS1_3genE2ELNS1_11target_archE906ELNS1_3gpuE6ELNS1_3repE0EEENS1_30default_config_static_selectorELNS0_4arch9wavefront6targetE1EEEvT1_
    .private_segment_fixed_size: 0
    .sgpr_count:     6
    .sgpr_spill_count: 0
    .symbol:         _ZN7rocprim17ROCPRIM_400000_NS6detail17trampoline_kernelINS0_14default_configENS1_35adjacent_difference_config_selectorILb1EhEEZNS1_24adjacent_difference_implIS3_Lb1ELb0EPhS7_N6thrust23THRUST_200600_302600_NS5minusIhEEEE10hipError_tPvRmT2_T3_mT4_P12ihipStream_tbEUlT_E_NS1_11comp_targetILNS1_3genE2ELNS1_11target_archE906ELNS1_3gpuE6ELNS1_3repE0EEENS1_30default_config_static_selectorELNS0_4arch9wavefront6targetE1EEEvT1_.kd
    .uniform_work_group_size: 1
    .uses_dynamic_stack: false
    .vgpr_count:     0
    .vgpr_spill_count: 0
    .wavefront_size: 64
  - .agpr_count:     0
    .args:
      - .offset:         0
        .size:           56
        .value_kind:     by_value
    .group_segment_fixed_size: 0
    .kernarg_segment_align: 8
    .kernarg_segment_size: 56
    .language:       OpenCL C
    .language_version:
      - 2
      - 0
    .max_flat_workgroup_size: 512
    .name:           _ZN7rocprim17ROCPRIM_400000_NS6detail17trampoline_kernelINS0_14default_configENS1_35adjacent_difference_config_selectorILb1EhEEZNS1_24adjacent_difference_implIS3_Lb1ELb0EPhS7_N6thrust23THRUST_200600_302600_NS5minusIhEEEE10hipError_tPvRmT2_T3_mT4_P12ihipStream_tbEUlT_E_NS1_11comp_targetILNS1_3genE9ELNS1_11target_archE1100ELNS1_3gpuE3ELNS1_3repE0EEENS1_30default_config_static_selectorELNS0_4arch9wavefront6targetE1EEEvT1_
    .private_segment_fixed_size: 0
    .sgpr_count:     6
    .sgpr_spill_count: 0
    .symbol:         _ZN7rocprim17ROCPRIM_400000_NS6detail17trampoline_kernelINS0_14default_configENS1_35adjacent_difference_config_selectorILb1EhEEZNS1_24adjacent_difference_implIS3_Lb1ELb0EPhS7_N6thrust23THRUST_200600_302600_NS5minusIhEEEE10hipError_tPvRmT2_T3_mT4_P12ihipStream_tbEUlT_E_NS1_11comp_targetILNS1_3genE9ELNS1_11target_archE1100ELNS1_3gpuE3ELNS1_3repE0EEENS1_30default_config_static_selectorELNS0_4arch9wavefront6targetE1EEEvT1_.kd
    .uniform_work_group_size: 1
    .uses_dynamic_stack: false
    .vgpr_count:     0
    .vgpr_spill_count: 0
    .wavefront_size: 64
  - .agpr_count:     0
    .args:
      - .offset:         0
        .size:           56
        .value_kind:     by_value
    .group_segment_fixed_size: 0
    .kernarg_segment_align: 8
    .kernarg_segment_size: 56
    .language:       OpenCL C
    .language_version:
      - 2
      - 0
    .max_flat_workgroup_size: 1024
    .name:           _ZN7rocprim17ROCPRIM_400000_NS6detail17trampoline_kernelINS0_14default_configENS1_35adjacent_difference_config_selectorILb1EhEEZNS1_24adjacent_difference_implIS3_Lb1ELb0EPhS7_N6thrust23THRUST_200600_302600_NS5minusIhEEEE10hipError_tPvRmT2_T3_mT4_P12ihipStream_tbEUlT_E_NS1_11comp_targetILNS1_3genE8ELNS1_11target_archE1030ELNS1_3gpuE2ELNS1_3repE0EEENS1_30default_config_static_selectorELNS0_4arch9wavefront6targetE1EEEvT1_
    .private_segment_fixed_size: 0
    .sgpr_count:     6
    .sgpr_spill_count: 0
    .symbol:         _ZN7rocprim17ROCPRIM_400000_NS6detail17trampoline_kernelINS0_14default_configENS1_35adjacent_difference_config_selectorILb1EhEEZNS1_24adjacent_difference_implIS3_Lb1ELb0EPhS7_N6thrust23THRUST_200600_302600_NS5minusIhEEEE10hipError_tPvRmT2_T3_mT4_P12ihipStream_tbEUlT_E_NS1_11comp_targetILNS1_3genE8ELNS1_11target_archE1030ELNS1_3gpuE2ELNS1_3repE0EEENS1_30default_config_static_selectorELNS0_4arch9wavefront6targetE1EEEvT1_.kd
    .uniform_work_group_size: 1
    .uses_dynamic_stack: false
    .vgpr_count:     0
    .vgpr_spill_count: 0
    .wavefront_size: 64
  - .agpr_count:     0
    .args:
      - .offset:         0
        .size:           56
        .value_kind:     by_value
    .group_segment_fixed_size: 0
    .kernarg_segment_align: 8
    .kernarg_segment_size: 56
    .language:       OpenCL C
    .language_version:
      - 2
      - 0
    .max_flat_workgroup_size: 64
    .name:           _ZN7rocprim17ROCPRIM_400000_NS6detail17trampoline_kernelINS0_14default_configENS1_35adjacent_difference_config_selectorILb0EhEEZNS1_24adjacent_difference_implIS3_Lb0ELb0EPhS7_N6thrust23THRUST_200600_302600_NS4plusIhEEEE10hipError_tPvRmT2_T3_mT4_P12ihipStream_tbEUlT_E_NS1_11comp_targetILNS1_3genE0ELNS1_11target_archE4294967295ELNS1_3gpuE0ELNS1_3repE0EEENS1_30default_config_static_selectorELNS0_4arch9wavefront6targetE1EEEvT1_
    .private_segment_fixed_size: 0
    .sgpr_count:     6
    .sgpr_spill_count: 0
    .symbol:         _ZN7rocprim17ROCPRIM_400000_NS6detail17trampoline_kernelINS0_14default_configENS1_35adjacent_difference_config_selectorILb0EhEEZNS1_24adjacent_difference_implIS3_Lb0ELb0EPhS7_N6thrust23THRUST_200600_302600_NS4plusIhEEEE10hipError_tPvRmT2_T3_mT4_P12ihipStream_tbEUlT_E_NS1_11comp_targetILNS1_3genE0ELNS1_11target_archE4294967295ELNS1_3gpuE0ELNS1_3repE0EEENS1_30default_config_static_selectorELNS0_4arch9wavefront6targetE1EEEvT1_.kd
    .uniform_work_group_size: 1
    .uses_dynamic_stack: false
    .vgpr_count:     0
    .vgpr_spill_count: 0
    .wavefront_size: 64
  - .agpr_count:     0
    .args:
      - .offset:         0
        .size:           56
        .value_kind:     by_value
    .group_segment_fixed_size: 0
    .kernarg_segment_align: 8
    .kernarg_segment_size: 56
    .language:       OpenCL C
    .language_version:
      - 2
      - 0
    .max_flat_workgroup_size: 1024
    .name:           _ZN7rocprim17ROCPRIM_400000_NS6detail17trampoline_kernelINS0_14default_configENS1_35adjacent_difference_config_selectorILb0EhEEZNS1_24adjacent_difference_implIS3_Lb0ELb0EPhS7_N6thrust23THRUST_200600_302600_NS4plusIhEEEE10hipError_tPvRmT2_T3_mT4_P12ihipStream_tbEUlT_E_NS1_11comp_targetILNS1_3genE10ELNS1_11target_archE1201ELNS1_3gpuE5ELNS1_3repE0EEENS1_30default_config_static_selectorELNS0_4arch9wavefront6targetE1EEEvT1_
    .private_segment_fixed_size: 0
    .sgpr_count:     6
    .sgpr_spill_count: 0
    .symbol:         _ZN7rocprim17ROCPRIM_400000_NS6detail17trampoline_kernelINS0_14default_configENS1_35adjacent_difference_config_selectorILb0EhEEZNS1_24adjacent_difference_implIS3_Lb0ELb0EPhS7_N6thrust23THRUST_200600_302600_NS4plusIhEEEE10hipError_tPvRmT2_T3_mT4_P12ihipStream_tbEUlT_E_NS1_11comp_targetILNS1_3genE10ELNS1_11target_archE1201ELNS1_3gpuE5ELNS1_3repE0EEENS1_30default_config_static_selectorELNS0_4arch9wavefront6targetE1EEEvT1_.kd
    .uniform_work_group_size: 1
    .uses_dynamic_stack: false
    .vgpr_count:     0
    .vgpr_spill_count: 0
    .wavefront_size: 64
  - .agpr_count:     0
    .args:
      - .offset:         0
        .size:           56
        .value_kind:     by_value
    .group_segment_fixed_size: 2432
    .kernarg_segment_align: 8
    .kernarg_segment_size: 56
    .language:       OpenCL C
    .language_version:
      - 2
      - 0
    .max_flat_workgroup_size: 128
    .name:           _ZN7rocprim17ROCPRIM_400000_NS6detail17trampoline_kernelINS0_14default_configENS1_35adjacent_difference_config_selectorILb0EhEEZNS1_24adjacent_difference_implIS3_Lb0ELb0EPhS7_N6thrust23THRUST_200600_302600_NS4plusIhEEEE10hipError_tPvRmT2_T3_mT4_P12ihipStream_tbEUlT_E_NS1_11comp_targetILNS1_3genE5ELNS1_11target_archE942ELNS1_3gpuE9ELNS1_3repE0EEENS1_30default_config_static_selectorELNS0_4arch9wavefront6targetE1EEEvT1_
    .private_segment_fixed_size: 0
    .sgpr_count:     54
    .sgpr_spill_count: 0
    .symbol:         _ZN7rocprim17ROCPRIM_400000_NS6detail17trampoline_kernelINS0_14default_configENS1_35adjacent_difference_config_selectorILb0EhEEZNS1_24adjacent_difference_implIS3_Lb0ELb0EPhS7_N6thrust23THRUST_200600_302600_NS4plusIhEEEE10hipError_tPvRmT2_T3_mT4_P12ihipStream_tbEUlT_E_NS1_11comp_targetILNS1_3genE5ELNS1_11target_archE942ELNS1_3gpuE9ELNS1_3repE0EEENS1_30default_config_static_selectorELNS0_4arch9wavefront6targetE1EEEvT1_.kd
    .uniform_work_group_size: 1
    .uses_dynamic_stack: false
    .vgpr_count:     42
    .vgpr_spill_count: 0
    .wavefront_size: 64
  - .agpr_count:     0
    .args:
      - .offset:         0
        .size:           56
        .value_kind:     by_value
    .group_segment_fixed_size: 0
    .kernarg_segment_align: 8
    .kernarg_segment_size: 56
    .language:       OpenCL C
    .language_version:
      - 2
      - 0
    .max_flat_workgroup_size: 64
    .name:           _ZN7rocprim17ROCPRIM_400000_NS6detail17trampoline_kernelINS0_14default_configENS1_35adjacent_difference_config_selectorILb0EhEEZNS1_24adjacent_difference_implIS3_Lb0ELb0EPhS7_N6thrust23THRUST_200600_302600_NS4plusIhEEEE10hipError_tPvRmT2_T3_mT4_P12ihipStream_tbEUlT_E_NS1_11comp_targetILNS1_3genE4ELNS1_11target_archE910ELNS1_3gpuE8ELNS1_3repE0EEENS1_30default_config_static_selectorELNS0_4arch9wavefront6targetE1EEEvT1_
    .private_segment_fixed_size: 0
    .sgpr_count:     6
    .sgpr_spill_count: 0
    .symbol:         _ZN7rocprim17ROCPRIM_400000_NS6detail17trampoline_kernelINS0_14default_configENS1_35adjacent_difference_config_selectorILb0EhEEZNS1_24adjacent_difference_implIS3_Lb0ELb0EPhS7_N6thrust23THRUST_200600_302600_NS4plusIhEEEE10hipError_tPvRmT2_T3_mT4_P12ihipStream_tbEUlT_E_NS1_11comp_targetILNS1_3genE4ELNS1_11target_archE910ELNS1_3gpuE8ELNS1_3repE0EEENS1_30default_config_static_selectorELNS0_4arch9wavefront6targetE1EEEvT1_.kd
    .uniform_work_group_size: 1
    .uses_dynamic_stack: false
    .vgpr_count:     0
    .vgpr_spill_count: 0
    .wavefront_size: 64
  - .agpr_count:     0
    .args:
      - .offset:         0
        .size:           56
        .value_kind:     by_value
    .group_segment_fixed_size: 0
    .kernarg_segment_align: 8
    .kernarg_segment_size: 56
    .language:       OpenCL C
    .language_version:
      - 2
      - 0
    .max_flat_workgroup_size: 64
    .name:           _ZN7rocprim17ROCPRIM_400000_NS6detail17trampoline_kernelINS0_14default_configENS1_35adjacent_difference_config_selectorILb0EhEEZNS1_24adjacent_difference_implIS3_Lb0ELb0EPhS7_N6thrust23THRUST_200600_302600_NS4plusIhEEEE10hipError_tPvRmT2_T3_mT4_P12ihipStream_tbEUlT_E_NS1_11comp_targetILNS1_3genE3ELNS1_11target_archE908ELNS1_3gpuE7ELNS1_3repE0EEENS1_30default_config_static_selectorELNS0_4arch9wavefront6targetE1EEEvT1_
    .private_segment_fixed_size: 0
    .sgpr_count:     6
    .sgpr_spill_count: 0
    .symbol:         _ZN7rocprim17ROCPRIM_400000_NS6detail17trampoline_kernelINS0_14default_configENS1_35adjacent_difference_config_selectorILb0EhEEZNS1_24adjacent_difference_implIS3_Lb0ELb0EPhS7_N6thrust23THRUST_200600_302600_NS4plusIhEEEE10hipError_tPvRmT2_T3_mT4_P12ihipStream_tbEUlT_E_NS1_11comp_targetILNS1_3genE3ELNS1_11target_archE908ELNS1_3gpuE7ELNS1_3repE0EEENS1_30default_config_static_selectorELNS0_4arch9wavefront6targetE1EEEvT1_.kd
    .uniform_work_group_size: 1
    .uses_dynamic_stack: false
    .vgpr_count:     0
    .vgpr_spill_count: 0
    .wavefront_size: 64
  - .agpr_count:     0
    .args:
      - .offset:         0
        .size:           56
        .value_kind:     by_value
    .group_segment_fixed_size: 0
    .kernarg_segment_align: 8
    .kernarg_segment_size: 56
    .language:       OpenCL C
    .language_version:
      - 2
      - 0
    .max_flat_workgroup_size: 64
    .name:           _ZN7rocprim17ROCPRIM_400000_NS6detail17trampoline_kernelINS0_14default_configENS1_35adjacent_difference_config_selectorILb0EhEEZNS1_24adjacent_difference_implIS3_Lb0ELb0EPhS7_N6thrust23THRUST_200600_302600_NS4plusIhEEEE10hipError_tPvRmT2_T3_mT4_P12ihipStream_tbEUlT_E_NS1_11comp_targetILNS1_3genE2ELNS1_11target_archE906ELNS1_3gpuE6ELNS1_3repE0EEENS1_30default_config_static_selectorELNS0_4arch9wavefront6targetE1EEEvT1_
    .private_segment_fixed_size: 0
    .sgpr_count:     6
    .sgpr_spill_count: 0
    .symbol:         _ZN7rocprim17ROCPRIM_400000_NS6detail17trampoline_kernelINS0_14default_configENS1_35adjacent_difference_config_selectorILb0EhEEZNS1_24adjacent_difference_implIS3_Lb0ELb0EPhS7_N6thrust23THRUST_200600_302600_NS4plusIhEEEE10hipError_tPvRmT2_T3_mT4_P12ihipStream_tbEUlT_E_NS1_11comp_targetILNS1_3genE2ELNS1_11target_archE906ELNS1_3gpuE6ELNS1_3repE0EEENS1_30default_config_static_selectorELNS0_4arch9wavefront6targetE1EEEvT1_.kd
    .uniform_work_group_size: 1
    .uses_dynamic_stack: false
    .vgpr_count:     0
    .vgpr_spill_count: 0
    .wavefront_size: 64
  - .agpr_count:     0
    .args:
      - .offset:         0
        .size:           56
        .value_kind:     by_value
    .group_segment_fixed_size: 0
    .kernarg_segment_align: 8
    .kernarg_segment_size: 56
    .language:       OpenCL C
    .language_version:
      - 2
      - 0
    .max_flat_workgroup_size: 64
    .name:           _ZN7rocprim17ROCPRIM_400000_NS6detail17trampoline_kernelINS0_14default_configENS1_35adjacent_difference_config_selectorILb0EhEEZNS1_24adjacent_difference_implIS3_Lb0ELb0EPhS7_N6thrust23THRUST_200600_302600_NS4plusIhEEEE10hipError_tPvRmT2_T3_mT4_P12ihipStream_tbEUlT_E_NS1_11comp_targetILNS1_3genE9ELNS1_11target_archE1100ELNS1_3gpuE3ELNS1_3repE0EEENS1_30default_config_static_selectorELNS0_4arch9wavefront6targetE1EEEvT1_
    .private_segment_fixed_size: 0
    .sgpr_count:     6
    .sgpr_spill_count: 0
    .symbol:         _ZN7rocprim17ROCPRIM_400000_NS6detail17trampoline_kernelINS0_14default_configENS1_35adjacent_difference_config_selectorILb0EhEEZNS1_24adjacent_difference_implIS3_Lb0ELb0EPhS7_N6thrust23THRUST_200600_302600_NS4plusIhEEEE10hipError_tPvRmT2_T3_mT4_P12ihipStream_tbEUlT_E_NS1_11comp_targetILNS1_3genE9ELNS1_11target_archE1100ELNS1_3gpuE3ELNS1_3repE0EEENS1_30default_config_static_selectorELNS0_4arch9wavefront6targetE1EEEvT1_.kd
    .uniform_work_group_size: 1
    .uses_dynamic_stack: false
    .vgpr_count:     0
    .vgpr_spill_count: 0
    .wavefront_size: 64
  - .agpr_count:     0
    .args:
      - .offset:         0
        .size:           56
        .value_kind:     by_value
    .group_segment_fixed_size: 0
    .kernarg_segment_align: 8
    .kernarg_segment_size: 56
    .language:       OpenCL C
    .language_version:
      - 2
      - 0
    .max_flat_workgroup_size: 64
    .name:           _ZN7rocprim17ROCPRIM_400000_NS6detail17trampoline_kernelINS0_14default_configENS1_35adjacent_difference_config_selectorILb0EhEEZNS1_24adjacent_difference_implIS3_Lb0ELb0EPhS7_N6thrust23THRUST_200600_302600_NS4plusIhEEEE10hipError_tPvRmT2_T3_mT4_P12ihipStream_tbEUlT_E_NS1_11comp_targetILNS1_3genE8ELNS1_11target_archE1030ELNS1_3gpuE2ELNS1_3repE0EEENS1_30default_config_static_selectorELNS0_4arch9wavefront6targetE1EEEvT1_
    .private_segment_fixed_size: 0
    .sgpr_count:     6
    .sgpr_spill_count: 0
    .symbol:         _ZN7rocprim17ROCPRIM_400000_NS6detail17trampoline_kernelINS0_14default_configENS1_35adjacent_difference_config_selectorILb0EhEEZNS1_24adjacent_difference_implIS3_Lb0ELb0EPhS7_N6thrust23THRUST_200600_302600_NS4plusIhEEEE10hipError_tPvRmT2_T3_mT4_P12ihipStream_tbEUlT_E_NS1_11comp_targetILNS1_3genE8ELNS1_11target_archE1030ELNS1_3gpuE2ELNS1_3repE0EEENS1_30default_config_static_selectorELNS0_4arch9wavefront6targetE1EEEvT1_.kd
    .uniform_work_group_size: 1
    .uses_dynamic_stack: false
    .vgpr_count:     0
    .vgpr_spill_count: 0
    .wavefront_size: 64
  - .agpr_count:     0
    .args:
      - .offset:         0
        .size:           56
        .value_kind:     by_value
    .group_segment_fixed_size: 0
    .kernarg_segment_align: 8
    .kernarg_segment_size: 56
    .language:       OpenCL C
    .language_version:
      - 2
      - 0
    .max_flat_workgroup_size: 128
    .name:           _ZN7rocprim17ROCPRIM_400000_NS6detail17trampoline_kernelINS0_14default_configENS1_25transform_config_selectorIhLb0EEEZNS1_14transform_implILb0ES3_S5_NS0_18transform_iteratorINS0_17counting_iteratorImlEEZNS1_24adjacent_difference_implIS3_Lb1ELb0EPhSB_N6thrust23THRUST_200600_302600_NS4plusIhEEEE10hipError_tPvRmT2_T3_mT4_P12ihipStream_tbEUlmE_hEESB_NS0_8identityIvEEEESG_SJ_SK_mSL_SN_bEUlT_E_NS1_11comp_targetILNS1_3genE0ELNS1_11target_archE4294967295ELNS1_3gpuE0ELNS1_3repE0EEENS1_30default_config_static_selectorELNS0_4arch9wavefront6targetE1EEEvT1_
    .private_segment_fixed_size: 0
    .sgpr_count:     6
    .sgpr_spill_count: 0
    .symbol:         _ZN7rocprim17ROCPRIM_400000_NS6detail17trampoline_kernelINS0_14default_configENS1_25transform_config_selectorIhLb0EEEZNS1_14transform_implILb0ES3_S5_NS0_18transform_iteratorINS0_17counting_iteratorImlEEZNS1_24adjacent_difference_implIS3_Lb1ELb0EPhSB_N6thrust23THRUST_200600_302600_NS4plusIhEEEE10hipError_tPvRmT2_T3_mT4_P12ihipStream_tbEUlmE_hEESB_NS0_8identityIvEEEESG_SJ_SK_mSL_SN_bEUlT_E_NS1_11comp_targetILNS1_3genE0ELNS1_11target_archE4294967295ELNS1_3gpuE0ELNS1_3repE0EEENS1_30default_config_static_selectorELNS0_4arch9wavefront6targetE1EEEvT1_.kd
    .uniform_work_group_size: 1
    .uses_dynamic_stack: false
    .vgpr_count:     0
    .vgpr_spill_count: 0
    .wavefront_size: 64
  - .agpr_count:     0
    .args:
      - .offset:         0
        .size:           56
        .value_kind:     by_value
      - .offset:         56
        .size:           4
        .value_kind:     hidden_block_count_x
      - .offset:         60
        .size:           4
        .value_kind:     hidden_block_count_y
      - .offset:         64
        .size:           4
        .value_kind:     hidden_block_count_z
      - .offset:         68
        .size:           2
        .value_kind:     hidden_group_size_x
      - .offset:         70
        .size:           2
        .value_kind:     hidden_group_size_y
      - .offset:         72
        .size:           2
        .value_kind:     hidden_group_size_z
      - .offset:         74
        .size:           2
        .value_kind:     hidden_remainder_x
      - .offset:         76
        .size:           2
        .value_kind:     hidden_remainder_y
      - .offset:         78
        .size:           2
        .value_kind:     hidden_remainder_z
      - .offset:         96
        .size:           8
        .value_kind:     hidden_global_offset_x
      - .offset:         104
        .size:           8
        .value_kind:     hidden_global_offset_y
      - .offset:         112
        .size:           8
        .value_kind:     hidden_global_offset_z
      - .offset:         120
        .size:           2
        .value_kind:     hidden_grid_dims
    .group_segment_fixed_size: 0
    .kernarg_segment_align: 8
    .kernarg_segment_size: 312
    .language:       OpenCL C
    .language_version:
      - 2
      - 0
    .max_flat_workgroup_size: 1024
    .name:           _ZN7rocprim17ROCPRIM_400000_NS6detail17trampoline_kernelINS0_14default_configENS1_25transform_config_selectorIhLb0EEEZNS1_14transform_implILb0ES3_S5_NS0_18transform_iteratorINS0_17counting_iteratorImlEEZNS1_24adjacent_difference_implIS3_Lb1ELb0EPhSB_N6thrust23THRUST_200600_302600_NS4plusIhEEEE10hipError_tPvRmT2_T3_mT4_P12ihipStream_tbEUlmE_hEESB_NS0_8identityIvEEEESG_SJ_SK_mSL_SN_bEUlT_E_NS1_11comp_targetILNS1_3genE5ELNS1_11target_archE942ELNS1_3gpuE9ELNS1_3repE0EEENS1_30default_config_static_selectorELNS0_4arch9wavefront6targetE1EEEvT1_
    .private_segment_fixed_size: 0
    .sgpr_count:     33
    .sgpr_spill_count: 0
    .symbol:         _ZN7rocprim17ROCPRIM_400000_NS6detail17trampoline_kernelINS0_14default_configENS1_25transform_config_selectorIhLb0EEEZNS1_14transform_implILb0ES3_S5_NS0_18transform_iteratorINS0_17counting_iteratorImlEEZNS1_24adjacent_difference_implIS3_Lb1ELb0EPhSB_N6thrust23THRUST_200600_302600_NS4plusIhEEEE10hipError_tPvRmT2_T3_mT4_P12ihipStream_tbEUlmE_hEESB_NS0_8identityIvEEEESG_SJ_SK_mSL_SN_bEUlT_E_NS1_11comp_targetILNS1_3genE5ELNS1_11target_archE942ELNS1_3gpuE9ELNS1_3repE0EEENS1_30default_config_static_selectorELNS0_4arch9wavefront6targetE1EEEvT1_.kd
    .uniform_work_group_size: 1
    .uses_dynamic_stack: false
    .vgpr_count:     15
    .vgpr_spill_count: 0
    .wavefront_size: 64
  - .agpr_count:     0
    .args:
      - .offset:         0
        .size:           56
        .value_kind:     by_value
    .group_segment_fixed_size: 0
    .kernarg_segment_align: 8
    .kernarg_segment_size: 56
    .language:       OpenCL C
    .language_version:
      - 2
      - 0
    .max_flat_workgroup_size: 64
    .name:           _ZN7rocprim17ROCPRIM_400000_NS6detail17trampoline_kernelINS0_14default_configENS1_25transform_config_selectorIhLb0EEEZNS1_14transform_implILb0ES3_S5_NS0_18transform_iteratorINS0_17counting_iteratorImlEEZNS1_24adjacent_difference_implIS3_Lb1ELb0EPhSB_N6thrust23THRUST_200600_302600_NS4plusIhEEEE10hipError_tPvRmT2_T3_mT4_P12ihipStream_tbEUlmE_hEESB_NS0_8identityIvEEEESG_SJ_SK_mSL_SN_bEUlT_E_NS1_11comp_targetILNS1_3genE4ELNS1_11target_archE910ELNS1_3gpuE8ELNS1_3repE0EEENS1_30default_config_static_selectorELNS0_4arch9wavefront6targetE1EEEvT1_
    .private_segment_fixed_size: 0
    .sgpr_count:     6
    .sgpr_spill_count: 0
    .symbol:         _ZN7rocprim17ROCPRIM_400000_NS6detail17trampoline_kernelINS0_14default_configENS1_25transform_config_selectorIhLb0EEEZNS1_14transform_implILb0ES3_S5_NS0_18transform_iteratorINS0_17counting_iteratorImlEEZNS1_24adjacent_difference_implIS3_Lb1ELb0EPhSB_N6thrust23THRUST_200600_302600_NS4plusIhEEEE10hipError_tPvRmT2_T3_mT4_P12ihipStream_tbEUlmE_hEESB_NS0_8identityIvEEEESG_SJ_SK_mSL_SN_bEUlT_E_NS1_11comp_targetILNS1_3genE4ELNS1_11target_archE910ELNS1_3gpuE8ELNS1_3repE0EEENS1_30default_config_static_selectorELNS0_4arch9wavefront6targetE1EEEvT1_.kd
    .uniform_work_group_size: 1
    .uses_dynamic_stack: false
    .vgpr_count:     0
    .vgpr_spill_count: 0
    .wavefront_size: 64
  - .agpr_count:     0
    .args:
      - .offset:         0
        .size:           56
        .value_kind:     by_value
    .group_segment_fixed_size: 0
    .kernarg_segment_align: 8
    .kernarg_segment_size: 56
    .language:       OpenCL C
    .language_version:
      - 2
      - 0
    .max_flat_workgroup_size: 128
    .name:           _ZN7rocprim17ROCPRIM_400000_NS6detail17trampoline_kernelINS0_14default_configENS1_25transform_config_selectorIhLb0EEEZNS1_14transform_implILb0ES3_S5_NS0_18transform_iteratorINS0_17counting_iteratorImlEEZNS1_24adjacent_difference_implIS3_Lb1ELb0EPhSB_N6thrust23THRUST_200600_302600_NS4plusIhEEEE10hipError_tPvRmT2_T3_mT4_P12ihipStream_tbEUlmE_hEESB_NS0_8identityIvEEEESG_SJ_SK_mSL_SN_bEUlT_E_NS1_11comp_targetILNS1_3genE3ELNS1_11target_archE908ELNS1_3gpuE7ELNS1_3repE0EEENS1_30default_config_static_selectorELNS0_4arch9wavefront6targetE1EEEvT1_
    .private_segment_fixed_size: 0
    .sgpr_count:     6
    .sgpr_spill_count: 0
    .symbol:         _ZN7rocprim17ROCPRIM_400000_NS6detail17trampoline_kernelINS0_14default_configENS1_25transform_config_selectorIhLb0EEEZNS1_14transform_implILb0ES3_S5_NS0_18transform_iteratorINS0_17counting_iteratorImlEEZNS1_24adjacent_difference_implIS3_Lb1ELb0EPhSB_N6thrust23THRUST_200600_302600_NS4plusIhEEEE10hipError_tPvRmT2_T3_mT4_P12ihipStream_tbEUlmE_hEESB_NS0_8identityIvEEEESG_SJ_SK_mSL_SN_bEUlT_E_NS1_11comp_targetILNS1_3genE3ELNS1_11target_archE908ELNS1_3gpuE7ELNS1_3repE0EEENS1_30default_config_static_selectorELNS0_4arch9wavefront6targetE1EEEvT1_.kd
    .uniform_work_group_size: 1
    .uses_dynamic_stack: false
    .vgpr_count:     0
    .vgpr_spill_count: 0
    .wavefront_size: 64
  - .agpr_count:     0
    .args:
      - .offset:         0
        .size:           56
        .value_kind:     by_value
    .group_segment_fixed_size: 0
    .kernarg_segment_align: 8
    .kernarg_segment_size: 56
    .language:       OpenCL C
    .language_version:
      - 2
      - 0
    .max_flat_workgroup_size: 64
    .name:           _ZN7rocprim17ROCPRIM_400000_NS6detail17trampoline_kernelINS0_14default_configENS1_25transform_config_selectorIhLb0EEEZNS1_14transform_implILb0ES3_S5_NS0_18transform_iteratorINS0_17counting_iteratorImlEEZNS1_24adjacent_difference_implIS3_Lb1ELb0EPhSB_N6thrust23THRUST_200600_302600_NS4plusIhEEEE10hipError_tPvRmT2_T3_mT4_P12ihipStream_tbEUlmE_hEESB_NS0_8identityIvEEEESG_SJ_SK_mSL_SN_bEUlT_E_NS1_11comp_targetILNS1_3genE2ELNS1_11target_archE906ELNS1_3gpuE6ELNS1_3repE0EEENS1_30default_config_static_selectorELNS0_4arch9wavefront6targetE1EEEvT1_
    .private_segment_fixed_size: 0
    .sgpr_count:     6
    .sgpr_spill_count: 0
    .symbol:         _ZN7rocprim17ROCPRIM_400000_NS6detail17trampoline_kernelINS0_14default_configENS1_25transform_config_selectorIhLb0EEEZNS1_14transform_implILb0ES3_S5_NS0_18transform_iteratorINS0_17counting_iteratorImlEEZNS1_24adjacent_difference_implIS3_Lb1ELb0EPhSB_N6thrust23THRUST_200600_302600_NS4plusIhEEEE10hipError_tPvRmT2_T3_mT4_P12ihipStream_tbEUlmE_hEESB_NS0_8identityIvEEEESG_SJ_SK_mSL_SN_bEUlT_E_NS1_11comp_targetILNS1_3genE2ELNS1_11target_archE906ELNS1_3gpuE6ELNS1_3repE0EEENS1_30default_config_static_selectorELNS0_4arch9wavefront6targetE1EEEvT1_.kd
    .uniform_work_group_size: 1
    .uses_dynamic_stack: false
    .vgpr_count:     0
    .vgpr_spill_count: 0
    .wavefront_size: 64
  - .agpr_count:     0
    .args:
      - .offset:         0
        .size:           56
        .value_kind:     by_value
    .group_segment_fixed_size: 0
    .kernarg_segment_align: 8
    .kernarg_segment_size: 56
    .language:       OpenCL C
    .language_version:
      - 2
      - 0
    .max_flat_workgroup_size: 256
    .name:           _ZN7rocprim17ROCPRIM_400000_NS6detail17trampoline_kernelINS0_14default_configENS1_25transform_config_selectorIhLb0EEEZNS1_14transform_implILb0ES3_S5_NS0_18transform_iteratorINS0_17counting_iteratorImlEEZNS1_24adjacent_difference_implIS3_Lb1ELb0EPhSB_N6thrust23THRUST_200600_302600_NS4plusIhEEEE10hipError_tPvRmT2_T3_mT4_P12ihipStream_tbEUlmE_hEESB_NS0_8identityIvEEEESG_SJ_SK_mSL_SN_bEUlT_E_NS1_11comp_targetILNS1_3genE10ELNS1_11target_archE1201ELNS1_3gpuE5ELNS1_3repE0EEENS1_30default_config_static_selectorELNS0_4arch9wavefront6targetE1EEEvT1_
    .private_segment_fixed_size: 0
    .sgpr_count:     6
    .sgpr_spill_count: 0
    .symbol:         _ZN7rocprim17ROCPRIM_400000_NS6detail17trampoline_kernelINS0_14default_configENS1_25transform_config_selectorIhLb0EEEZNS1_14transform_implILb0ES3_S5_NS0_18transform_iteratorINS0_17counting_iteratorImlEEZNS1_24adjacent_difference_implIS3_Lb1ELb0EPhSB_N6thrust23THRUST_200600_302600_NS4plusIhEEEE10hipError_tPvRmT2_T3_mT4_P12ihipStream_tbEUlmE_hEESB_NS0_8identityIvEEEESG_SJ_SK_mSL_SN_bEUlT_E_NS1_11comp_targetILNS1_3genE10ELNS1_11target_archE1201ELNS1_3gpuE5ELNS1_3repE0EEENS1_30default_config_static_selectorELNS0_4arch9wavefront6targetE1EEEvT1_.kd
    .uniform_work_group_size: 1
    .uses_dynamic_stack: false
    .vgpr_count:     0
    .vgpr_spill_count: 0
    .wavefront_size: 64
  - .agpr_count:     0
    .args:
      - .offset:         0
        .size:           56
        .value_kind:     by_value
    .group_segment_fixed_size: 0
    .kernarg_segment_align: 8
    .kernarg_segment_size: 56
    .language:       OpenCL C
    .language_version:
      - 2
      - 0
    .max_flat_workgroup_size: 256
    .name:           _ZN7rocprim17ROCPRIM_400000_NS6detail17trampoline_kernelINS0_14default_configENS1_25transform_config_selectorIhLb0EEEZNS1_14transform_implILb0ES3_S5_NS0_18transform_iteratorINS0_17counting_iteratorImlEEZNS1_24adjacent_difference_implIS3_Lb1ELb0EPhSB_N6thrust23THRUST_200600_302600_NS4plusIhEEEE10hipError_tPvRmT2_T3_mT4_P12ihipStream_tbEUlmE_hEESB_NS0_8identityIvEEEESG_SJ_SK_mSL_SN_bEUlT_E_NS1_11comp_targetILNS1_3genE10ELNS1_11target_archE1200ELNS1_3gpuE4ELNS1_3repE0EEENS1_30default_config_static_selectorELNS0_4arch9wavefront6targetE1EEEvT1_
    .private_segment_fixed_size: 0
    .sgpr_count:     6
    .sgpr_spill_count: 0
    .symbol:         _ZN7rocprim17ROCPRIM_400000_NS6detail17trampoline_kernelINS0_14default_configENS1_25transform_config_selectorIhLb0EEEZNS1_14transform_implILb0ES3_S5_NS0_18transform_iteratorINS0_17counting_iteratorImlEEZNS1_24adjacent_difference_implIS3_Lb1ELb0EPhSB_N6thrust23THRUST_200600_302600_NS4plusIhEEEE10hipError_tPvRmT2_T3_mT4_P12ihipStream_tbEUlmE_hEESB_NS0_8identityIvEEEESG_SJ_SK_mSL_SN_bEUlT_E_NS1_11comp_targetILNS1_3genE10ELNS1_11target_archE1200ELNS1_3gpuE4ELNS1_3repE0EEENS1_30default_config_static_selectorELNS0_4arch9wavefront6targetE1EEEvT1_.kd
    .uniform_work_group_size: 1
    .uses_dynamic_stack: false
    .vgpr_count:     0
    .vgpr_spill_count: 0
    .wavefront_size: 64
  - .agpr_count:     0
    .args:
      - .offset:         0
        .size:           56
        .value_kind:     by_value
    .group_segment_fixed_size: 0
    .kernarg_segment_align: 8
    .kernarg_segment_size: 56
    .language:       OpenCL C
    .language_version:
      - 2
      - 0
    .max_flat_workgroup_size: 1024
    .name:           _ZN7rocprim17ROCPRIM_400000_NS6detail17trampoline_kernelINS0_14default_configENS1_25transform_config_selectorIhLb0EEEZNS1_14transform_implILb0ES3_S5_NS0_18transform_iteratorINS0_17counting_iteratorImlEEZNS1_24adjacent_difference_implIS3_Lb1ELb0EPhSB_N6thrust23THRUST_200600_302600_NS4plusIhEEEE10hipError_tPvRmT2_T3_mT4_P12ihipStream_tbEUlmE_hEESB_NS0_8identityIvEEEESG_SJ_SK_mSL_SN_bEUlT_E_NS1_11comp_targetILNS1_3genE9ELNS1_11target_archE1100ELNS1_3gpuE3ELNS1_3repE0EEENS1_30default_config_static_selectorELNS0_4arch9wavefront6targetE1EEEvT1_
    .private_segment_fixed_size: 0
    .sgpr_count:     6
    .sgpr_spill_count: 0
    .symbol:         _ZN7rocprim17ROCPRIM_400000_NS6detail17trampoline_kernelINS0_14default_configENS1_25transform_config_selectorIhLb0EEEZNS1_14transform_implILb0ES3_S5_NS0_18transform_iteratorINS0_17counting_iteratorImlEEZNS1_24adjacent_difference_implIS3_Lb1ELb0EPhSB_N6thrust23THRUST_200600_302600_NS4plusIhEEEE10hipError_tPvRmT2_T3_mT4_P12ihipStream_tbEUlmE_hEESB_NS0_8identityIvEEEESG_SJ_SK_mSL_SN_bEUlT_E_NS1_11comp_targetILNS1_3genE9ELNS1_11target_archE1100ELNS1_3gpuE3ELNS1_3repE0EEENS1_30default_config_static_selectorELNS0_4arch9wavefront6targetE1EEEvT1_.kd
    .uniform_work_group_size: 1
    .uses_dynamic_stack: false
    .vgpr_count:     0
    .vgpr_spill_count: 0
    .wavefront_size: 64
  - .agpr_count:     0
    .args:
      - .offset:         0
        .size:           56
        .value_kind:     by_value
    .group_segment_fixed_size: 0
    .kernarg_segment_align: 8
    .kernarg_segment_size: 56
    .language:       OpenCL C
    .language_version:
      - 2
      - 0
    .max_flat_workgroup_size: 128
    .name:           _ZN7rocprim17ROCPRIM_400000_NS6detail17trampoline_kernelINS0_14default_configENS1_25transform_config_selectorIhLb0EEEZNS1_14transform_implILb0ES3_S5_NS0_18transform_iteratorINS0_17counting_iteratorImlEEZNS1_24adjacent_difference_implIS3_Lb1ELb0EPhSB_N6thrust23THRUST_200600_302600_NS4plusIhEEEE10hipError_tPvRmT2_T3_mT4_P12ihipStream_tbEUlmE_hEESB_NS0_8identityIvEEEESG_SJ_SK_mSL_SN_bEUlT_E_NS1_11comp_targetILNS1_3genE8ELNS1_11target_archE1030ELNS1_3gpuE2ELNS1_3repE0EEENS1_30default_config_static_selectorELNS0_4arch9wavefront6targetE1EEEvT1_
    .private_segment_fixed_size: 0
    .sgpr_count:     6
    .sgpr_spill_count: 0
    .symbol:         _ZN7rocprim17ROCPRIM_400000_NS6detail17trampoline_kernelINS0_14default_configENS1_25transform_config_selectorIhLb0EEEZNS1_14transform_implILb0ES3_S5_NS0_18transform_iteratorINS0_17counting_iteratorImlEEZNS1_24adjacent_difference_implIS3_Lb1ELb0EPhSB_N6thrust23THRUST_200600_302600_NS4plusIhEEEE10hipError_tPvRmT2_T3_mT4_P12ihipStream_tbEUlmE_hEESB_NS0_8identityIvEEEESG_SJ_SK_mSL_SN_bEUlT_E_NS1_11comp_targetILNS1_3genE8ELNS1_11target_archE1030ELNS1_3gpuE2ELNS1_3repE0EEENS1_30default_config_static_selectorELNS0_4arch9wavefront6targetE1EEEvT1_.kd
    .uniform_work_group_size: 1
    .uses_dynamic_stack: false
    .vgpr_count:     0
    .vgpr_spill_count: 0
    .wavefront_size: 64
  - .agpr_count:     0
    .args:
      - .offset:         0
        .size:           56
        .value_kind:     by_value
    .group_segment_fixed_size: 0
    .kernarg_segment_align: 8
    .kernarg_segment_size: 56
    .language:       OpenCL C
    .language_version:
      - 2
      - 0
    .max_flat_workgroup_size: 64
    .name:           _ZN7rocprim17ROCPRIM_400000_NS6detail17trampoline_kernelINS0_14default_configENS1_35adjacent_difference_config_selectorILb1EhEEZNS1_24adjacent_difference_implIS3_Lb1ELb0EPhS7_N6thrust23THRUST_200600_302600_NS4plusIhEEEE10hipError_tPvRmT2_T3_mT4_P12ihipStream_tbEUlT_E_NS1_11comp_targetILNS1_3genE0ELNS1_11target_archE4294967295ELNS1_3gpuE0ELNS1_3repE0EEENS1_30default_config_static_selectorELNS0_4arch9wavefront6targetE1EEEvT1_
    .private_segment_fixed_size: 0
    .sgpr_count:     6
    .sgpr_spill_count: 0
    .symbol:         _ZN7rocprim17ROCPRIM_400000_NS6detail17trampoline_kernelINS0_14default_configENS1_35adjacent_difference_config_selectorILb1EhEEZNS1_24adjacent_difference_implIS3_Lb1ELb0EPhS7_N6thrust23THRUST_200600_302600_NS4plusIhEEEE10hipError_tPvRmT2_T3_mT4_P12ihipStream_tbEUlT_E_NS1_11comp_targetILNS1_3genE0ELNS1_11target_archE4294967295ELNS1_3gpuE0ELNS1_3repE0EEENS1_30default_config_static_selectorELNS0_4arch9wavefront6targetE1EEEvT1_.kd
    .uniform_work_group_size: 1
    .uses_dynamic_stack: false
    .vgpr_count:     0
    .vgpr_spill_count: 0
    .wavefront_size: 64
  - .agpr_count:     0
    .args:
      - .offset:         0
        .size:           56
        .value_kind:     by_value
    .group_segment_fixed_size: 0
    .kernarg_segment_align: 8
    .kernarg_segment_size: 56
    .language:       OpenCL C
    .language_version:
      - 2
      - 0
    .max_flat_workgroup_size: 128
    .name:           _ZN7rocprim17ROCPRIM_400000_NS6detail17trampoline_kernelINS0_14default_configENS1_35adjacent_difference_config_selectorILb1EhEEZNS1_24adjacent_difference_implIS3_Lb1ELb0EPhS7_N6thrust23THRUST_200600_302600_NS4plusIhEEEE10hipError_tPvRmT2_T3_mT4_P12ihipStream_tbEUlT_E_NS1_11comp_targetILNS1_3genE10ELNS1_11target_archE1201ELNS1_3gpuE5ELNS1_3repE0EEENS1_30default_config_static_selectorELNS0_4arch9wavefront6targetE1EEEvT1_
    .private_segment_fixed_size: 0
    .sgpr_count:     6
    .sgpr_spill_count: 0
    .symbol:         _ZN7rocprim17ROCPRIM_400000_NS6detail17trampoline_kernelINS0_14default_configENS1_35adjacent_difference_config_selectorILb1EhEEZNS1_24adjacent_difference_implIS3_Lb1ELb0EPhS7_N6thrust23THRUST_200600_302600_NS4plusIhEEEE10hipError_tPvRmT2_T3_mT4_P12ihipStream_tbEUlT_E_NS1_11comp_targetILNS1_3genE10ELNS1_11target_archE1201ELNS1_3gpuE5ELNS1_3repE0EEENS1_30default_config_static_selectorELNS0_4arch9wavefront6targetE1EEEvT1_.kd
    .uniform_work_group_size: 1
    .uses_dynamic_stack: false
    .vgpr_count:     0
    .vgpr_spill_count: 0
    .wavefront_size: 64
  - .agpr_count:     0
    .args:
      - .offset:         0
        .size:           56
        .value_kind:     by_value
    .group_segment_fixed_size: 2944
    .kernarg_segment_align: 8
    .kernarg_segment_size: 56
    .language:       OpenCL C
    .language_version:
      - 2
      - 0
    .max_flat_workgroup_size: 128
    .name:           _ZN7rocprim17ROCPRIM_400000_NS6detail17trampoline_kernelINS0_14default_configENS1_35adjacent_difference_config_selectorILb1EhEEZNS1_24adjacent_difference_implIS3_Lb1ELb0EPhS7_N6thrust23THRUST_200600_302600_NS4plusIhEEEE10hipError_tPvRmT2_T3_mT4_P12ihipStream_tbEUlT_E_NS1_11comp_targetILNS1_3genE5ELNS1_11target_archE942ELNS1_3gpuE9ELNS1_3repE0EEENS1_30default_config_static_selectorELNS0_4arch9wavefront6targetE1EEEvT1_
    .private_segment_fixed_size: 0
    .sgpr_count:     62
    .sgpr_spill_count: 0
    .symbol:         _ZN7rocprim17ROCPRIM_400000_NS6detail17trampoline_kernelINS0_14default_configENS1_35adjacent_difference_config_selectorILb1EhEEZNS1_24adjacent_difference_implIS3_Lb1ELb0EPhS7_N6thrust23THRUST_200600_302600_NS4plusIhEEEE10hipError_tPvRmT2_T3_mT4_P12ihipStream_tbEUlT_E_NS1_11comp_targetILNS1_3genE5ELNS1_11target_archE942ELNS1_3gpuE9ELNS1_3repE0EEENS1_30default_config_static_selectorELNS0_4arch9wavefront6targetE1EEEvT1_.kd
    .uniform_work_group_size: 1
    .uses_dynamic_stack: false
    .vgpr_count:     50
    .vgpr_spill_count: 0
    .wavefront_size: 64
  - .agpr_count:     0
    .args:
      - .offset:         0
        .size:           56
        .value_kind:     by_value
    .group_segment_fixed_size: 0
    .kernarg_segment_align: 8
    .kernarg_segment_size: 56
    .language:       OpenCL C
    .language_version:
      - 2
      - 0
    .max_flat_workgroup_size: 128
    .name:           _ZN7rocprim17ROCPRIM_400000_NS6detail17trampoline_kernelINS0_14default_configENS1_35adjacent_difference_config_selectorILb1EhEEZNS1_24adjacent_difference_implIS3_Lb1ELb0EPhS7_N6thrust23THRUST_200600_302600_NS4plusIhEEEE10hipError_tPvRmT2_T3_mT4_P12ihipStream_tbEUlT_E_NS1_11comp_targetILNS1_3genE4ELNS1_11target_archE910ELNS1_3gpuE8ELNS1_3repE0EEENS1_30default_config_static_selectorELNS0_4arch9wavefront6targetE1EEEvT1_
    .private_segment_fixed_size: 0
    .sgpr_count:     6
    .sgpr_spill_count: 0
    .symbol:         _ZN7rocprim17ROCPRIM_400000_NS6detail17trampoline_kernelINS0_14default_configENS1_35adjacent_difference_config_selectorILb1EhEEZNS1_24adjacent_difference_implIS3_Lb1ELb0EPhS7_N6thrust23THRUST_200600_302600_NS4plusIhEEEE10hipError_tPvRmT2_T3_mT4_P12ihipStream_tbEUlT_E_NS1_11comp_targetILNS1_3genE4ELNS1_11target_archE910ELNS1_3gpuE8ELNS1_3repE0EEENS1_30default_config_static_selectorELNS0_4arch9wavefront6targetE1EEEvT1_.kd
    .uniform_work_group_size: 1
    .uses_dynamic_stack: false
    .vgpr_count:     0
    .vgpr_spill_count: 0
    .wavefront_size: 64
  - .agpr_count:     0
    .args:
      - .offset:         0
        .size:           56
        .value_kind:     by_value
    .group_segment_fixed_size: 0
    .kernarg_segment_align: 8
    .kernarg_segment_size: 56
    .language:       OpenCL C
    .language_version:
      - 2
      - 0
    .max_flat_workgroup_size: 64
    .name:           _ZN7rocprim17ROCPRIM_400000_NS6detail17trampoline_kernelINS0_14default_configENS1_35adjacent_difference_config_selectorILb1EhEEZNS1_24adjacent_difference_implIS3_Lb1ELb0EPhS7_N6thrust23THRUST_200600_302600_NS4plusIhEEEE10hipError_tPvRmT2_T3_mT4_P12ihipStream_tbEUlT_E_NS1_11comp_targetILNS1_3genE3ELNS1_11target_archE908ELNS1_3gpuE7ELNS1_3repE0EEENS1_30default_config_static_selectorELNS0_4arch9wavefront6targetE1EEEvT1_
    .private_segment_fixed_size: 0
    .sgpr_count:     6
    .sgpr_spill_count: 0
    .symbol:         _ZN7rocprim17ROCPRIM_400000_NS6detail17trampoline_kernelINS0_14default_configENS1_35adjacent_difference_config_selectorILb1EhEEZNS1_24adjacent_difference_implIS3_Lb1ELb0EPhS7_N6thrust23THRUST_200600_302600_NS4plusIhEEEE10hipError_tPvRmT2_T3_mT4_P12ihipStream_tbEUlT_E_NS1_11comp_targetILNS1_3genE3ELNS1_11target_archE908ELNS1_3gpuE7ELNS1_3repE0EEENS1_30default_config_static_selectorELNS0_4arch9wavefront6targetE1EEEvT1_.kd
    .uniform_work_group_size: 1
    .uses_dynamic_stack: false
    .vgpr_count:     0
    .vgpr_spill_count: 0
    .wavefront_size: 64
  - .agpr_count:     0
    .args:
      - .offset:         0
        .size:           56
        .value_kind:     by_value
    .group_segment_fixed_size: 0
    .kernarg_segment_align: 8
    .kernarg_segment_size: 56
    .language:       OpenCL C
    .language_version:
      - 2
      - 0
    .max_flat_workgroup_size: 64
    .name:           _ZN7rocprim17ROCPRIM_400000_NS6detail17trampoline_kernelINS0_14default_configENS1_35adjacent_difference_config_selectorILb1EhEEZNS1_24adjacent_difference_implIS3_Lb1ELb0EPhS7_N6thrust23THRUST_200600_302600_NS4plusIhEEEE10hipError_tPvRmT2_T3_mT4_P12ihipStream_tbEUlT_E_NS1_11comp_targetILNS1_3genE2ELNS1_11target_archE906ELNS1_3gpuE6ELNS1_3repE0EEENS1_30default_config_static_selectorELNS0_4arch9wavefront6targetE1EEEvT1_
    .private_segment_fixed_size: 0
    .sgpr_count:     6
    .sgpr_spill_count: 0
    .symbol:         _ZN7rocprim17ROCPRIM_400000_NS6detail17trampoline_kernelINS0_14default_configENS1_35adjacent_difference_config_selectorILb1EhEEZNS1_24adjacent_difference_implIS3_Lb1ELb0EPhS7_N6thrust23THRUST_200600_302600_NS4plusIhEEEE10hipError_tPvRmT2_T3_mT4_P12ihipStream_tbEUlT_E_NS1_11comp_targetILNS1_3genE2ELNS1_11target_archE906ELNS1_3gpuE6ELNS1_3repE0EEENS1_30default_config_static_selectorELNS0_4arch9wavefront6targetE1EEEvT1_.kd
    .uniform_work_group_size: 1
    .uses_dynamic_stack: false
    .vgpr_count:     0
    .vgpr_spill_count: 0
    .wavefront_size: 64
  - .agpr_count:     0
    .args:
      - .offset:         0
        .size:           56
        .value_kind:     by_value
    .group_segment_fixed_size: 0
    .kernarg_segment_align: 8
    .kernarg_segment_size: 56
    .language:       OpenCL C
    .language_version:
      - 2
      - 0
    .max_flat_workgroup_size: 512
    .name:           _ZN7rocprim17ROCPRIM_400000_NS6detail17trampoline_kernelINS0_14default_configENS1_35adjacent_difference_config_selectorILb1EhEEZNS1_24adjacent_difference_implIS3_Lb1ELb0EPhS7_N6thrust23THRUST_200600_302600_NS4plusIhEEEE10hipError_tPvRmT2_T3_mT4_P12ihipStream_tbEUlT_E_NS1_11comp_targetILNS1_3genE9ELNS1_11target_archE1100ELNS1_3gpuE3ELNS1_3repE0EEENS1_30default_config_static_selectorELNS0_4arch9wavefront6targetE1EEEvT1_
    .private_segment_fixed_size: 0
    .sgpr_count:     6
    .sgpr_spill_count: 0
    .symbol:         _ZN7rocprim17ROCPRIM_400000_NS6detail17trampoline_kernelINS0_14default_configENS1_35adjacent_difference_config_selectorILb1EhEEZNS1_24adjacent_difference_implIS3_Lb1ELb0EPhS7_N6thrust23THRUST_200600_302600_NS4plusIhEEEE10hipError_tPvRmT2_T3_mT4_P12ihipStream_tbEUlT_E_NS1_11comp_targetILNS1_3genE9ELNS1_11target_archE1100ELNS1_3gpuE3ELNS1_3repE0EEENS1_30default_config_static_selectorELNS0_4arch9wavefront6targetE1EEEvT1_.kd
    .uniform_work_group_size: 1
    .uses_dynamic_stack: false
    .vgpr_count:     0
    .vgpr_spill_count: 0
    .wavefront_size: 64
  - .agpr_count:     0
    .args:
      - .offset:         0
        .size:           56
        .value_kind:     by_value
    .group_segment_fixed_size: 0
    .kernarg_segment_align: 8
    .kernarg_segment_size: 56
    .language:       OpenCL C
    .language_version:
      - 2
      - 0
    .max_flat_workgroup_size: 1024
    .name:           _ZN7rocprim17ROCPRIM_400000_NS6detail17trampoline_kernelINS0_14default_configENS1_35adjacent_difference_config_selectorILb1EhEEZNS1_24adjacent_difference_implIS3_Lb1ELb0EPhS7_N6thrust23THRUST_200600_302600_NS4plusIhEEEE10hipError_tPvRmT2_T3_mT4_P12ihipStream_tbEUlT_E_NS1_11comp_targetILNS1_3genE8ELNS1_11target_archE1030ELNS1_3gpuE2ELNS1_3repE0EEENS1_30default_config_static_selectorELNS0_4arch9wavefront6targetE1EEEvT1_
    .private_segment_fixed_size: 0
    .sgpr_count:     6
    .sgpr_spill_count: 0
    .symbol:         _ZN7rocprim17ROCPRIM_400000_NS6detail17trampoline_kernelINS0_14default_configENS1_35adjacent_difference_config_selectorILb1EhEEZNS1_24adjacent_difference_implIS3_Lb1ELb0EPhS7_N6thrust23THRUST_200600_302600_NS4plusIhEEEE10hipError_tPvRmT2_T3_mT4_P12ihipStream_tbEUlT_E_NS1_11comp_targetILNS1_3genE8ELNS1_11target_archE1030ELNS1_3gpuE2ELNS1_3repE0EEENS1_30default_config_static_selectorELNS0_4arch9wavefront6targetE1EEEvT1_.kd
    .uniform_work_group_size: 1
    .uses_dynamic_stack: false
    .vgpr_count:     0
    .vgpr_spill_count: 0
    .wavefront_size: 64
  - .agpr_count:     0
    .args:
      - .offset:         0
        .size:           16
        .value_kind:     by_value
      - .offset:         16
        .size:           8
        .value_kind:     by_value
      - .offset:         24
        .size:           8
        .value_kind:     by_value
    .group_segment_fixed_size: 0
    .kernarg_segment_align: 8
    .kernarg_segment_size: 32
    .language:       OpenCL C
    .language_version:
      - 2
      - 0
    .max_flat_workgroup_size: 256
    .name:           _ZN6thrust23THRUST_200600_302600_NS11hip_rocprim14__parallel_for6kernelILj256ENS1_20__uninitialized_fill7functorINS0_10device_ptrItEEtEEmLj1EEEvT0_T1_SA_
    .private_segment_fixed_size: 0
    .sgpr_count:     14
    .sgpr_spill_count: 0
    .symbol:         _ZN6thrust23THRUST_200600_302600_NS11hip_rocprim14__parallel_for6kernelILj256ENS1_20__uninitialized_fill7functorINS0_10device_ptrItEEtEEmLj1EEEvT0_T1_SA_.kd
    .uniform_work_group_size: 1
    .uses_dynamic_stack: false
    .vgpr_count:     4
    .vgpr_spill_count: 0
    .wavefront_size: 64
  - .agpr_count:     0
    .args:
      - .offset:         0
        .size:           56
        .value_kind:     by_value
    .group_segment_fixed_size: 0
    .kernarg_segment_align: 8
    .kernarg_segment_size: 56
    .language:       OpenCL C
    .language_version:
      - 2
      - 0
    .max_flat_workgroup_size: 64
    .name:           _ZN7rocprim17ROCPRIM_400000_NS6detail17trampoline_kernelINS0_14default_configENS1_35adjacent_difference_config_selectorILb0EtEEZNS1_24adjacent_difference_implIS3_Lb0ELb0EPtS7_N6thrust23THRUST_200600_302600_NS5minusItEEEE10hipError_tPvRmT2_T3_mT4_P12ihipStream_tbEUlT_E_NS1_11comp_targetILNS1_3genE0ELNS1_11target_archE4294967295ELNS1_3gpuE0ELNS1_3repE0EEENS1_30default_config_static_selectorELNS0_4arch9wavefront6targetE1EEEvT1_
    .private_segment_fixed_size: 0
    .sgpr_count:     6
    .sgpr_spill_count: 0
    .symbol:         _ZN7rocprim17ROCPRIM_400000_NS6detail17trampoline_kernelINS0_14default_configENS1_35adjacent_difference_config_selectorILb0EtEEZNS1_24adjacent_difference_implIS3_Lb0ELb0EPtS7_N6thrust23THRUST_200600_302600_NS5minusItEEEE10hipError_tPvRmT2_T3_mT4_P12ihipStream_tbEUlT_E_NS1_11comp_targetILNS1_3genE0ELNS1_11target_archE4294967295ELNS1_3gpuE0ELNS1_3repE0EEENS1_30default_config_static_selectorELNS0_4arch9wavefront6targetE1EEEvT1_.kd
    .uniform_work_group_size: 1
    .uses_dynamic_stack: false
    .vgpr_count:     0
    .vgpr_spill_count: 0
    .wavefront_size: 64
  - .agpr_count:     0
    .args:
      - .offset:         0
        .size:           56
        .value_kind:     by_value
    .group_segment_fixed_size: 0
    .kernarg_segment_align: 8
    .kernarg_segment_size: 56
    .language:       OpenCL C
    .language_version:
      - 2
      - 0
    .max_flat_workgroup_size: 128
    .name:           _ZN7rocprim17ROCPRIM_400000_NS6detail17trampoline_kernelINS0_14default_configENS1_35adjacent_difference_config_selectorILb0EtEEZNS1_24adjacent_difference_implIS3_Lb0ELb0EPtS7_N6thrust23THRUST_200600_302600_NS5minusItEEEE10hipError_tPvRmT2_T3_mT4_P12ihipStream_tbEUlT_E_NS1_11comp_targetILNS1_3genE10ELNS1_11target_archE1201ELNS1_3gpuE5ELNS1_3repE0EEENS1_30default_config_static_selectorELNS0_4arch9wavefront6targetE1EEEvT1_
    .private_segment_fixed_size: 0
    .sgpr_count:     6
    .sgpr_spill_count: 0
    .symbol:         _ZN7rocprim17ROCPRIM_400000_NS6detail17trampoline_kernelINS0_14default_configENS1_35adjacent_difference_config_selectorILb0EtEEZNS1_24adjacent_difference_implIS3_Lb0ELb0EPtS7_N6thrust23THRUST_200600_302600_NS5minusItEEEE10hipError_tPvRmT2_T3_mT4_P12ihipStream_tbEUlT_E_NS1_11comp_targetILNS1_3genE10ELNS1_11target_archE1201ELNS1_3gpuE5ELNS1_3repE0EEENS1_30default_config_static_selectorELNS0_4arch9wavefront6targetE1EEEvT1_.kd
    .uniform_work_group_size: 1
    .uses_dynamic_stack: false
    .vgpr_count:     0
    .vgpr_spill_count: 0
    .wavefront_size: 64
  - .agpr_count:     0
    .args:
      - .offset:         0
        .size:           56
        .value_kind:     by_value
    .group_segment_fixed_size: 8704
    .kernarg_segment_align: 8
    .kernarg_segment_size: 56
    .language:       OpenCL C
    .language_version:
      - 2
      - 0
    .max_flat_workgroup_size: 256
    .name:           _ZN7rocprim17ROCPRIM_400000_NS6detail17trampoline_kernelINS0_14default_configENS1_35adjacent_difference_config_selectorILb0EtEEZNS1_24adjacent_difference_implIS3_Lb0ELb0EPtS7_N6thrust23THRUST_200600_302600_NS5minusItEEEE10hipError_tPvRmT2_T3_mT4_P12ihipStream_tbEUlT_E_NS1_11comp_targetILNS1_3genE5ELNS1_11target_archE942ELNS1_3gpuE9ELNS1_3repE0EEENS1_30default_config_static_selectorELNS0_4arch9wavefront6targetE1EEEvT1_
    .private_segment_fixed_size: 0
    .sgpr_count:     29
    .sgpr_spill_count: 0
    .symbol:         _ZN7rocprim17ROCPRIM_400000_NS6detail17trampoline_kernelINS0_14default_configENS1_35adjacent_difference_config_selectorILb0EtEEZNS1_24adjacent_difference_implIS3_Lb0ELb0EPtS7_N6thrust23THRUST_200600_302600_NS5minusItEEEE10hipError_tPvRmT2_T3_mT4_P12ihipStream_tbEUlT_E_NS1_11comp_targetILNS1_3genE5ELNS1_11target_archE942ELNS1_3gpuE9ELNS1_3repE0EEENS1_30default_config_static_selectorELNS0_4arch9wavefront6targetE1EEEvT1_.kd
    .uniform_work_group_size: 1
    .uses_dynamic_stack: false
    .vgpr_count:     34
    .vgpr_spill_count: 0
    .wavefront_size: 64
  - .agpr_count:     0
    .args:
      - .offset:         0
        .size:           56
        .value_kind:     by_value
    .group_segment_fixed_size: 0
    .kernarg_segment_align: 8
    .kernarg_segment_size: 56
    .language:       OpenCL C
    .language_version:
      - 2
      - 0
    .max_flat_workgroup_size: 64
    .name:           _ZN7rocprim17ROCPRIM_400000_NS6detail17trampoline_kernelINS0_14default_configENS1_35adjacent_difference_config_selectorILb0EtEEZNS1_24adjacent_difference_implIS3_Lb0ELb0EPtS7_N6thrust23THRUST_200600_302600_NS5minusItEEEE10hipError_tPvRmT2_T3_mT4_P12ihipStream_tbEUlT_E_NS1_11comp_targetILNS1_3genE4ELNS1_11target_archE910ELNS1_3gpuE8ELNS1_3repE0EEENS1_30default_config_static_selectorELNS0_4arch9wavefront6targetE1EEEvT1_
    .private_segment_fixed_size: 0
    .sgpr_count:     6
    .sgpr_spill_count: 0
    .symbol:         _ZN7rocprim17ROCPRIM_400000_NS6detail17trampoline_kernelINS0_14default_configENS1_35adjacent_difference_config_selectorILb0EtEEZNS1_24adjacent_difference_implIS3_Lb0ELb0EPtS7_N6thrust23THRUST_200600_302600_NS5minusItEEEE10hipError_tPvRmT2_T3_mT4_P12ihipStream_tbEUlT_E_NS1_11comp_targetILNS1_3genE4ELNS1_11target_archE910ELNS1_3gpuE8ELNS1_3repE0EEENS1_30default_config_static_selectorELNS0_4arch9wavefront6targetE1EEEvT1_.kd
    .uniform_work_group_size: 1
    .uses_dynamic_stack: false
    .vgpr_count:     0
    .vgpr_spill_count: 0
    .wavefront_size: 64
  - .agpr_count:     0
    .args:
      - .offset:         0
        .size:           56
        .value_kind:     by_value
    .group_segment_fixed_size: 0
    .kernarg_segment_align: 8
    .kernarg_segment_size: 56
    .language:       OpenCL C
    .language_version:
      - 2
      - 0
    .max_flat_workgroup_size: 64
    .name:           _ZN7rocprim17ROCPRIM_400000_NS6detail17trampoline_kernelINS0_14default_configENS1_35adjacent_difference_config_selectorILb0EtEEZNS1_24adjacent_difference_implIS3_Lb0ELb0EPtS7_N6thrust23THRUST_200600_302600_NS5minusItEEEE10hipError_tPvRmT2_T3_mT4_P12ihipStream_tbEUlT_E_NS1_11comp_targetILNS1_3genE3ELNS1_11target_archE908ELNS1_3gpuE7ELNS1_3repE0EEENS1_30default_config_static_selectorELNS0_4arch9wavefront6targetE1EEEvT1_
    .private_segment_fixed_size: 0
    .sgpr_count:     6
    .sgpr_spill_count: 0
    .symbol:         _ZN7rocprim17ROCPRIM_400000_NS6detail17trampoline_kernelINS0_14default_configENS1_35adjacent_difference_config_selectorILb0EtEEZNS1_24adjacent_difference_implIS3_Lb0ELb0EPtS7_N6thrust23THRUST_200600_302600_NS5minusItEEEE10hipError_tPvRmT2_T3_mT4_P12ihipStream_tbEUlT_E_NS1_11comp_targetILNS1_3genE3ELNS1_11target_archE908ELNS1_3gpuE7ELNS1_3repE0EEENS1_30default_config_static_selectorELNS0_4arch9wavefront6targetE1EEEvT1_.kd
    .uniform_work_group_size: 1
    .uses_dynamic_stack: false
    .vgpr_count:     0
    .vgpr_spill_count: 0
    .wavefront_size: 64
  - .agpr_count:     0
    .args:
      - .offset:         0
        .size:           56
        .value_kind:     by_value
    .group_segment_fixed_size: 0
    .kernarg_segment_align: 8
    .kernarg_segment_size: 56
    .language:       OpenCL C
    .language_version:
      - 2
      - 0
    .max_flat_workgroup_size: 64
    .name:           _ZN7rocprim17ROCPRIM_400000_NS6detail17trampoline_kernelINS0_14default_configENS1_35adjacent_difference_config_selectorILb0EtEEZNS1_24adjacent_difference_implIS3_Lb0ELb0EPtS7_N6thrust23THRUST_200600_302600_NS5minusItEEEE10hipError_tPvRmT2_T3_mT4_P12ihipStream_tbEUlT_E_NS1_11comp_targetILNS1_3genE2ELNS1_11target_archE906ELNS1_3gpuE6ELNS1_3repE0EEENS1_30default_config_static_selectorELNS0_4arch9wavefront6targetE1EEEvT1_
    .private_segment_fixed_size: 0
    .sgpr_count:     6
    .sgpr_spill_count: 0
    .symbol:         _ZN7rocprim17ROCPRIM_400000_NS6detail17trampoline_kernelINS0_14default_configENS1_35adjacent_difference_config_selectorILb0EtEEZNS1_24adjacent_difference_implIS3_Lb0ELb0EPtS7_N6thrust23THRUST_200600_302600_NS5minusItEEEE10hipError_tPvRmT2_T3_mT4_P12ihipStream_tbEUlT_E_NS1_11comp_targetILNS1_3genE2ELNS1_11target_archE906ELNS1_3gpuE6ELNS1_3repE0EEENS1_30default_config_static_selectorELNS0_4arch9wavefront6targetE1EEEvT1_.kd
    .uniform_work_group_size: 1
    .uses_dynamic_stack: false
    .vgpr_count:     0
    .vgpr_spill_count: 0
    .wavefront_size: 64
  - .agpr_count:     0
    .args:
      - .offset:         0
        .size:           56
        .value_kind:     by_value
    .group_segment_fixed_size: 0
    .kernarg_segment_align: 8
    .kernarg_segment_size: 56
    .language:       OpenCL C
    .language_version:
      - 2
      - 0
    .max_flat_workgroup_size: 64
    .name:           _ZN7rocprim17ROCPRIM_400000_NS6detail17trampoline_kernelINS0_14default_configENS1_35adjacent_difference_config_selectorILb0EtEEZNS1_24adjacent_difference_implIS3_Lb0ELb0EPtS7_N6thrust23THRUST_200600_302600_NS5minusItEEEE10hipError_tPvRmT2_T3_mT4_P12ihipStream_tbEUlT_E_NS1_11comp_targetILNS1_3genE9ELNS1_11target_archE1100ELNS1_3gpuE3ELNS1_3repE0EEENS1_30default_config_static_selectorELNS0_4arch9wavefront6targetE1EEEvT1_
    .private_segment_fixed_size: 0
    .sgpr_count:     6
    .sgpr_spill_count: 0
    .symbol:         _ZN7rocprim17ROCPRIM_400000_NS6detail17trampoline_kernelINS0_14default_configENS1_35adjacent_difference_config_selectorILb0EtEEZNS1_24adjacent_difference_implIS3_Lb0ELb0EPtS7_N6thrust23THRUST_200600_302600_NS5minusItEEEE10hipError_tPvRmT2_T3_mT4_P12ihipStream_tbEUlT_E_NS1_11comp_targetILNS1_3genE9ELNS1_11target_archE1100ELNS1_3gpuE3ELNS1_3repE0EEENS1_30default_config_static_selectorELNS0_4arch9wavefront6targetE1EEEvT1_.kd
    .uniform_work_group_size: 1
    .uses_dynamic_stack: false
    .vgpr_count:     0
    .vgpr_spill_count: 0
    .wavefront_size: 64
  - .agpr_count:     0
    .args:
      - .offset:         0
        .size:           56
        .value_kind:     by_value
    .group_segment_fixed_size: 0
    .kernarg_segment_align: 8
    .kernarg_segment_size: 56
    .language:       OpenCL C
    .language_version:
      - 2
      - 0
    .max_flat_workgroup_size: 1024
    .name:           _ZN7rocprim17ROCPRIM_400000_NS6detail17trampoline_kernelINS0_14default_configENS1_35adjacent_difference_config_selectorILb0EtEEZNS1_24adjacent_difference_implIS3_Lb0ELb0EPtS7_N6thrust23THRUST_200600_302600_NS5minusItEEEE10hipError_tPvRmT2_T3_mT4_P12ihipStream_tbEUlT_E_NS1_11comp_targetILNS1_3genE8ELNS1_11target_archE1030ELNS1_3gpuE2ELNS1_3repE0EEENS1_30default_config_static_selectorELNS0_4arch9wavefront6targetE1EEEvT1_
    .private_segment_fixed_size: 0
    .sgpr_count:     6
    .sgpr_spill_count: 0
    .symbol:         _ZN7rocprim17ROCPRIM_400000_NS6detail17trampoline_kernelINS0_14default_configENS1_35adjacent_difference_config_selectorILb0EtEEZNS1_24adjacent_difference_implIS3_Lb0ELb0EPtS7_N6thrust23THRUST_200600_302600_NS5minusItEEEE10hipError_tPvRmT2_T3_mT4_P12ihipStream_tbEUlT_E_NS1_11comp_targetILNS1_3genE8ELNS1_11target_archE1030ELNS1_3gpuE2ELNS1_3repE0EEENS1_30default_config_static_selectorELNS0_4arch9wavefront6targetE1EEEvT1_.kd
    .uniform_work_group_size: 1
    .uses_dynamic_stack: false
    .vgpr_count:     0
    .vgpr_spill_count: 0
    .wavefront_size: 64
  - .agpr_count:     0
    .args:
      - .offset:         0
        .size:           56
        .value_kind:     by_value
    .group_segment_fixed_size: 0
    .kernarg_segment_align: 8
    .kernarg_segment_size: 56
    .language:       OpenCL C
    .language_version:
      - 2
      - 0
    .max_flat_workgroup_size: 128
    .name:           _ZN7rocprim17ROCPRIM_400000_NS6detail17trampoline_kernelINS0_14default_configENS1_25transform_config_selectorItLb0EEEZNS1_14transform_implILb0ES3_S5_NS0_18transform_iteratorINS0_17counting_iteratorImlEEZNS1_24adjacent_difference_implIS3_Lb1ELb0EPtSB_N6thrust23THRUST_200600_302600_NS5minusItEEEE10hipError_tPvRmT2_T3_mT4_P12ihipStream_tbEUlmE_tEESB_NS0_8identityIvEEEESG_SJ_SK_mSL_SN_bEUlT_E_NS1_11comp_targetILNS1_3genE0ELNS1_11target_archE4294967295ELNS1_3gpuE0ELNS1_3repE0EEENS1_30default_config_static_selectorELNS0_4arch9wavefront6targetE1EEEvT1_
    .private_segment_fixed_size: 0
    .sgpr_count:     6
    .sgpr_spill_count: 0
    .symbol:         _ZN7rocprim17ROCPRIM_400000_NS6detail17trampoline_kernelINS0_14default_configENS1_25transform_config_selectorItLb0EEEZNS1_14transform_implILb0ES3_S5_NS0_18transform_iteratorINS0_17counting_iteratorImlEEZNS1_24adjacent_difference_implIS3_Lb1ELb0EPtSB_N6thrust23THRUST_200600_302600_NS5minusItEEEE10hipError_tPvRmT2_T3_mT4_P12ihipStream_tbEUlmE_tEESB_NS0_8identityIvEEEESG_SJ_SK_mSL_SN_bEUlT_E_NS1_11comp_targetILNS1_3genE0ELNS1_11target_archE4294967295ELNS1_3gpuE0ELNS1_3repE0EEENS1_30default_config_static_selectorELNS0_4arch9wavefront6targetE1EEEvT1_.kd
    .uniform_work_group_size: 1
    .uses_dynamic_stack: false
    .vgpr_count:     0
    .vgpr_spill_count: 0
    .wavefront_size: 64
  - .agpr_count:     0
    .args:
      - .offset:         0
        .size:           56
        .value_kind:     by_value
      - .offset:         56
        .size:           4
        .value_kind:     hidden_block_count_x
      - .offset:         60
        .size:           4
        .value_kind:     hidden_block_count_y
      - .offset:         64
        .size:           4
        .value_kind:     hidden_block_count_z
      - .offset:         68
        .size:           2
        .value_kind:     hidden_group_size_x
      - .offset:         70
        .size:           2
        .value_kind:     hidden_group_size_y
      - .offset:         72
        .size:           2
        .value_kind:     hidden_group_size_z
      - .offset:         74
        .size:           2
        .value_kind:     hidden_remainder_x
      - .offset:         76
        .size:           2
        .value_kind:     hidden_remainder_y
      - .offset:         78
        .size:           2
        .value_kind:     hidden_remainder_z
      - .offset:         96
        .size:           8
        .value_kind:     hidden_global_offset_x
      - .offset:         104
        .size:           8
        .value_kind:     hidden_global_offset_y
      - .offset:         112
        .size:           8
        .value_kind:     hidden_global_offset_z
      - .offset:         120
        .size:           2
        .value_kind:     hidden_grid_dims
    .group_segment_fixed_size: 0
    .kernarg_segment_align: 8
    .kernarg_segment_size: 312
    .language:       OpenCL C
    .language_version:
      - 2
      - 0
    .max_flat_workgroup_size: 256
    .name:           _ZN7rocprim17ROCPRIM_400000_NS6detail17trampoline_kernelINS0_14default_configENS1_25transform_config_selectorItLb0EEEZNS1_14transform_implILb0ES3_S5_NS0_18transform_iteratorINS0_17counting_iteratorImlEEZNS1_24adjacent_difference_implIS3_Lb1ELb0EPtSB_N6thrust23THRUST_200600_302600_NS5minusItEEEE10hipError_tPvRmT2_T3_mT4_P12ihipStream_tbEUlmE_tEESB_NS0_8identityIvEEEESG_SJ_SK_mSL_SN_bEUlT_E_NS1_11comp_targetILNS1_3genE5ELNS1_11target_archE942ELNS1_3gpuE9ELNS1_3repE0EEENS1_30default_config_static_selectorELNS0_4arch9wavefront6targetE1EEEvT1_
    .private_segment_fixed_size: 0
    .sgpr_count:     34
    .sgpr_spill_count: 0
    .symbol:         _ZN7rocprim17ROCPRIM_400000_NS6detail17trampoline_kernelINS0_14default_configENS1_25transform_config_selectorItLb0EEEZNS1_14transform_implILb0ES3_S5_NS0_18transform_iteratorINS0_17counting_iteratorImlEEZNS1_24adjacent_difference_implIS3_Lb1ELb0EPtSB_N6thrust23THRUST_200600_302600_NS5minusItEEEE10hipError_tPvRmT2_T3_mT4_P12ihipStream_tbEUlmE_tEESB_NS0_8identityIvEEEESG_SJ_SK_mSL_SN_bEUlT_E_NS1_11comp_targetILNS1_3genE5ELNS1_11target_archE942ELNS1_3gpuE9ELNS1_3repE0EEENS1_30default_config_static_selectorELNS0_4arch9wavefront6targetE1EEEvT1_.kd
    .uniform_work_group_size: 1
    .uses_dynamic_stack: false
    .vgpr_count:     19
    .vgpr_spill_count: 0
    .wavefront_size: 64
  - .agpr_count:     0
    .args:
      - .offset:         0
        .size:           56
        .value_kind:     by_value
    .group_segment_fixed_size: 0
    .kernarg_segment_align: 8
    .kernarg_segment_size: 56
    .language:       OpenCL C
    .language_version:
      - 2
      - 0
    .max_flat_workgroup_size: 64
    .name:           _ZN7rocprim17ROCPRIM_400000_NS6detail17trampoline_kernelINS0_14default_configENS1_25transform_config_selectorItLb0EEEZNS1_14transform_implILb0ES3_S5_NS0_18transform_iteratorINS0_17counting_iteratorImlEEZNS1_24adjacent_difference_implIS3_Lb1ELb0EPtSB_N6thrust23THRUST_200600_302600_NS5minusItEEEE10hipError_tPvRmT2_T3_mT4_P12ihipStream_tbEUlmE_tEESB_NS0_8identityIvEEEESG_SJ_SK_mSL_SN_bEUlT_E_NS1_11comp_targetILNS1_3genE4ELNS1_11target_archE910ELNS1_3gpuE8ELNS1_3repE0EEENS1_30default_config_static_selectorELNS0_4arch9wavefront6targetE1EEEvT1_
    .private_segment_fixed_size: 0
    .sgpr_count:     6
    .sgpr_spill_count: 0
    .symbol:         _ZN7rocprim17ROCPRIM_400000_NS6detail17trampoline_kernelINS0_14default_configENS1_25transform_config_selectorItLb0EEEZNS1_14transform_implILb0ES3_S5_NS0_18transform_iteratorINS0_17counting_iteratorImlEEZNS1_24adjacent_difference_implIS3_Lb1ELb0EPtSB_N6thrust23THRUST_200600_302600_NS5minusItEEEE10hipError_tPvRmT2_T3_mT4_P12ihipStream_tbEUlmE_tEESB_NS0_8identityIvEEEESG_SJ_SK_mSL_SN_bEUlT_E_NS1_11comp_targetILNS1_3genE4ELNS1_11target_archE910ELNS1_3gpuE8ELNS1_3repE0EEENS1_30default_config_static_selectorELNS0_4arch9wavefront6targetE1EEEvT1_.kd
    .uniform_work_group_size: 1
    .uses_dynamic_stack: false
    .vgpr_count:     0
    .vgpr_spill_count: 0
    .wavefront_size: 64
  - .agpr_count:     0
    .args:
      - .offset:         0
        .size:           56
        .value_kind:     by_value
    .group_segment_fixed_size: 0
    .kernarg_segment_align: 8
    .kernarg_segment_size: 56
    .language:       OpenCL C
    .language_version:
      - 2
      - 0
    .max_flat_workgroup_size: 128
    .name:           _ZN7rocprim17ROCPRIM_400000_NS6detail17trampoline_kernelINS0_14default_configENS1_25transform_config_selectorItLb0EEEZNS1_14transform_implILb0ES3_S5_NS0_18transform_iteratorINS0_17counting_iteratorImlEEZNS1_24adjacent_difference_implIS3_Lb1ELb0EPtSB_N6thrust23THRUST_200600_302600_NS5minusItEEEE10hipError_tPvRmT2_T3_mT4_P12ihipStream_tbEUlmE_tEESB_NS0_8identityIvEEEESG_SJ_SK_mSL_SN_bEUlT_E_NS1_11comp_targetILNS1_3genE3ELNS1_11target_archE908ELNS1_3gpuE7ELNS1_3repE0EEENS1_30default_config_static_selectorELNS0_4arch9wavefront6targetE1EEEvT1_
    .private_segment_fixed_size: 0
    .sgpr_count:     6
    .sgpr_spill_count: 0
    .symbol:         _ZN7rocprim17ROCPRIM_400000_NS6detail17trampoline_kernelINS0_14default_configENS1_25transform_config_selectorItLb0EEEZNS1_14transform_implILb0ES3_S5_NS0_18transform_iteratorINS0_17counting_iteratorImlEEZNS1_24adjacent_difference_implIS3_Lb1ELb0EPtSB_N6thrust23THRUST_200600_302600_NS5minusItEEEE10hipError_tPvRmT2_T3_mT4_P12ihipStream_tbEUlmE_tEESB_NS0_8identityIvEEEESG_SJ_SK_mSL_SN_bEUlT_E_NS1_11comp_targetILNS1_3genE3ELNS1_11target_archE908ELNS1_3gpuE7ELNS1_3repE0EEENS1_30default_config_static_selectorELNS0_4arch9wavefront6targetE1EEEvT1_.kd
    .uniform_work_group_size: 1
    .uses_dynamic_stack: false
    .vgpr_count:     0
    .vgpr_spill_count: 0
    .wavefront_size: 64
  - .agpr_count:     0
    .args:
      - .offset:         0
        .size:           56
        .value_kind:     by_value
    .group_segment_fixed_size: 0
    .kernarg_segment_align: 8
    .kernarg_segment_size: 56
    .language:       OpenCL C
    .language_version:
      - 2
      - 0
    .max_flat_workgroup_size: 512
    .name:           _ZN7rocprim17ROCPRIM_400000_NS6detail17trampoline_kernelINS0_14default_configENS1_25transform_config_selectorItLb0EEEZNS1_14transform_implILb0ES3_S5_NS0_18transform_iteratorINS0_17counting_iteratorImlEEZNS1_24adjacent_difference_implIS3_Lb1ELb0EPtSB_N6thrust23THRUST_200600_302600_NS5minusItEEEE10hipError_tPvRmT2_T3_mT4_P12ihipStream_tbEUlmE_tEESB_NS0_8identityIvEEEESG_SJ_SK_mSL_SN_bEUlT_E_NS1_11comp_targetILNS1_3genE2ELNS1_11target_archE906ELNS1_3gpuE6ELNS1_3repE0EEENS1_30default_config_static_selectorELNS0_4arch9wavefront6targetE1EEEvT1_
    .private_segment_fixed_size: 0
    .sgpr_count:     6
    .sgpr_spill_count: 0
    .symbol:         _ZN7rocprim17ROCPRIM_400000_NS6detail17trampoline_kernelINS0_14default_configENS1_25transform_config_selectorItLb0EEEZNS1_14transform_implILb0ES3_S5_NS0_18transform_iteratorINS0_17counting_iteratorImlEEZNS1_24adjacent_difference_implIS3_Lb1ELb0EPtSB_N6thrust23THRUST_200600_302600_NS5minusItEEEE10hipError_tPvRmT2_T3_mT4_P12ihipStream_tbEUlmE_tEESB_NS0_8identityIvEEEESG_SJ_SK_mSL_SN_bEUlT_E_NS1_11comp_targetILNS1_3genE2ELNS1_11target_archE906ELNS1_3gpuE6ELNS1_3repE0EEENS1_30default_config_static_selectorELNS0_4arch9wavefront6targetE1EEEvT1_.kd
    .uniform_work_group_size: 1
    .uses_dynamic_stack: false
    .vgpr_count:     0
    .vgpr_spill_count: 0
    .wavefront_size: 64
  - .agpr_count:     0
    .args:
      - .offset:         0
        .size:           56
        .value_kind:     by_value
    .group_segment_fixed_size: 0
    .kernarg_segment_align: 8
    .kernarg_segment_size: 56
    .language:       OpenCL C
    .language_version:
      - 2
      - 0
    .max_flat_workgroup_size: 1024
    .name:           _ZN7rocprim17ROCPRIM_400000_NS6detail17trampoline_kernelINS0_14default_configENS1_25transform_config_selectorItLb0EEEZNS1_14transform_implILb0ES3_S5_NS0_18transform_iteratorINS0_17counting_iteratorImlEEZNS1_24adjacent_difference_implIS3_Lb1ELb0EPtSB_N6thrust23THRUST_200600_302600_NS5minusItEEEE10hipError_tPvRmT2_T3_mT4_P12ihipStream_tbEUlmE_tEESB_NS0_8identityIvEEEESG_SJ_SK_mSL_SN_bEUlT_E_NS1_11comp_targetILNS1_3genE10ELNS1_11target_archE1201ELNS1_3gpuE5ELNS1_3repE0EEENS1_30default_config_static_selectorELNS0_4arch9wavefront6targetE1EEEvT1_
    .private_segment_fixed_size: 0
    .sgpr_count:     6
    .sgpr_spill_count: 0
    .symbol:         _ZN7rocprim17ROCPRIM_400000_NS6detail17trampoline_kernelINS0_14default_configENS1_25transform_config_selectorItLb0EEEZNS1_14transform_implILb0ES3_S5_NS0_18transform_iteratorINS0_17counting_iteratorImlEEZNS1_24adjacent_difference_implIS3_Lb1ELb0EPtSB_N6thrust23THRUST_200600_302600_NS5minusItEEEE10hipError_tPvRmT2_T3_mT4_P12ihipStream_tbEUlmE_tEESB_NS0_8identityIvEEEESG_SJ_SK_mSL_SN_bEUlT_E_NS1_11comp_targetILNS1_3genE10ELNS1_11target_archE1201ELNS1_3gpuE5ELNS1_3repE0EEENS1_30default_config_static_selectorELNS0_4arch9wavefront6targetE1EEEvT1_.kd
    .uniform_work_group_size: 1
    .uses_dynamic_stack: false
    .vgpr_count:     0
    .vgpr_spill_count: 0
    .wavefront_size: 64
  - .agpr_count:     0
    .args:
      - .offset:         0
        .size:           56
        .value_kind:     by_value
    .group_segment_fixed_size: 0
    .kernarg_segment_align: 8
    .kernarg_segment_size: 56
    .language:       OpenCL C
    .language_version:
      - 2
      - 0
    .max_flat_workgroup_size: 512
    .name:           _ZN7rocprim17ROCPRIM_400000_NS6detail17trampoline_kernelINS0_14default_configENS1_25transform_config_selectorItLb0EEEZNS1_14transform_implILb0ES3_S5_NS0_18transform_iteratorINS0_17counting_iteratorImlEEZNS1_24adjacent_difference_implIS3_Lb1ELb0EPtSB_N6thrust23THRUST_200600_302600_NS5minusItEEEE10hipError_tPvRmT2_T3_mT4_P12ihipStream_tbEUlmE_tEESB_NS0_8identityIvEEEESG_SJ_SK_mSL_SN_bEUlT_E_NS1_11comp_targetILNS1_3genE10ELNS1_11target_archE1200ELNS1_3gpuE4ELNS1_3repE0EEENS1_30default_config_static_selectorELNS0_4arch9wavefront6targetE1EEEvT1_
    .private_segment_fixed_size: 0
    .sgpr_count:     6
    .sgpr_spill_count: 0
    .symbol:         _ZN7rocprim17ROCPRIM_400000_NS6detail17trampoline_kernelINS0_14default_configENS1_25transform_config_selectorItLb0EEEZNS1_14transform_implILb0ES3_S5_NS0_18transform_iteratorINS0_17counting_iteratorImlEEZNS1_24adjacent_difference_implIS3_Lb1ELb0EPtSB_N6thrust23THRUST_200600_302600_NS5minusItEEEE10hipError_tPvRmT2_T3_mT4_P12ihipStream_tbEUlmE_tEESB_NS0_8identityIvEEEESG_SJ_SK_mSL_SN_bEUlT_E_NS1_11comp_targetILNS1_3genE10ELNS1_11target_archE1200ELNS1_3gpuE4ELNS1_3repE0EEENS1_30default_config_static_selectorELNS0_4arch9wavefront6targetE1EEEvT1_.kd
    .uniform_work_group_size: 1
    .uses_dynamic_stack: false
    .vgpr_count:     0
    .vgpr_spill_count: 0
    .wavefront_size: 64
  - .agpr_count:     0
    .args:
      - .offset:         0
        .size:           56
        .value_kind:     by_value
    .group_segment_fixed_size: 0
    .kernarg_segment_align: 8
    .kernarg_segment_size: 56
    .language:       OpenCL C
    .language_version:
      - 2
      - 0
    .max_flat_workgroup_size: 1024
    .name:           _ZN7rocprim17ROCPRIM_400000_NS6detail17trampoline_kernelINS0_14default_configENS1_25transform_config_selectorItLb0EEEZNS1_14transform_implILb0ES3_S5_NS0_18transform_iteratorINS0_17counting_iteratorImlEEZNS1_24adjacent_difference_implIS3_Lb1ELb0EPtSB_N6thrust23THRUST_200600_302600_NS5minusItEEEE10hipError_tPvRmT2_T3_mT4_P12ihipStream_tbEUlmE_tEESB_NS0_8identityIvEEEESG_SJ_SK_mSL_SN_bEUlT_E_NS1_11comp_targetILNS1_3genE9ELNS1_11target_archE1100ELNS1_3gpuE3ELNS1_3repE0EEENS1_30default_config_static_selectorELNS0_4arch9wavefront6targetE1EEEvT1_
    .private_segment_fixed_size: 0
    .sgpr_count:     6
    .sgpr_spill_count: 0
    .symbol:         _ZN7rocprim17ROCPRIM_400000_NS6detail17trampoline_kernelINS0_14default_configENS1_25transform_config_selectorItLb0EEEZNS1_14transform_implILb0ES3_S5_NS0_18transform_iteratorINS0_17counting_iteratorImlEEZNS1_24adjacent_difference_implIS3_Lb1ELb0EPtSB_N6thrust23THRUST_200600_302600_NS5minusItEEEE10hipError_tPvRmT2_T3_mT4_P12ihipStream_tbEUlmE_tEESB_NS0_8identityIvEEEESG_SJ_SK_mSL_SN_bEUlT_E_NS1_11comp_targetILNS1_3genE9ELNS1_11target_archE1100ELNS1_3gpuE3ELNS1_3repE0EEENS1_30default_config_static_selectorELNS0_4arch9wavefront6targetE1EEEvT1_.kd
    .uniform_work_group_size: 1
    .uses_dynamic_stack: false
    .vgpr_count:     0
    .vgpr_spill_count: 0
    .wavefront_size: 64
  - .agpr_count:     0
    .args:
      - .offset:         0
        .size:           56
        .value_kind:     by_value
    .group_segment_fixed_size: 0
    .kernarg_segment_align: 8
    .kernarg_segment_size: 56
    .language:       OpenCL C
    .language_version:
      - 2
      - 0
    .max_flat_workgroup_size: 1024
    .name:           _ZN7rocprim17ROCPRIM_400000_NS6detail17trampoline_kernelINS0_14default_configENS1_25transform_config_selectorItLb0EEEZNS1_14transform_implILb0ES3_S5_NS0_18transform_iteratorINS0_17counting_iteratorImlEEZNS1_24adjacent_difference_implIS3_Lb1ELb0EPtSB_N6thrust23THRUST_200600_302600_NS5minusItEEEE10hipError_tPvRmT2_T3_mT4_P12ihipStream_tbEUlmE_tEESB_NS0_8identityIvEEEESG_SJ_SK_mSL_SN_bEUlT_E_NS1_11comp_targetILNS1_3genE8ELNS1_11target_archE1030ELNS1_3gpuE2ELNS1_3repE0EEENS1_30default_config_static_selectorELNS0_4arch9wavefront6targetE1EEEvT1_
    .private_segment_fixed_size: 0
    .sgpr_count:     6
    .sgpr_spill_count: 0
    .symbol:         _ZN7rocprim17ROCPRIM_400000_NS6detail17trampoline_kernelINS0_14default_configENS1_25transform_config_selectorItLb0EEEZNS1_14transform_implILb0ES3_S5_NS0_18transform_iteratorINS0_17counting_iteratorImlEEZNS1_24adjacent_difference_implIS3_Lb1ELb0EPtSB_N6thrust23THRUST_200600_302600_NS5minusItEEEE10hipError_tPvRmT2_T3_mT4_P12ihipStream_tbEUlmE_tEESB_NS0_8identityIvEEEESG_SJ_SK_mSL_SN_bEUlT_E_NS1_11comp_targetILNS1_3genE8ELNS1_11target_archE1030ELNS1_3gpuE2ELNS1_3repE0EEENS1_30default_config_static_selectorELNS0_4arch9wavefront6targetE1EEEvT1_.kd
    .uniform_work_group_size: 1
    .uses_dynamic_stack: false
    .vgpr_count:     0
    .vgpr_spill_count: 0
    .wavefront_size: 64
  - .agpr_count:     0
    .args:
      - .offset:         0
        .size:           56
        .value_kind:     by_value
    .group_segment_fixed_size: 0
    .kernarg_segment_align: 8
    .kernarg_segment_size: 56
    .language:       OpenCL C
    .language_version:
      - 2
      - 0
    .max_flat_workgroup_size: 32
    .name:           _ZN7rocprim17ROCPRIM_400000_NS6detail17trampoline_kernelINS0_14default_configENS1_35adjacent_difference_config_selectorILb1EtEEZNS1_24adjacent_difference_implIS3_Lb1ELb0EPtS7_N6thrust23THRUST_200600_302600_NS5minusItEEEE10hipError_tPvRmT2_T3_mT4_P12ihipStream_tbEUlT_E_NS1_11comp_targetILNS1_3genE0ELNS1_11target_archE4294967295ELNS1_3gpuE0ELNS1_3repE0EEENS1_30default_config_static_selectorELNS0_4arch9wavefront6targetE1EEEvT1_
    .private_segment_fixed_size: 0
    .sgpr_count:     6
    .sgpr_spill_count: 0
    .symbol:         _ZN7rocprim17ROCPRIM_400000_NS6detail17trampoline_kernelINS0_14default_configENS1_35adjacent_difference_config_selectorILb1EtEEZNS1_24adjacent_difference_implIS3_Lb1ELb0EPtS7_N6thrust23THRUST_200600_302600_NS5minusItEEEE10hipError_tPvRmT2_T3_mT4_P12ihipStream_tbEUlT_E_NS1_11comp_targetILNS1_3genE0ELNS1_11target_archE4294967295ELNS1_3gpuE0ELNS1_3repE0EEENS1_30default_config_static_selectorELNS0_4arch9wavefront6targetE1EEEvT1_.kd
    .uniform_work_group_size: 1
    .uses_dynamic_stack: false
    .vgpr_count:     0
    .vgpr_spill_count: 0
    .wavefront_size: 64
  - .agpr_count:     0
    .args:
      - .offset:         0
        .size:           56
        .value_kind:     by_value
    .group_segment_fixed_size: 0
    .kernarg_segment_align: 8
    .kernarg_segment_size: 56
    .language:       OpenCL C
    .language_version:
      - 2
      - 0
    .max_flat_workgroup_size: 512
    .name:           _ZN7rocprim17ROCPRIM_400000_NS6detail17trampoline_kernelINS0_14default_configENS1_35adjacent_difference_config_selectorILb1EtEEZNS1_24adjacent_difference_implIS3_Lb1ELb0EPtS7_N6thrust23THRUST_200600_302600_NS5minusItEEEE10hipError_tPvRmT2_T3_mT4_P12ihipStream_tbEUlT_E_NS1_11comp_targetILNS1_3genE10ELNS1_11target_archE1201ELNS1_3gpuE5ELNS1_3repE0EEENS1_30default_config_static_selectorELNS0_4arch9wavefront6targetE1EEEvT1_
    .private_segment_fixed_size: 0
    .sgpr_count:     6
    .sgpr_spill_count: 0
    .symbol:         _ZN7rocprim17ROCPRIM_400000_NS6detail17trampoline_kernelINS0_14default_configENS1_35adjacent_difference_config_selectorILb1EtEEZNS1_24adjacent_difference_implIS3_Lb1ELb0EPtS7_N6thrust23THRUST_200600_302600_NS5minusItEEEE10hipError_tPvRmT2_T3_mT4_P12ihipStream_tbEUlT_E_NS1_11comp_targetILNS1_3genE10ELNS1_11target_archE1201ELNS1_3gpuE5ELNS1_3repE0EEENS1_30default_config_static_selectorELNS0_4arch9wavefront6targetE1EEEvT1_.kd
    .uniform_work_group_size: 1
    .uses_dynamic_stack: false
    .vgpr_count:     0
    .vgpr_spill_count: 0
    .wavefront_size: 64
  - .agpr_count:     0
    .args:
      - .offset:         0
        .size:           56
        .value_kind:     by_value
    .group_segment_fixed_size: 3968
    .kernarg_segment_align: 8
    .kernarg_segment_size: 56
    .language:       OpenCL C
    .language_version:
      - 2
      - 0
    .max_flat_workgroup_size: 64
    .name:           _ZN7rocprim17ROCPRIM_400000_NS6detail17trampoline_kernelINS0_14default_configENS1_35adjacent_difference_config_selectorILb1EtEEZNS1_24adjacent_difference_implIS3_Lb1ELb0EPtS7_N6thrust23THRUST_200600_302600_NS5minusItEEEE10hipError_tPvRmT2_T3_mT4_P12ihipStream_tbEUlT_E_NS1_11comp_targetILNS1_3genE5ELNS1_11target_archE942ELNS1_3gpuE9ELNS1_3repE0EEENS1_30default_config_static_selectorELNS0_4arch9wavefront6targetE1EEEvT1_
    .private_segment_fixed_size: 0
    .sgpr_count:     35
    .sgpr_spill_count: 0
    .symbol:         _ZN7rocprim17ROCPRIM_400000_NS6detail17trampoline_kernelINS0_14default_configENS1_35adjacent_difference_config_selectorILb1EtEEZNS1_24adjacent_difference_implIS3_Lb1ELb0EPtS7_N6thrust23THRUST_200600_302600_NS5minusItEEEE10hipError_tPvRmT2_T3_mT4_P12ihipStream_tbEUlT_E_NS1_11comp_targetILNS1_3genE5ELNS1_11target_archE942ELNS1_3gpuE9ELNS1_3repE0EEENS1_30default_config_static_selectorELNS0_4arch9wavefront6targetE1EEEvT1_.kd
    .uniform_work_group_size: 1
    .uses_dynamic_stack: false
    .vgpr_count:     56
    .vgpr_spill_count: 0
    .wavefront_size: 64
  - .agpr_count:     0
    .args:
      - .offset:         0
        .size:           56
        .value_kind:     by_value
    .group_segment_fixed_size: 0
    .kernarg_segment_align: 8
    .kernarg_segment_size: 56
    .language:       OpenCL C
    .language_version:
      - 2
      - 0
    .max_flat_workgroup_size: 64
    .name:           _ZN7rocprim17ROCPRIM_400000_NS6detail17trampoline_kernelINS0_14default_configENS1_35adjacent_difference_config_selectorILb1EtEEZNS1_24adjacent_difference_implIS3_Lb1ELb0EPtS7_N6thrust23THRUST_200600_302600_NS5minusItEEEE10hipError_tPvRmT2_T3_mT4_P12ihipStream_tbEUlT_E_NS1_11comp_targetILNS1_3genE4ELNS1_11target_archE910ELNS1_3gpuE8ELNS1_3repE0EEENS1_30default_config_static_selectorELNS0_4arch9wavefront6targetE1EEEvT1_
    .private_segment_fixed_size: 0
    .sgpr_count:     6
    .sgpr_spill_count: 0
    .symbol:         _ZN7rocprim17ROCPRIM_400000_NS6detail17trampoline_kernelINS0_14default_configENS1_35adjacent_difference_config_selectorILb1EtEEZNS1_24adjacent_difference_implIS3_Lb1ELb0EPtS7_N6thrust23THRUST_200600_302600_NS5minusItEEEE10hipError_tPvRmT2_T3_mT4_P12ihipStream_tbEUlT_E_NS1_11comp_targetILNS1_3genE4ELNS1_11target_archE910ELNS1_3gpuE8ELNS1_3repE0EEENS1_30default_config_static_selectorELNS0_4arch9wavefront6targetE1EEEvT1_.kd
    .uniform_work_group_size: 1
    .uses_dynamic_stack: false
    .vgpr_count:     0
    .vgpr_spill_count: 0
    .wavefront_size: 64
  - .agpr_count:     0
    .args:
      - .offset:         0
        .size:           56
        .value_kind:     by_value
    .group_segment_fixed_size: 0
    .kernarg_segment_align: 8
    .kernarg_segment_size: 56
    .language:       OpenCL C
    .language_version:
      - 2
      - 0
    .max_flat_workgroup_size: 32
    .name:           _ZN7rocprim17ROCPRIM_400000_NS6detail17trampoline_kernelINS0_14default_configENS1_35adjacent_difference_config_selectorILb1EtEEZNS1_24adjacent_difference_implIS3_Lb1ELb0EPtS7_N6thrust23THRUST_200600_302600_NS5minusItEEEE10hipError_tPvRmT2_T3_mT4_P12ihipStream_tbEUlT_E_NS1_11comp_targetILNS1_3genE3ELNS1_11target_archE908ELNS1_3gpuE7ELNS1_3repE0EEENS1_30default_config_static_selectorELNS0_4arch9wavefront6targetE1EEEvT1_
    .private_segment_fixed_size: 0
    .sgpr_count:     6
    .sgpr_spill_count: 0
    .symbol:         _ZN7rocprim17ROCPRIM_400000_NS6detail17trampoline_kernelINS0_14default_configENS1_35adjacent_difference_config_selectorILb1EtEEZNS1_24adjacent_difference_implIS3_Lb1ELb0EPtS7_N6thrust23THRUST_200600_302600_NS5minusItEEEE10hipError_tPvRmT2_T3_mT4_P12ihipStream_tbEUlT_E_NS1_11comp_targetILNS1_3genE3ELNS1_11target_archE908ELNS1_3gpuE7ELNS1_3repE0EEENS1_30default_config_static_selectorELNS0_4arch9wavefront6targetE1EEEvT1_.kd
    .uniform_work_group_size: 1
    .uses_dynamic_stack: false
    .vgpr_count:     0
    .vgpr_spill_count: 0
    .wavefront_size: 64
  - .agpr_count:     0
    .args:
      - .offset:         0
        .size:           56
        .value_kind:     by_value
    .group_segment_fixed_size: 0
    .kernarg_segment_align: 8
    .kernarg_segment_size: 56
    .language:       OpenCL C
    .language_version:
      - 2
      - 0
    .max_flat_workgroup_size: 64
    .name:           _ZN7rocprim17ROCPRIM_400000_NS6detail17trampoline_kernelINS0_14default_configENS1_35adjacent_difference_config_selectorILb1EtEEZNS1_24adjacent_difference_implIS3_Lb1ELb0EPtS7_N6thrust23THRUST_200600_302600_NS5minusItEEEE10hipError_tPvRmT2_T3_mT4_P12ihipStream_tbEUlT_E_NS1_11comp_targetILNS1_3genE2ELNS1_11target_archE906ELNS1_3gpuE6ELNS1_3repE0EEENS1_30default_config_static_selectorELNS0_4arch9wavefront6targetE1EEEvT1_
    .private_segment_fixed_size: 0
    .sgpr_count:     6
    .sgpr_spill_count: 0
    .symbol:         _ZN7rocprim17ROCPRIM_400000_NS6detail17trampoline_kernelINS0_14default_configENS1_35adjacent_difference_config_selectorILb1EtEEZNS1_24adjacent_difference_implIS3_Lb1ELb0EPtS7_N6thrust23THRUST_200600_302600_NS5minusItEEEE10hipError_tPvRmT2_T3_mT4_P12ihipStream_tbEUlT_E_NS1_11comp_targetILNS1_3genE2ELNS1_11target_archE906ELNS1_3gpuE6ELNS1_3repE0EEENS1_30default_config_static_selectorELNS0_4arch9wavefront6targetE1EEEvT1_.kd
    .uniform_work_group_size: 1
    .uses_dynamic_stack: false
    .vgpr_count:     0
    .vgpr_spill_count: 0
    .wavefront_size: 64
  - .agpr_count:     0
    .args:
      - .offset:         0
        .size:           56
        .value_kind:     by_value
    .group_segment_fixed_size: 0
    .kernarg_segment_align: 8
    .kernarg_segment_size: 56
    .language:       OpenCL C
    .language_version:
      - 2
      - 0
    .max_flat_workgroup_size: 128
    .name:           _ZN7rocprim17ROCPRIM_400000_NS6detail17trampoline_kernelINS0_14default_configENS1_35adjacent_difference_config_selectorILb1EtEEZNS1_24adjacent_difference_implIS3_Lb1ELb0EPtS7_N6thrust23THRUST_200600_302600_NS5minusItEEEE10hipError_tPvRmT2_T3_mT4_P12ihipStream_tbEUlT_E_NS1_11comp_targetILNS1_3genE9ELNS1_11target_archE1100ELNS1_3gpuE3ELNS1_3repE0EEENS1_30default_config_static_selectorELNS0_4arch9wavefront6targetE1EEEvT1_
    .private_segment_fixed_size: 0
    .sgpr_count:     6
    .sgpr_spill_count: 0
    .symbol:         _ZN7rocprim17ROCPRIM_400000_NS6detail17trampoline_kernelINS0_14default_configENS1_35adjacent_difference_config_selectorILb1EtEEZNS1_24adjacent_difference_implIS3_Lb1ELb0EPtS7_N6thrust23THRUST_200600_302600_NS5minusItEEEE10hipError_tPvRmT2_T3_mT4_P12ihipStream_tbEUlT_E_NS1_11comp_targetILNS1_3genE9ELNS1_11target_archE1100ELNS1_3gpuE3ELNS1_3repE0EEENS1_30default_config_static_selectorELNS0_4arch9wavefront6targetE1EEEvT1_.kd
    .uniform_work_group_size: 1
    .uses_dynamic_stack: false
    .vgpr_count:     0
    .vgpr_spill_count: 0
    .wavefront_size: 64
  - .agpr_count:     0
    .args:
      - .offset:         0
        .size:           56
        .value_kind:     by_value
    .group_segment_fixed_size: 0
    .kernarg_segment_align: 8
    .kernarg_segment_size: 56
    .language:       OpenCL C
    .language_version:
      - 2
      - 0
    .max_flat_workgroup_size: 512
    .name:           _ZN7rocprim17ROCPRIM_400000_NS6detail17trampoline_kernelINS0_14default_configENS1_35adjacent_difference_config_selectorILb1EtEEZNS1_24adjacent_difference_implIS3_Lb1ELb0EPtS7_N6thrust23THRUST_200600_302600_NS5minusItEEEE10hipError_tPvRmT2_T3_mT4_P12ihipStream_tbEUlT_E_NS1_11comp_targetILNS1_3genE8ELNS1_11target_archE1030ELNS1_3gpuE2ELNS1_3repE0EEENS1_30default_config_static_selectorELNS0_4arch9wavefront6targetE1EEEvT1_
    .private_segment_fixed_size: 0
    .sgpr_count:     6
    .sgpr_spill_count: 0
    .symbol:         _ZN7rocprim17ROCPRIM_400000_NS6detail17trampoline_kernelINS0_14default_configENS1_35adjacent_difference_config_selectorILb1EtEEZNS1_24adjacent_difference_implIS3_Lb1ELb0EPtS7_N6thrust23THRUST_200600_302600_NS5minusItEEEE10hipError_tPvRmT2_T3_mT4_P12ihipStream_tbEUlT_E_NS1_11comp_targetILNS1_3genE8ELNS1_11target_archE1030ELNS1_3gpuE2ELNS1_3repE0EEENS1_30default_config_static_selectorELNS0_4arch9wavefront6targetE1EEEvT1_.kd
    .uniform_work_group_size: 1
    .uses_dynamic_stack: false
    .vgpr_count:     0
    .vgpr_spill_count: 0
    .wavefront_size: 64
  - .agpr_count:     0
    .args:
      - .offset:         0
        .size:           56
        .value_kind:     by_value
    .group_segment_fixed_size: 0
    .kernarg_segment_align: 8
    .kernarg_segment_size: 56
    .language:       OpenCL C
    .language_version:
      - 2
      - 0
    .max_flat_workgroup_size: 64
    .name:           _ZN7rocprim17ROCPRIM_400000_NS6detail17trampoline_kernelINS0_14default_configENS1_35adjacent_difference_config_selectorILb0EtEEZNS1_24adjacent_difference_implIS3_Lb0ELb0EPtS7_N6thrust23THRUST_200600_302600_NS4plusItEEEE10hipError_tPvRmT2_T3_mT4_P12ihipStream_tbEUlT_E_NS1_11comp_targetILNS1_3genE0ELNS1_11target_archE4294967295ELNS1_3gpuE0ELNS1_3repE0EEENS1_30default_config_static_selectorELNS0_4arch9wavefront6targetE1EEEvT1_
    .private_segment_fixed_size: 0
    .sgpr_count:     6
    .sgpr_spill_count: 0
    .symbol:         _ZN7rocprim17ROCPRIM_400000_NS6detail17trampoline_kernelINS0_14default_configENS1_35adjacent_difference_config_selectorILb0EtEEZNS1_24adjacent_difference_implIS3_Lb0ELb0EPtS7_N6thrust23THRUST_200600_302600_NS4plusItEEEE10hipError_tPvRmT2_T3_mT4_P12ihipStream_tbEUlT_E_NS1_11comp_targetILNS1_3genE0ELNS1_11target_archE4294967295ELNS1_3gpuE0ELNS1_3repE0EEENS1_30default_config_static_selectorELNS0_4arch9wavefront6targetE1EEEvT1_.kd
    .uniform_work_group_size: 1
    .uses_dynamic_stack: false
    .vgpr_count:     0
    .vgpr_spill_count: 0
    .wavefront_size: 64
  - .agpr_count:     0
    .args:
      - .offset:         0
        .size:           56
        .value_kind:     by_value
    .group_segment_fixed_size: 0
    .kernarg_segment_align: 8
    .kernarg_segment_size: 56
    .language:       OpenCL C
    .language_version:
      - 2
      - 0
    .max_flat_workgroup_size: 128
    .name:           _ZN7rocprim17ROCPRIM_400000_NS6detail17trampoline_kernelINS0_14default_configENS1_35adjacent_difference_config_selectorILb0EtEEZNS1_24adjacent_difference_implIS3_Lb0ELb0EPtS7_N6thrust23THRUST_200600_302600_NS4plusItEEEE10hipError_tPvRmT2_T3_mT4_P12ihipStream_tbEUlT_E_NS1_11comp_targetILNS1_3genE10ELNS1_11target_archE1201ELNS1_3gpuE5ELNS1_3repE0EEENS1_30default_config_static_selectorELNS0_4arch9wavefront6targetE1EEEvT1_
    .private_segment_fixed_size: 0
    .sgpr_count:     6
    .sgpr_spill_count: 0
    .symbol:         _ZN7rocprim17ROCPRIM_400000_NS6detail17trampoline_kernelINS0_14default_configENS1_35adjacent_difference_config_selectorILb0EtEEZNS1_24adjacent_difference_implIS3_Lb0ELb0EPtS7_N6thrust23THRUST_200600_302600_NS4plusItEEEE10hipError_tPvRmT2_T3_mT4_P12ihipStream_tbEUlT_E_NS1_11comp_targetILNS1_3genE10ELNS1_11target_archE1201ELNS1_3gpuE5ELNS1_3repE0EEENS1_30default_config_static_selectorELNS0_4arch9wavefront6targetE1EEEvT1_.kd
    .uniform_work_group_size: 1
    .uses_dynamic_stack: false
    .vgpr_count:     0
    .vgpr_spill_count: 0
    .wavefront_size: 64
  - .agpr_count:     0
    .args:
      - .offset:         0
        .size:           56
        .value_kind:     by_value
    .group_segment_fixed_size: 8704
    .kernarg_segment_align: 8
    .kernarg_segment_size: 56
    .language:       OpenCL C
    .language_version:
      - 2
      - 0
    .max_flat_workgroup_size: 256
    .name:           _ZN7rocprim17ROCPRIM_400000_NS6detail17trampoline_kernelINS0_14default_configENS1_35adjacent_difference_config_selectorILb0EtEEZNS1_24adjacent_difference_implIS3_Lb0ELb0EPtS7_N6thrust23THRUST_200600_302600_NS4plusItEEEE10hipError_tPvRmT2_T3_mT4_P12ihipStream_tbEUlT_E_NS1_11comp_targetILNS1_3genE5ELNS1_11target_archE942ELNS1_3gpuE9ELNS1_3repE0EEENS1_30default_config_static_selectorELNS0_4arch9wavefront6targetE1EEEvT1_
    .private_segment_fixed_size: 0
    .sgpr_count:     29
    .sgpr_spill_count: 0
    .symbol:         _ZN7rocprim17ROCPRIM_400000_NS6detail17trampoline_kernelINS0_14default_configENS1_35adjacent_difference_config_selectorILb0EtEEZNS1_24adjacent_difference_implIS3_Lb0ELb0EPtS7_N6thrust23THRUST_200600_302600_NS4plusItEEEE10hipError_tPvRmT2_T3_mT4_P12ihipStream_tbEUlT_E_NS1_11comp_targetILNS1_3genE5ELNS1_11target_archE942ELNS1_3gpuE9ELNS1_3repE0EEENS1_30default_config_static_selectorELNS0_4arch9wavefront6targetE1EEEvT1_.kd
    .uniform_work_group_size: 1
    .uses_dynamic_stack: false
    .vgpr_count:     32
    .vgpr_spill_count: 0
    .wavefront_size: 64
  - .agpr_count:     0
    .args:
      - .offset:         0
        .size:           56
        .value_kind:     by_value
    .group_segment_fixed_size: 0
    .kernarg_segment_align: 8
    .kernarg_segment_size: 56
    .language:       OpenCL C
    .language_version:
      - 2
      - 0
    .max_flat_workgroup_size: 64
    .name:           _ZN7rocprim17ROCPRIM_400000_NS6detail17trampoline_kernelINS0_14default_configENS1_35adjacent_difference_config_selectorILb0EtEEZNS1_24adjacent_difference_implIS3_Lb0ELb0EPtS7_N6thrust23THRUST_200600_302600_NS4plusItEEEE10hipError_tPvRmT2_T3_mT4_P12ihipStream_tbEUlT_E_NS1_11comp_targetILNS1_3genE4ELNS1_11target_archE910ELNS1_3gpuE8ELNS1_3repE0EEENS1_30default_config_static_selectorELNS0_4arch9wavefront6targetE1EEEvT1_
    .private_segment_fixed_size: 0
    .sgpr_count:     6
    .sgpr_spill_count: 0
    .symbol:         _ZN7rocprim17ROCPRIM_400000_NS6detail17trampoline_kernelINS0_14default_configENS1_35adjacent_difference_config_selectorILb0EtEEZNS1_24adjacent_difference_implIS3_Lb0ELb0EPtS7_N6thrust23THRUST_200600_302600_NS4plusItEEEE10hipError_tPvRmT2_T3_mT4_P12ihipStream_tbEUlT_E_NS1_11comp_targetILNS1_3genE4ELNS1_11target_archE910ELNS1_3gpuE8ELNS1_3repE0EEENS1_30default_config_static_selectorELNS0_4arch9wavefront6targetE1EEEvT1_.kd
    .uniform_work_group_size: 1
    .uses_dynamic_stack: false
    .vgpr_count:     0
    .vgpr_spill_count: 0
    .wavefront_size: 64
  - .agpr_count:     0
    .args:
      - .offset:         0
        .size:           56
        .value_kind:     by_value
    .group_segment_fixed_size: 0
    .kernarg_segment_align: 8
    .kernarg_segment_size: 56
    .language:       OpenCL C
    .language_version:
      - 2
      - 0
    .max_flat_workgroup_size: 64
    .name:           _ZN7rocprim17ROCPRIM_400000_NS6detail17trampoline_kernelINS0_14default_configENS1_35adjacent_difference_config_selectorILb0EtEEZNS1_24adjacent_difference_implIS3_Lb0ELb0EPtS7_N6thrust23THRUST_200600_302600_NS4plusItEEEE10hipError_tPvRmT2_T3_mT4_P12ihipStream_tbEUlT_E_NS1_11comp_targetILNS1_3genE3ELNS1_11target_archE908ELNS1_3gpuE7ELNS1_3repE0EEENS1_30default_config_static_selectorELNS0_4arch9wavefront6targetE1EEEvT1_
    .private_segment_fixed_size: 0
    .sgpr_count:     6
    .sgpr_spill_count: 0
    .symbol:         _ZN7rocprim17ROCPRIM_400000_NS6detail17trampoline_kernelINS0_14default_configENS1_35adjacent_difference_config_selectorILb0EtEEZNS1_24adjacent_difference_implIS3_Lb0ELb0EPtS7_N6thrust23THRUST_200600_302600_NS4plusItEEEE10hipError_tPvRmT2_T3_mT4_P12ihipStream_tbEUlT_E_NS1_11comp_targetILNS1_3genE3ELNS1_11target_archE908ELNS1_3gpuE7ELNS1_3repE0EEENS1_30default_config_static_selectorELNS0_4arch9wavefront6targetE1EEEvT1_.kd
    .uniform_work_group_size: 1
    .uses_dynamic_stack: false
    .vgpr_count:     0
    .vgpr_spill_count: 0
    .wavefront_size: 64
  - .agpr_count:     0
    .args:
      - .offset:         0
        .size:           56
        .value_kind:     by_value
    .group_segment_fixed_size: 0
    .kernarg_segment_align: 8
    .kernarg_segment_size: 56
    .language:       OpenCL C
    .language_version:
      - 2
      - 0
    .max_flat_workgroup_size: 64
    .name:           _ZN7rocprim17ROCPRIM_400000_NS6detail17trampoline_kernelINS0_14default_configENS1_35adjacent_difference_config_selectorILb0EtEEZNS1_24adjacent_difference_implIS3_Lb0ELb0EPtS7_N6thrust23THRUST_200600_302600_NS4plusItEEEE10hipError_tPvRmT2_T3_mT4_P12ihipStream_tbEUlT_E_NS1_11comp_targetILNS1_3genE2ELNS1_11target_archE906ELNS1_3gpuE6ELNS1_3repE0EEENS1_30default_config_static_selectorELNS0_4arch9wavefront6targetE1EEEvT1_
    .private_segment_fixed_size: 0
    .sgpr_count:     6
    .sgpr_spill_count: 0
    .symbol:         _ZN7rocprim17ROCPRIM_400000_NS6detail17trampoline_kernelINS0_14default_configENS1_35adjacent_difference_config_selectorILb0EtEEZNS1_24adjacent_difference_implIS3_Lb0ELb0EPtS7_N6thrust23THRUST_200600_302600_NS4plusItEEEE10hipError_tPvRmT2_T3_mT4_P12ihipStream_tbEUlT_E_NS1_11comp_targetILNS1_3genE2ELNS1_11target_archE906ELNS1_3gpuE6ELNS1_3repE0EEENS1_30default_config_static_selectorELNS0_4arch9wavefront6targetE1EEEvT1_.kd
    .uniform_work_group_size: 1
    .uses_dynamic_stack: false
    .vgpr_count:     0
    .vgpr_spill_count: 0
    .wavefront_size: 64
  - .agpr_count:     0
    .args:
      - .offset:         0
        .size:           56
        .value_kind:     by_value
    .group_segment_fixed_size: 0
    .kernarg_segment_align: 8
    .kernarg_segment_size: 56
    .language:       OpenCL C
    .language_version:
      - 2
      - 0
    .max_flat_workgroup_size: 64
    .name:           _ZN7rocprim17ROCPRIM_400000_NS6detail17trampoline_kernelINS0_14default_configENS1_35adjacent_difference_config_selectorILb0EtEEZNS1_24adjacent_difference_implIS3_Lb0ELb0EPtS7_N6thrust23THRUST_200600_302600_NS4plusItEEEE10hipError_tPvRmT2_T3_mT4_P12ihipStream_tbEUlT_E_NS1_11comp_targetILNS1_3genE9ELNS1_11target_archE1100ELNS1_3gpuE3ELNS1_3repE0EEENS1_30default_config_static_selectorELNS0_4arch9wavefront6targetE1EEEvT1_
    .private_segment_fixed_size: 0
    .sgpr_count:     6
    .sgpr_spill_count: 0
    .symbol:         _ZN7rocprim17ROCPRIM_400000_NS6detail17trampoline_kernelINS0_14default_configENS1_35adjacent_difference_config_selectorILb0EtEEZNS1_24adjacent_difference_implIS3_Lb0ELb0EPtS7_N6thrust23THRUST_200600_302600_NS4plusItEEEE10hipError_tPvRmT2_T3_mT4_P12ihipStream_tbEUlT_E_NS1_11comp_targetILNS1_3genE9ELNS1_11target_archE1100ELNS1_3gpuE3ELNS1_3repE0EEENS1_30default_config_static_selectorELNS0_4arch9wavefront6targetE1EEEvT1_.kd
    .uniform_work_group_size: 1
    .uses_dynamic_stack: false
    .vgpr_count:     0
    .vgpr_spill_count: 0
    .wavefront_size: 64
  - .agpr_count:     0
    .args:
      - .offset:         0
        .size:           56
        .value_kind:     by_value
    .group_segment_fixed_size: 0
    .kernarg_segment_align: 8
    .kernarg_segment_size: 56
    .language:       OpenCL C
    .language_version:
      - 2
      - 0
    .max_flat_workgroup_size: 1024
    .name:           _ZN7rocprim17ROCPRIM_400000_NS6detail17trampoline_kernelINS0_14default_configENS1_35adjacent_difference_config_selectorILb0EtEEZNS1_24adjacent_difference_implIS3_Lb0ELb0EPtS7_N6thrust23THRUST_200600_302600_NS4plusItEEEE10hipError_tPvRmT2_T3_mT4_P12ihipStream_tbEUlT_E_NS1_11comp_targetILNS1_3genE8ELNS1_11target_archE1030ELNS1_3gpuE2ELNS1_3repE0EEENS1_30default_config_static_selectorELNS0_4arch9wavefront6targetE1EEEvT1_
    .private_segment_fixed_size: 0
    .sgpr_count:     6
    .sgpr_spill_count: 0
    .symbol:         _ZN7rocprim17ROCPRIM_400000_NS6detail17trampoline_kernelINS0_14default_configENS1_35adjacent_difference_config_selectorILb0EtEEZNS1_24adjacent_difference_implIS3_Lb0ELb0EPtS7_N6thrust23THRUST_200600_302600_NS4plusItEEEE10hipError_tPvRmT2_T3_mT4_P12ihipStream_tbEUlT_E_NS1_11comp_targetILNS1_3genE8ELNS1_11target_archE1030ELNS1_3gpuE2ELNS1_3repE0EEENS1_30default_config_static_selectorELNS0_4arch9wavefront6targetE1EEEvT1_.kd
    .uniform_work_group_size: 1
    .uses_dynamic_stack: false
    .vgpr_count:     0
    .vgpr_spill_count: 0
    .wavefront_size: 64
  - .agpr_count:     0
    .args:
      - .offset:         0
        .size:           56
        .value_kind:     by_value
    .group_segment_fixed_size: 0
    .kernarg_segment_align: 8
    .kernarg_segment_size: 56
    .language:       OpenCL C
    .language_version:
      - 2
      - 0
    .max_flat_workgroup_size: 128
    .name:           _ZN7rocprim17ROCPRIM_400000_NS6detail17trampoline_kernelINS0_14default_configENS1_25transform_config_selectorItLb0EEEZNS1_14transform_implILb0ES3_S5_NS0_18transform_iteratorINS0_17counting_iteratorImlEEZNS1_24adjacent_difference_implIS3_Lb1ELb0EPtSB_N6thrust23THRUST_200600_302600_NS4plusItEEEE10hipError_tPvRmT2_T3_mT4_P12ihipStream_tbEUlmE_tEESB_NS0_8identityIvEEEESG_SJ_SK_mSL_SN_bEUlT_E_NS1_11comp_targetILNS1_3genE0ELNS1_11target_archE4294967295ELNS1_3gpuE0ELNS1_3repE0EEENS1_30default_config_static_selectorELNS0_4arch9wavefront6targetE1EEEvT1_
    .private_segment_fixed_size: 0
    .sgpr_count:     6
    .sgpr_spill_count: 0
    .symbol:         _ZN7rocprim17ROCPRIM_400000_NS6detail17trampoline_kernelINS0_14default_configENS1_25transform_config_selectorItLb0EEEZNS1_14transform_implILb0ES3_S5_NS0_18transform_iteratorINS0_17counting_iteratorImlEEZNS1_24adjacent_difference_implIS3_Lb1ELb0EPtSB_N6thrust23THRUST_200600_302600_NS4plusItEEEE10hipError_tPvRmT2_T3_mT4_P12ihipStream_tbEUlmE_tEESB_NS0_8identityIvEEEESG_SJ_SK_mSL_SN_bEUlT_E_NS1_11comp_targetILNS1_3genE0ELNS1_11target_archE4294967295ELNS1_3gpuE0ELNS1_3repE0EEENS1_30default_config_static_selectorELNS0_4arch9wavefront6targetE1EEEvT1_.kd
    .uniform_work_group_size: 1
    .uses_dynamic_stack: false
    .vgpr_count:     0
    .vgpr_spill_count: 0
    .wavefront_size: 64
  - .agpr_count:     0
    .args:
      - .offset:         0
        .size:           56
        .value_kind:     by_value
      - .offset:         56
        .size:           4
        .value_kind:     hidden_block_count_x
      - .offset:         60
        .size:           4
        .value_kind:     hidden_block_count_y
      - .offset:         64
        .size:           4
        .value_kind:     hidden_block_count_z
      - .offset:         68
        .size:           2
        .value_kind:     hidden_group_size_x
      - .offset:         70
        .size:           2
        .value_kind:     hidden_group_size_y
      - .offset:         72
        .size:           2
        .value_kind:     hidden_group_size_z
      - .offset:         74
        .size:           2
        .value_kind:     hidden_remainder_x
      - .offset:         76
        .size:           2
        .value_kind:     hidden_remainder_y
      - .offset:         78
        .size:           2
        .value_kind:     hidden_remainder_z
      - .offset:         96
        .size:           8
        .value_kind:     hidden_global_offset_x
      - .offset:         104
        .size:           8
        .value_kind:     hidden_global_offset_y
      - .offset:         112
        .size:           8
        .value_kind:     hidden_global_offset_z
      - .offset:         120
        .size:           2
        .value_kind:     hidden_grid_dims
    .group_segment_fixed_size: 0
    .kernarg_segment_align: 8
    .kernarg_segment_size: 312
    .language:       OpenCL C
    .language_version:
      - 2
      - 0
    .max_flat_workgroup_size: 256
    .name:           _ZN7rocprim17ROCPRIM_400000_NS6detail17trampoline_kernelINS0_14default_configENS1_25transform_config_selectorItLb0EEEZNS1_14transform_implILb0ES3_S5_NS0_18transform_iteratorINS0_17counting_iteratorImlEEZNS1_24adjacent_difference_implIS3_Lb1ELb0EPtSB_N6thrust23THRUST_200600_302600_NS4plusItEEEE10hipError_tPvRmT2_T3_mT4_P12ihipStream_tbEUlmE_tEESB_NS0_8identityIvEEEESG_SJ_SK_mSL_SN_bEUlT_E_NS1_11comp_targetILNS1_3genE5ELNS1_11target_archE942ELNS1_3gpuE9ELNS1_3repE0EEENS1_30default_config_static_selectorELNS0_4arch9wavefront6targetE1EEEvT1_
    .private_segment_fixed_size: 0
    .sgpr_count:     34
    .sgpr_spill_count: 0
    .symbol:         _ZN7rocprim17ROCPRIM_400000_NS6detail17trampoline_kernelINS0_14default_configENS1_25transform_config_selectorItLb0EEEZNS1_14transform_implILb0ES3_S5_NS0_18transform_iteratorINS0_17counting_iteratorImlEEZNS1_24adjacent_difference_implIS3_Lb1ELb0EPtSB_N6thrust23THRUST_200600_302600_NS4plusItEEEE10hipError_tPvRmT2_T3_mT4_P12ihipStream_tbEUlmE_tEESB_NS0_8identityIvEEEESG_SJ_SK_mSL_SN_bEUlT_E_NS1_11comp_targetILNS1_3genE5ELNS1_11target_archE942ELNS1_3gpuE9ELNS1_3repE0EEENS1_30default_config_static_selectorELNS0_4arch9wavefront6targetE1EEEvT1_.kd
    .uniform_work_group_size: 1
    .uses_dynamic_stack: false
    .vgpr_count:     19
    .vgpr_spill_count: 0
    .wavefront_size: 64
  - .agpr_count:     0
    .args:
      - .offset:         0
        .size:           56
        .value_kind:     by_value
    .group_segment_fixed_size: 0
    .kernarg_segment_align: 8
    .kernarg_segment_size: 56
    .language:       OpenCL C
    .language_version:
      - 2
      - 0
    .max_flat_workgroup_size: 64
    .name:           _ZN7rocprim17ROCPRIM_400000_NS6detail17trampoline_kernelINS0_14default_configENS1_25transform_config_selectorItLb0EEEZNS1_14transform_implILb0ES3_S5_NS0_18transform_iteratorINS0_17counting_iteratorImlEEZNS1_24adjacent_difference_implIS3_Lb1ELb0EPtSB_N6thrust23THRUST_200600_302600_NS4plusItEEEE10hipError_tPvRmT2_T3_mT4_P12ihipStream_tbEUlmE_tEESB_NS0_8identityIvEEEESG_SJ_SK_mSL_SN_bEUlT_E_NS1_11comp_targetILNS1_3genE4ELNS1_11target_archE910ELNS1_3gpuE8ELNS1_3repE0EEENS1_30default_config_static_selectorELNS0_4arch9wavefront6targetE1EEEvT1_
    .private_segment_fixed_size: 0
    .sgpr_count:     6
    .sgpr_spill_count: 0
    .symbol:         _ZN7rocprim17ROCPRIM_400000_NS6detail17trampoline_kernelINS0_14default_configENS1_25transform_config_selectorItLb0EEEZNS1_14transform_implILb0ES3_S5_NS0_18transform_iteratorINS0_17counting_iteratorImlEEZNS1_24adjacent_difference_implIS3_Lb1ELb0EPtSB_N6thrust23THRUST_200600_302600_NS4plusItEEEE10hipError_tPvRmT2_T3_mT4_P12ihipStream_tbEUlmE_tEESB_NS0_8identityIvEEEESG_SJ_SK_mSL_SN_bEUlT_E_NS1_11comp_targetILNS1_3genE4ELNS1_11target_archE910ELNS1_3gpuE8ELNS1_3repE0EEENS1_30default_config_static_selectorELNS0_4arch9wavefront6targetE1EEEvT1_.kd
    .uniform_work_group_size: 1
    .uses_dynamic_stack: false
    .vgpr_count:     0
    .vgpr_spill_count: 0
    .wavefront_size: 64
  - .agpr_count:     0
    .args:
      - .offset:         0
        .size:           56
        .value_kind:     by_value
    .group_segment_fixed_size: 0
    .kernarg_segment_align: 8
    .kernarg_segment_size: 56
    .language:       OpenCL C
    .language_version:
      - 2
      - 0
    .max_flat_workgroup_size: 128
    .name:           _ZN7rocprim17ROCPRIM_400000_NS6detail17trampoline_kernelINS0_14default_configENS1_25transform_config_selectorItLb0EEEZNS1_14transform_implILb0ES3_S5_NS0_18transform_iteratorINS0_17counting_iteratorImlEEZNS1_24adjacent_difference_implIS3_Lb1ELb0EPtSB_N6thrust23THRUST_200600_302600_NS4plusItEEEE10hipError_tPvRmT2_T3_mT4_P12ihipStream_tbEUlmE_tEESB_NS0_8identityIvEEEESG_SJ_SK_mSL_SN_bEUlT_E_NS1_11comp_targetILNS1_3genE3ELNS1_11target_archE908ELNS1_3gpuE7ELNS1_3repE0EEENS1_30default_config_static_selectorELNS0_4arch9wavefront6targetE1EEEvT1_
    .private_segment_fixed_size: 0
    .sgpr_count:     6
    .sgpr_spill_count: 0
    .symbol:         _ZN7rocprim17ROCPRIM_400000_NS6detail17trampoline_kernelINS0_14default_configENS1_25transform_config_selectorItLb0EEEZNS1_14transform_implILb0ES3_S5_NS0_18transform_iteratorINS0_17counting_iteratorImlEEZNS1_24adjacent_difference_implIS3_Lb1ELb0EPtSB_N6thrust23THRUST_200600_302600_NS4plusItEEEE10hipError_tPvRmT2_T3_mT4_P12ihipStream_tbEUlmE_tEESB_NS0_8identityIvEEEESG_SJ_SK_mSL_SN_bEUlT_E_NS1_11comp_targetILNS1_3genE3ELNS1_11target_archE908ELNS1_3gpuE7ELNS1_3repE0EEENS1_30default_config_static_selectorELNS0_4arch9wavefront6targetE1EEEvT1_.kd
    .uniform_work_group_size: 1
    .uses_dynamic_stack: false
    .vgpr_count:     0
    .vgpr_spill_count: 0
    .wavefront_size: 64
  - .agpr_count:     0
    .args:
      - .offset:         0
        .size:           56
        .value_kind:     by_value
    .group_segment_fixed_size: 0
    .kernarg_segment_align: 8
    .kernarg_segment_size: 56
    .language:       OpenCL C
    .language_version:
      - 2
      - 0
    .max_flat_workgroup_size: 512
    .name:           _ZN7rocprim17ROCPRIM_400000_NS6detail17trampoline_kernelINS0_14default_configENS1_25transform_config_selectorItLb0EEEZNS1_14transform_implILb0ES3_S5_NS0_18transform_iteratorINS0_17counting_iteratorImlEEZNS1_24adjacent_difference_implIS3_Lb1ELb0EPtSB_N6thrust23THRUST_200600_302600_NS4plusItEEEE10hipError_tPvRmT2_T3_mT4_P12ihipStream_tbEUlmE_tEESB_NS0_8identityIvEEEESG_SJ_SK_mSL_SN_bEUlT_E_NS1_11comp_targetILNS1_3genE2ELNS1_11target_archE906ELNS1_3gpuE6ELNS1_3repE0EEENS1_30default_config_static_selectorELNS0_4arch9wavefront6targetE1EEEvT1_
    .private_segment_fixed_size: 0
    .sgpr_count:     6
    .sgpr_spill_count: 0
    .symbol:         _ZN7rocprim17ROCPRIM_400000_NS6detail17trampoline_kernelINS0_14default_configENS1_25transform_config_selectorItLb0EEEZNS1_14transform_implILb0ES3_S5_NS0_18transform_iteratorINS0_17counting_iteratorImlEEZNS1_24adjacent_difference_implIS3_Lb1ELb0EPtSB_N6thrust23THRUST_200600_302600_NS4plusItEEEE10hipError_tPvRmT2_T3_mT4_P12ihipStream_tbEUlmE_tEESB_NS0_8identityIvEEEESG_SJ_SK_mSL_SN_bEUlT_E_NS1_11comp_targetILNS1_3genE2ELNS1_11target_archE906ELNS1_3gpuE6ELNS1_3repE0EEENS1_30default_config_static_selectorELNS0_4arch9wavefront6targetE1EEEvT1_.kd
    .uniform_work_group_size: 1
    .uses_dynamic_stack: false
    .vgpr_count:     0
    .vgpr_spill_count: 0
    .wavefront_size: 64
  - .agpr_count:     0
    .args:
      - .offset:         0
        .size:           56
        .value_kind:     by_value
    .group_segment_fixed_size: 0
    .kernarg_segment_align: 8
    .kernarg_segment_size: 56
    .language:       OpenCL C
    .language_version:
      - 2
      - 0
    .max_flat_workgroup_size: 1024
    .name:           _ZN7rocprim17ROCPRIM_400000_NS6detail17trampoline_kernelINS0_14default_configENS1_25transform_config_selectorItLb0EEEZNS1_14transform_implILb0ES3_S5_NS0_18transform_iteratorINS0_17counting_iteratorImlEEZNS1_24adjacent_difference_implIS3_Lb1ELb0EPtSB_N6thrust23THRUST_200600_302600_NS4plusItEEEE10hipError_tPvRmT2_T3_mT4_P12ihipStream_tbEUlmE_tEESB_NS0_8identityIvEEEESG_SJ_SK_mSL_SN_bEUlT_E_NS1_11comp_targetILNS1_3genE10ELNS1_11target_archE1201ELNS1_3gpuE5ELNS1_3repE0EEENS1_30default_config_static_selectorELNS0_4arch9wavefront6targetE1EEEvT1_
    .private_segment_fixed_size: 0
    .sgpr_count:     6
    .sgpr_spill_count: 0
    .symbol:         _ZN7rocprim17ROCPRIM_400000_NS6detail17trampoline_kernelINS0_14default_configENS1_25transform_config_selectorItLb0EEEZNS1_14transform_implILb0ES3_S5_NS0_18transform_iteratorINS0_17counting_iteratorImlEEZNS1_24adjacent_difference_implIS3_Lb1ELb0EPtSB_N6thrust23THRUST_200600_302600_NS4plusItEEEE10hipError_tPvRmT2_T3_mT4_P12ihipStream_tbEUlmE_tEESB_NS0_8identityIvEEEESG_SJ_SK_mSL_SN_bEUlT_E_NS1_11comp_targetILNS1_3genE10ELNS1_11target_archE1201ELNS1_3gpuE5ELNS1_3repE0EEENS1_30default_config_static_selectorELNS0_4arch9wavefront6targetE1EEEvT1_.kd
    .uniform_work_group_size: 1
    .uses_dynamic_stack: false
    .vgpr_count:     0
    .vgpr_spill_count: 0
    .wavefront_size: 64
  - .agpr_count:     0
    .args:
      - .offset:         0
        .size:           56
        .value_kind:     by_value
    .group_segment_fixed_size: 0
    .kernarg_segment_align: 8
    .kernarg_segment_size: 56
    .language:       OpenCL C
    .language_version:
      - 2
      - 0
    .max_flat_workgroup_size: 512
    .name:           _ZN7rocprim17ROCPRIM_400000_NS6detail17trampoline_kernelINS0_14default_configENS1_25transform_config_selectorItLb0EEEZNS1_14transform_implILb0ES3_S5_NS0_18transform_iteratorINS0_17counting_iteratorImlEEZNS1_24adjacent_difference_implIS3_Lb1ELb0EPtSB_N6thrust23THRUST_200600_302600_NS4plusItEEEE10hipError_tPvRmT2_T3_mT4_P12ihipStream_tbEUlmE_tEESB_NS0_8identityIvEEEESG_SJ_SK_mSL_SN_bEUlT_E_NS1_11comp_targetILNS1_3genE10ELNS1_11target_archE1200ELNS1_3gpuE4ELNS1_3repE0EEENS1_30default_config_static_selectorELNS0_4arch9wavefront6targetE1EEEvT1_
    .private_segment_fixed_size: 0
    .sgpr_count:     6
    .sgpr_spill_count: 0
    .symbol:         _ZN7rocprim17ROCPRIM_400000_NS6detail17trampoline_kernelINS0_14default_configENS1_25transform_config_selectorItLb0EEEZNS1_14transform_implILb0ES3_S5_NS0_18transform_iteratorINS0_17counting_iteratorImlEEZNS1_24adjacent_difference_implIS3_Lb1ELb0EPtSB_N6thrust23THRUST_200600_302600_NS4plusItEEEE10hipError_tPvRmT2_T3_mT4_P12ihipStream_tbEUlmE_tEESB_NS0_8identityIvEEEESG_SJ_SK_mSL_SN_bEUlT_E_NS1_11comp_targetILNS1_3genE10ELNS1_11target_archE1200ELNS1_3gpuE4ELNS1_3repE0EEENS1_30default_config_static_selectorELNS0_4arch9wavefront6targetE1EEEvT1_.kd
    .uniform_work_group_size: 1
    .uses_dynamic_stack: false
    .vgpr_count:     0
    .vgpr_spill_count: 0
    .wavefront_size: 64
  - .agpr_count:     0
    .args:
      - .offset:         0
        .size:           56
        .value_kind:     by_value
    .group_segment_fixed_size: 0
    .kernarg_segment_align: 8
    .kernarg_segment_size: 56
    .language:       OpenCL C
    .language_version:
      - 2
      - 0
    .max_flat_workgroup_size: 1024
    .name:           _ZN7rocprim17ROCPRIM_400000_NS6detail17trampoline_kernelINS0_14default_configENS1_25transform_config_selectorItLb0EEEZNS1_14transform_implILb0ES3_S5_NS0_18transform_iteratorINS0_17counting_iteratorImlEEZNS1_24adjacent_difference_implIS3_Lb1ELb0EPtSB_N6thrust23THRUST_200600_302600_NS4plusItEEEE10hipError_tPvRmT2_T3_mT4_P12ihipStream_tbEUlmE_tEESB_NS0_8identityIvEEEESG_SJ_SK_mSL_SN_bEUlT_E_NS1_11comp_targetILNS1_3genE9ELNS1_11target_archE1100ELNS1_3gpuE3ELNS1_3repE0EEENS1_30default_config_static_selectorELNS0_4arch9wavefront6targetE1EEEvT1_
    .private_segment_fixed_size: 0
    .sgpr_count:     6
    .sgpr_spill_count: 0
    .symbol:         _ZN7rocprim17ROCPRIM_400000_NS6detail17trampoline_kernelINS0_14default_configENS1_25transform_config_selectorItLb0EEEZNS1_14transform_implILb0ES3_S5_NS0_18transform_iteratorINS0_17counting_iteratorImlEEZNS1_24adjacent_difference_implIS3_Lb1ELb0EPtSB_N6thrust23THRUST_200600_302600_NS4plusItEEEE10hipError_tPvRmT2_T3_mT4_P12ihipStream_tbEUlmE_tEESB_NS0_8identityIvEEEESG_SJ_SK_mSL_SN_bEUlT_E_NS1_11comp_targetILNS1_3genE9ELNS1_11target_archE1100ELNS1_3gpuE3ELNS1_3repE0EEENS1_30default_config_static_selectorELNS0_4arch9wavefront6targetE1EEEvT1_.kd
    .uniform_work_group_size: 1
    .uses_dynamic_stack: false
    .vgpr_count:     0
    .vgpr_spill_count: 0
    .wavefront_size: 64
  - .agpr_count:     0
    .args:
      - .offset:         0
        .size:           56
        .value_kind:     by_value
    .group_segment_fixed_size: 0
    .kernarg_segment_align: 8
    .kernarg_segment_size: 56
    .language:       OpenCL C
    .language_version:
      - 2
      - 0
    .max_flat_workgroup_size: 1024
    .name:           _ZN7rocprim17ROCPRIM_400000_NS6detail17trampoline_kernelINS0_14default_configENS1_25transform_config_selectorItLb0EEEZNS1_14transform_implILb0ES3_S5_NS0_18transform_iteratorINS0_17counting_iteratorImlEEZNS1_24adjacent_difference_implIS3_Lb1ELb0EPtSB_N6thrust23THRUST_200600_302600_NS4plusItEEEE10hipError_tPvRmT2_T3_mT4_P12ihipStream_tbEUlmE_tEESB_NS0_8identityIvEEEESG_SJ_SK_mSL_SN_bEUlT_E_NS1_11comp_targetILNS1_3genE8ELNS1_11target_archE1030ELNS1_3gpuE2ELNS1_3repE0EEENS1_30default_config_static_selectorELNS0_4arch9wavefront6targetE1EEEvT1_
    .private_segment_fixed_size: 0
    .sgpr_count:     6
    .sgpr_spill_count: 0
    .symbol:         _ZN7rocprim17ROCPRIM_400000_NS6detail17trampoline_kernelINS0_14default_configENS1_25transform_config_selectorItLb0EEEZNS1_14transform_implILb0ES3_S5_NS0_18transform_iteratorINS0_17counting_iteratorImlEEZNS1_24adjacent_difference_implIS3_Lb1ELb0EPtSB_N6thrust23THRUST_200600_302600_NS4plusItEEEE10hipError_tPvRmT2_T3_mT4_P12ihipStream_tbEUlmE_tEESB_NS0_8identityIvEEEESG_SJ_SK_mSL_SN_bEUlT_E_NS1_11comp_targetILNS1_3genE8ELNS1_11target_archE1030ELNS1_3gpuE2ELNS1_3repE0EEENS1_30default_config_static_selectorELNS0_4arch9wavefront6targetE1EEEvT1_.kd
    .uniform_work_group_size: 1
    .uses_dynamic_stack: false
    .vgpr_count:     0
    .vgpr_spill_count: 0
    .wavefront_size: 64
  - .agpr_count:     0
    .args:
      - .offset:         0
        .size:           56
        .value_kind:     by_value
    .group_segment_fixed_size: 0
    .kernarg_segment_align: 8
    .kernarg_segment_size: 56
    .language:       OpenCL C
    .language_version:
      - 2
      - 0
    .max_flat_workgroup_size: 32
    .name:           _ZN7rocprim17ROCPRIM_400000_NS6detail17trampoline_kernelINS0_14default_configENS1_35adjacent_difference_config_selectorILb1EtEEZNS1_24adjacent_difference_implIS3_Lb1ELb0EPtS7_N6thrust23THRUST_200600_302600_NS4plusItEEEE10hipError_tPvRmT2_T3_mT4_P12ihipStream_tbEUlT_E_NS1_11comp_targetILNS1_3genE0ELNS1_11target_archE4294967295ELNS1_3gpuE0ELNS1_3repE0EEENS1_30default_config_static_selectorELNS0_4arch9wavefront6targetE1EEEvT1_
    .private_segment_fixed_size: 0
    .sgpr_count:     6
    .sgpr_spill_count: 0
    .symbol:         _ZN7rocprim17ROCPRIM_400000_NS6detail17trampoline_kernelINS0_14default_configENS1_35adjacent_difference_config_selectorILb1EtEEZNS1_24adjacent_difference_implIS3_Lb1ELb0EPtS7_N6thrust23THRUST_200600_302600_NS4plusItEEEE10hipError_tPvRmT2_T3_mT4_P12ihipStream_tbEUlT_E_NS1_11comp_targetILNS1_3genE0ELNS1_11target_archE4294967295ELNS1_3gpuE0ELNS1_3repE0EEENS1_30default_config_static_selectorELNS0_4arch9wavefront6targetE1EEEvT1_.kd
    .uniform_work_group_size: 1
    .uses_dynamic_stack: false
    .vgpr_count:     0
    .vgpr_spill_count: 0
    .wavefront_size: 64
  - .agpr_count:     0
    .args:
      - .offset:         0
        .size:           56
        .value_kind:     by_value
    .group_segment_fixed_size: 0
    .kernarg_segment_align: 8
    .kernarg_segment_size: 56
    .language:       OpenCL C
    .language_version:
      - 2
      - 0
    .max_flat_workgroup_size: 512
    .name:           _ZN7rocprim17ROCPRIM_400000_NS6detail17trampoline_kernelINS0_14default_configENS1_35adjacent_difference_config_selectorILb1EtEEZNS1_24adjacent_difference_implIS3_Lb1ELb0EPtS7_N6thrust23THRUST_200600_302600_NS4plusItEEEE10hipError_tPvRmT2_T3_mT4_P12ihipStream_tbEUlT_E_NS1_11comp_targetILNS1_3genE10ELNS1_11target_archE1201ELNS1_3gpuE5ELNS1_3repE0EEENS1_30default_config_static_selectorELNS0_4arch9wavefront6targetE1EEEvT1_
    .private_segment_fixed_size: 0
    .sgpr_count:     6
    .sgpr_spill_count: 0
    .symbol:         _ZN7rocprim17ROCPRIM_400000_NS6detail17trampoline_kernelINS0_14default_configENS1_35adjacent_difference_config_selectorILb1EtEEZNS1_24adjacent_difference_implIS3_Lb1ELb0EPtS7_N6thrust23THRUST_200600_302600_NS4plusItEEEE10hipError_tPvRmT2_T3_mT4_P12ihipStream_tbEUlT_E_NS1_11comp_targetILNS1_3genE10ELNS1_11target_archE1201ELNS1_3gpuE5ELNS1_3repE0EEENS1_30default_config_static_selectorELNS0_4arch9wavefront6targetE1EEEvT1_.kd
    .uniform_work_group_size: 1
    .uses_dynamic_stack: false
    .vgpr_count:     0
    .vgpr_spill_count: 0
    .wavefront_size: 64
  - .agpr_count:     0
    .args:
      - .offset:         0
        .size:           56
        .value_kind:     by_value
    .group_segment_fixed_size: 3968
    .kernarg_segment_align: 8
    .kernarg_segment_size: 56
    .language:       OpenCL C
    .language_version:
      - 2
      - 0
    .max_flat_workgroup_size: 64
    .name:           _ZN7rocprim17ROCPRIM_400000_NS6detail17trampoline_kernelINS0_14default_configENS1_35adjacent_difference_config_selectorILb1EtEEZNS1_24adjacent_difference_implIS3_Lb1ELb0EPtS7_N6thrust23THRUST_200600_302600_NS4plusItEEEE10hipError_tPvRmT2_T3_mT4_P12ihipStream_tbEUlT_E_NS1_11comp_targetILNS1_3genE5ELNS1_11target_archE942ELNS1_3gpuE9ELNS1_3repE0EEENS1_30default_config_static_selectorELNS0_4arch9wavefront6targetE1EEEvT1_
    .private_segment_fixed_size: 0
    .sgpr_count:     35
    .sgpr_spill_count: 0
    .symbol:         _ZN7rocprim17ROCPRIM_400000_NS6detail17trampoline_kernelINS0_14default_configENS1_35adjacent_difference_config_selectorILb1EtEEZNS1_24adjacent_difference_implIS3_Lb1ELb0EPtS7_N6thrust23THRUST_200600_302600_NS4plusItEEEE10hipError_tPvRmT2_T3_mT4_P12ihipStream_tbEUlT_E_NS1_11comp_targetILNS1_3genE5ELNS1_11target_archE942ELNS1_3gpuE9ELNS1_3repE0EEENS1_30default_config_static_selectorELNS0_4arch9wavefront6targetE1EEEvT1_.kd
    .uniform_work_group_size: 1
    .uses_dynamic_stack: false
    .vgpr_count:     53
    .vgpr_spill_count: 0
    .wavefront_size: 64
  - .agpr_count:     0
    .args:
      - .offset:         0
        .size:           56
        .value_kind:     by_value
    .group_segment_fixed_size: 0
    .kernarg_segment_align: 8
    .kernarg_segment_size: 56
    .language:       OpenCL C
    .language_version:
      - 2
      - 0
    .max_flat_workgroup_size: 64
    .name:           _ZN7rocprim17ROCPRIM_400000_NS6detail17trampoline_kernelINS0_14default_configENS1_35adjacent_difference_config_selectorILb1EtEEZNS1_24adjacent_difference_implIS3_Lb1ELb0EPtS7_N6thrust23THRUST_200600_302600_NS4plusItEEEE10hipError_tPvRmT2_T3_mT4_P12ihipStream_tbEUlT_E_NS1_11comp_targetILNS1_3genE4ELNS1_11target_archE910ELNS1_3gpuE8ELNS1_3repE0EEENS1_30default_config_static_selectorELNS0_4arch9wavefront6targetE1EEEvT1_
    .private_segment_fixed_size: 0
    .sgpr_count:     6
    .sgpr_spill_count: 0
    .symbol:         _ZN7rocprim17ROCPRIM_400000_NS6detail17trampoline_kernelINS0_14default_configENS1_35adjacent_difference_config_selectorILb1EtEEZNS1_24adjacent_difference_implIS3_Lb1ELb0EPtS7_N6thrust23THRUST_200600_302600_NS4plusItEEEE10hipError_tPvRmT2_T3_mT4_P12ihipStream_tbEUlT_E_NS1_11comp_targetILNS1_3genE4ELNS1_11target_archE910ELNS1_3gpuE8ELNS1_3repE0EEENS1_30default_config_static_selectorELNS0_4arch9wavefront6targetE1EEEvT1_.kd
    .uniform_work_group_size: 1
    .uses_dynamic_stack: false
    .vgpr_count:     0
    .vgpr_spill_count: 0
    .wavefront_size: 64
  - .agpr_count:     0
    .args:
      - .offset:         0
        .size:           56
        .value_kind:     by_value
    .group_segment_fixed_size: 0
    .kernarg_segment_align: 8
    .kernarg_segment_size: 56
    .language:       OpenCL C
    .language_version:
      - 2
      - 0
    .max_flat_workgroup_size: 32
    .name:           _ZN7rocprim17ROCPRIM_400000_NS6detail17trampoline_kernelINS0_14default_configENS1_35adjacent_difference_config_selectorILb1EtEEZNS1_24adjacent_difference_implIS3_Lb1ELb0EPtS7_N6thrust23THRUST_200600_302600_NS4plusItEEEE10hipError_tPvRmT2_T3_mT4_P12ihipStream_tbEUlT_E_NS1_11comp_targetILNS1_3genE3ELNS1_11target_archE908ELNS1_3gpuE7ELNS1_3repE0EEENS1_30default_config_static_selectorELNS0_4arch9wavefront6targetE1EEEvT1_
    .private_segment_fixed_size: 0
    .sgpr_count:     6
    .sgpr_spill_count: 0
    .symbol:         _ZN7rocprim17ROCPRIM_400000_NS6detail17trampoline_kernelINS0_14default_configENS1_35adjacent_difference_config_selectorILb1EtEEZNS1_24adjacent_difference_implIS3_Lb1ELb0EPtS7_N6thrust23THRUST_200600_302600_NS4plusItEEEE10hipError_tPvRmT2_T3_mT4_P12ihipStream_tbEUlT_E_NS1_11comp_targetILNS1_3genE3ELNS1_11target_archE908ELNS1_3gpuE7ELNS1_3repE0EEENS1_30default_config_static_selectorELNS0_4arch9wavefront6targetE1EEEvT1_.kd
    .uniform_work_group_size: 1
    .uses_dynamic_stack: false
    .vgpr_count:     0
    .vgpr_spill_count: 0
    .wavefront_size: 64
  - .agpr_count:     0
    .args:
      - .offset:         0
        .size:           56
        .value_kind:     by_value
    .group_segment_fixed_size: 0
    .kernarg_segment_align: 8
    .kernarg_segment_size: 56
    .language:       OpenCL C
    .language_version:
      - 2
      - 0
    .max_flat_workgroup_size: 64
    .name:           _ZN7rocprim17ROCPRIM_400000_NS6detail17trampoline_kernelINS0_14default_configENS1_35adjacent_difference_config_selectorILb1EtEEZNS1_24adjacent_difference_implIS3_Lb1ELb0EPtS7_N6thrust23THRUST_200600_302600_NS4plusItEEEE10hipError_tPvRmT2_T3_mT4_P12ihipStream_tbEUlT_E_NS1_11comp_targetILNS1_3genE2ELNS1_11target_archE906ELNS1_3gpuE6ELNS1_3repE0EEENS1_30default_config_static_selectorELNS0_4arch9wavefront6targetE1EEEvT1_
    .private_segment_fixed_size: 0
    .sgpr_count:     6
    .sgpr_spill_count: 0
    .symbol:         _ZN7rocprim17ROCPRIM_400000_NS6detail17trampoline_kernelINS0_14default_configENS1_35adjacent_difference_config_selectorILb1EtEEZNS1_24adjacent_difference_implIS3_Lb1ELb0EPtS7_N6thrust23THRUST_200600_302600_NS4plusItEEEE10hipError_tPvRmT2_T3_mT4_P12ihipStream_tbEUlT_E_NS1_11comp_targetILNS1_3genE2ELNS1_11target_archE906ELNS1_3gpuE6ELNS1_3repE0EEENS1_30default_config_static_selectorELNS0_4arch9wavefront6targetE1EEEvT1_.kd
    .uniform_work_group_size: 1
    .uses_dynamic_stack: false
    .vgpr_count:     0
    .vgpr_spill_count: 0
    .wavefront_size: 64
  - .agpr_count:     0
    .args:
      - .offset:         0
        .size:           56
        .value_kind:     by_value
    .group_segment_fixed_size: 0
    .kernarg_segment_align: 8
    .kernarg_segment_size: 56
    .language:       OpenCL C
    .language_version:
      - 2
      - 0
    .max_flat_workgroup_size: 128
    .name:           _ZN7rocprim17ROCPRIM_400000_NS6detail17trampoline_kernelINS0_14default_configENS1_35adjacent_difference_config_selectorILb1EtEEZNS1_24adjacent_difference_implIS3_Lb1ELb0EPtS7_N6thrust23THRUST_200600_302600_NS4plusItEEEE10hipError_tPvRmT2_T3_mT4_P12ihipStream_tbEUlT_E_NS1_11comp_targetILNS1_3genE9ELNS1_11target_archE1100ELNS1_3gpuE3ELNS1_3repE0EEENS1_30default_config_static_selectorELNS0_4arch9wavefront6targetE1EEEvT1_
    .private_segment_fixed_size: 0
    .sgpr_count:     6
    .sgpr_spill_count: 0
    .symbol:         _ZN7rocprim17ROCPRIM_400000_NS6detail17trampoline_kernelINS0_14default_configENS1_35adjacent_difference_config_selectorILb1EtEEZNS1_24adjacent_difference_implIS3_Lb1ELb0EPtS7_N6thrust23THRUST_200600_302600_NS4plusItEEEE10hipError_tPvRmT2_T3_mT4_P12ihipStream_tbEUlT_E_NS1_11comp_targetILNS1_3genE9ELNS1_11target_archE1100ELNS1_3gpuE3ELNS1_3repE0EEENS1_30default_config_static_selectorELNS0_4arch9wavefront6targetE1EEEvT1_.kd
    .uniform_work_group_size: 1
    .uses_dynamic_stack: false
    .vgpr_count:     0
    .vgpr_spill_count: 0
    .wavefront_size: 64
  - .agpr_count:     0
    .args:
      - .offset:         0
        .size:           56
        .value_kind:     by_value
    .group_segment_fixed_size: 0
    .kernarg_segment_align: 8
    .kernarg_segment_size: 56
    .language:       OpenCL C
    .language_version:
      - 2
      - 0
    .max_flat_workgroup_size: 512
    .name:           _ZN7rocprim17ROCPRIM_400000_NS6detail17trampoline_kernelINS0_14default_configENS1_35adjacent_difference_config_selectorILb1EtEEZNS1_24adjacent_difference_implIS3_Lb1ELb0EPtS7_N6thrust23THRUST_200600_302600_NS4plusItEEEE10hipError_tPvRmT2_T3_mT4_P12ihipStream_tbEUlT_E_NS1_11comp_targetILNS1_3genE8ELNS1_11target_archE1030ELNS1_3gpuE2ELNS1_3repE0EEENS1_30default_config_static_selectorELNS0_4arch9wavefront6targetE1EEEvT1_
    .private_segment_fixed_size: 0
    .sgpr_count:     6
    .sgpr_spill_count: 0
    .symbol:         _ZN7rocprim17ROCPRIM_400000_NS6detail17trampoline_kernelINS0_14default_configENS1_35adjacent_difference_config_selectorILb1EtEEZNS1_24adjacent_difference_implIS3_Lb1ELb0EPtS7_N6thrust23THRUST_200600_302600_NS4plusItEEEE10hipError_tPvRmT2_T3_mT4_P12ihipStream_tbEUlT_E_NS1_11comp_targetILNS1_3genE8ELNS1_11target_archE1030ELNS1_3gpuE2ELNS1_3repE0EEENS1_30default_config_static_selectorELNS0_4arch9wavefront6targetE1EEEvT1_.kd
    .uniform_work_group_size: 1
    .uses_dynamic_stack: false
    .vgpr_count:     0
    .vgpr_spill_count: 0
    .wavefront_size: 64
  - .agpr_count:     0
    .args:
      - .offset:         0
        .size:           16
        .value_kind:     by_value
      - .offset:         16
        .size:           8
        .value_kind:     by_value
      - .offset:         24
        .size:           8
        .value_kind:     by_value
    .group_segment_fixed_size: 0
    .kernarg_segment_align: 8
    .kernarg_segment_size: 32
    .language:       OpenCL C
    .language_version:
      - 2
      - 0
    .max_flat_workgroup_size: 256
    .name:           _ZN6thrust23THRUST_200600_302600_NS11hip_rocprim14__parallel_for6kernelILj256ENS1_20__uninitialized_fill7functorINS0_10device_ptrIjEEjEEmLj1EEEvT0_T1_SA_
    .private_segment_fixed_size: 0
    .sgpr_count:     14
    .sgpr_spill_count: 0
    .symbol:         _ZN6thrust23THRUST_200600_302600_NS11hip_rocprim14__parallel_for6kernelILj256ENS1_20__uninitialized_fill7functorINS0_10device_ptrIjEEjEEmLj1EEEvT0_T1_SA_.kd
    .uniform_work_group_size: 1
    .uses_dynamic_stack: false
    .vgpr_count:     4
    .vgpr_spill_count: 0
    .wavefront_size: 64
  - .agpr_count:     0
    .args:
      - .offset:         0
        .size:           56
        .value_kind:     by_value
    .group_segment_fixed_size: 0
    .kernarg_segment_align: 8
    .kernarg_segment_size: 56
    .language:       OpenCL C
    .language_version:
      - 2
      - 0
    .max_flat_workgroup_size: 128
    .name:           _ZN7rocprim17ROCPRIM_400000_NS6detail17trampoline_kernelINS0_14default_configENS1_35adjacent_difference_config_selectorILb0EjEEZNS1_24adjacent_difference_implIS3_Lb0ELb0EPjS7_N6thrust23THRUST_200600_302600_NS5minusIjEEEE10hipError_tPvRmT2_T3_mT4_P12ihipStream_tbEUlT_E_NS1_11comp_targetILNS1_3genE0ELNS1_11target_archE4294967295ELNS1_3gpuE0ELNS1_3repE0EEENS1_30default_config_static_selectorELNS0_4arch9wavefront6targetE1EEEvT1_
    .private_segment_fixed_size: 0
    .sgpr_count:     6
    .sgpr_spill_count: 0
    .symbol:         _ZN7rocprim17ROCPRIM_400000_NS6detail17trampoline_kernelINS0_14default_configENS1_35adjacent_difference_config_selectorILb0EjEEZNS1_24adjacent_difference_implIS3_Lb0ELb0EPjS7_N6thrust23THRUST_200600_302600_NS5minusIjEEEE10hipError_tPvRmT2_T3_mT4_P12ihipStream_tbEUlT_E_NS1_11comp_targetILNS1_3genE0ELNS1_11target_archE4294967295ELNS1_3gpuE0ELNS1_3repE0EEENS1_30default_config_static_selectorELNS0_4arch9wavefront6targetE1EEEvT1_.kd
    .uniform_work_group_size: 1
    .uses_dynamic_stack: false
    .vgpr_count:     0
    .vgpr_spill_count: 0
    .wavefront_size: 64
  - .agpr_count:     0
    .args:
      - .offset:         0
        .size:           56
        .value_kind:     by_value
    .group_segment_fixed_size: 0
    .kernarg_segment_align: 8
    .kernarg_segment_size: 56
    .language:       OpenCL C
    .language_version:
      - 2
      - 0
    .max_flat_workgroup_size: 128
    .name:           _ZN7rocprim17ROCPRIM_400000_NS6detail17trampoline_kernelINS0_14default_configENS1_35adjacent_difference_config_selectorILb0EjEEZNS1_24adjacent_difference_implIS3_Lb0ELb0EPjS7_N6thrust23THRUST_200600_302600_NS5minusIjEEEE10hipError_tPvRmT2_T3_mT4_P12ihipStream_tbEUlT_E_NS1_11comp_targetILNS1_3genE10ELNS1_11target_archE1201ELNS1_3gpuE5ELNS1_3repE0EEENS1_30default_config_static_selectorELNS0_4arch9wavefront6targetE1EEEvT1_
    .private_segment_fixed_size: 0
    .sgpr_count:     6
    .sgpr_spill_count: 0
    .symbol:         _ZN7rocprim17ROCPRIM_400000_NS6detail17trampoline_kernelINS0_14default_configENS1_35adjacent_difference_config_selectorILb0EjEEZNS1_24adjacent_difference_implIS3_Lb0ELb0EPjS7_N6thrust23THRUST_200600_302600_NS5minusIjEEEE10hipError_tPvRmT2_T3_mT4_P12ihipStream_tbEUlT_E_NS1_11comp_targetILNS1_3genE10ELNS1_11target_archE1201ELNS1_3gpuE5ELNS1_3repE0EEENS1_30default_config_static_selectorELNS0_4arch9wavefront6targetE1EEEvT1_.kd
    .uniform_work_group_size: 1
    .uses_dynamic_stack: false
    .vgpr_count:     0
    .vgpr_spill_count: 0
    .wavefront_size: 64
  - .agpr_count:     0
    .args:
      - .offset:         0
        .size:           56
        .value_kind:     by_value
    .group_segment_fixed_size: 7424
    .kernarg_segment_align: 8
    .kernarg_segment_size: 56
    .language:       OpenCL C
    .language_version:
      - 2
      - 0
    .max_flat_workgroup_size: 64
    .name:           _ZN7rocprim17ROCPRIM_400000_NS6detail17trampoline_kernelINS0_14default_configENS1_35adjacent_difference_config_selectorILb0EjEEZNS1_24adjacent_difference_implIS3_Lb0ELb0EPjS7_N6thrust23THRUST_200600_302600_NS5minusIjEEEE10hipError_tPvRmT2_T3_mT4_P12ihipStream_tbEUlT_E_NS1_11comp_targetILNS1_3genE5ELNS1_11target_archE942ELNS1_3gpuE9ELNS1_3repE0EEENS1_30default_config_static_selectorELNS0_4arch9wavefront6targetE1EEEvT1_
    .private_segment_fixed_size: 0
    .sgpr_count:     76
    .sgpr_spill_count: 0
    .symbol:         _ZN7rocprim17ROCPRIM_400000_NS6detail17trampoline_kernelINS0_14default_configENS1_35adjacent_difference_config_selectorILb0EjEEZNS1_24adjacent_difference_implIS3_Lb0ELb0EPjS7_N6thrust23THRUST_200600_302600_NS5minusIjEEEE10hipError_tPvRmT2_T3_mT4_P12ihipStream_tbEUlT_E_NS1_11comp_targetILNS1_3genE5ELNS1_11target_archE942ELNS1_3gpuE9ELNS1_3repE0EEENS1_30default_config_static_selectorELNS0_4arch9wavefront6targetE1EEEvT1_.kd
    .uniform_work_group_size: 1
    .uses_dynamic_stack: false
    .vgpr_count:     64
    .vgpr_spill_count: 0
    .wavefront_size: 64
  - .agpr_count:     0
    .args:
      - .offset:         0
        .size:           56
        .value_kind:     by_value
    .group_segment_fixed_size: 0
    .kernarg_segment_align: 8
    .kernarg_segment_size: 56
    .language:       OpenCL C
    .language_version:
      - 2
      - 0
    .max_flat_workgroup_size: 512
    .name:           _ZN7rocprim17ROCPRIM_400000_NS6detail17trampoline_kernelINS0_14default_configENS1_35adjacent_difference_config_selectorILb0EjEEZNS1_24adjacent_difference_implIS3_Lb0ELb0EPjS7_N6thrust23THRUST_200600_302600_NS5minusIjEEEE10hipError_tPvRmT2_T3_mT4_P12ihipStream_tbEUlT_E_NS1_11comp_targetILNS1_3genE4ELNS1_11target_archE910ELNS1_3gpuE8ELNS1_3repE0EEENS1_30default_config_static_selectorELNS0_4arch9wavefront6targetE1EEEvT1_
    .private_segment_fixed_size: 0
    .sgpr_count:     6
    .sgpr_spill_count: 0
    .symbol:         _ZN7rocprim17ROCPRIM_400000_NS6detail17trampoline_kernelINS0_14default_configENS1_35adjacent_difference_config_selectorILb0EjEEZNS1_24adjacent_difference_implIS3_Lb0ELb0EPjS7_N6thrust23THRUST_200600_302600_NS5minusIjEEEE10hipError_tPvRmT2_T3_mT4_P12ihipStream_tbEUlT_E_NS1_11comp_targetILNS1_3genE4ELNS1_11target_archE910ELNS1_3gpuE8ELNS1_3repE0EEENS1_30default_config_static_selectorELNS0_4arch9wavefront6targetE1EEEvT1_.kd
    .uniform_work_group_size: 1
    .uses_dynamic_stack: false
    .vgpr_count:     0
    .vgpr_spill_count: 0
    .wavefront_size: 64
  - .agpr_count:     0
    .args:
      - .offset:         0
        .size:           56
        .value_kind:     by_value
    .group_segment_fixed_size: 0
    .kernarg_segment_align: 8
    .kernarg_segment_size: 56
    .language:       OpenCL C
    .language_version:
      - 2
      - 0
    .max_flat_workgroup_size: 128
    .name:           _ZN7rocprim17ROCPRIM_400000_NS6detail17trampoline_kernelINS0_14default_configENS1_35adjacent_difference_config_selectorILb0EjEEZNS1_24adjacent_difference_implIS3_Lb0ELb0EPjS7_N6thrust23THRUST_200600_302600_NS5minusIjEEEE10hipError_tPvRmT2_T3_mT4_P12ihipStream_tbEUlT_E_NS1_11comp_targetILNS1_3genE3ELNS1_11target_archE908ELNS1_3gpuE7ELNS1_3repE0EEENS1_30default_config_static_selectorELNS0_4arch9wavefront6targetE1EEEvT1_
    .private_segment_fixed_size: 0
    .sgpr_count:     6
    .sgpr_spill_count: 0
    .symbol:         _ZN7rocprim17ROCPRIM_400000_NS6detail17trampoline_kernelINS0_14default_configENS1_35adjacent_difference_config_selectorILb0EjEEZNS1_24adjacent_difference_implIS3_Lb0ELb0EPjS7_N6thrust23THRUST_200600_302600_NS5minusIjEEEE10hipError_tPvRmT2_T3_mT4_P12ihipStream_tbEUlT_E_NS1_11comp_targetILNS1_3genE3ELNS1_11target_archE908ELNS1_3gpuE7ELNS1_3repE0EEENS1_30default_config_static_selectorELNS0_4arch9wavefront6targetE1EEEvT1_.kd
    .uniform_work_group_size: 1
    .uses_dynamic_stack: false
    .vgpr_count:     0
    .vgpr_spill_count: 0
    .wavefront_size: 64
  - .agpr_count:     0
    .args:
      - .offset:         0
        .size:           56
        .value_kind:     by_value
    .group_segment_fixed_size: 0
    .kernarg_segment_align: 8
    .kernarg_segment_size: 56
    .language:       OpenCL C
    .language_version:
      - 2
      - 0
    .max_flat_workgroup_size: 1024
    .name:           _ZN7rocprim17ROCPRIM_400000_NS6detail17trampoline_kernelINS0_14default_configENS1_35adjacent_difference_config_selectorILb0EjEEZNS1_24adjacent_difference_implIS3_Lb0ELb0EPjS7_N6thrust23THRUST_200600_302600_NS5minusIjEEEE10hipError_tPvRmT2_T3_mT4_P12ihipStream_tbEUlT_E_NS1_11comp_targetILNS1_3genE2ELNS1_11target_archE906ELNS1_3gpuE6ELNS1_3repE0EEENS1_30default_config_static_selectorELNS0_4arch9wavefront6targetE1EEEvT1_
    .private_segment_fixed_size: 0
    .sgpr_count:     6
    .sgpr_spill_count: 0
    .symbol:         _ZN7rocprim17ROCPRIM_400000_NS6detail17trampoline_kernelINS0_14default_configENS1_35adjacent_difference_config_selectorILb0EjEEZNS1_24adjacent_difference_implIS3_Lb0ELb0EPjS7_N6thrust23THRUST_200600_302600_NS5minusIjEEEE10hipError_tPvRmT2_T3_mT4_P12ihipStream_tbEUlT_E_NS1_11comp_targetILNS1_3genE2ELNS1_11target_archE906ELNS1_3gpuE6ELNS1_3repE0EEENS1_30default_config_static_selectorELNS0_4arch9wavefront6targetE1EEEvT1_.kd
    .uniform_work_group_size: 1
    .uses_dynamic_stack: false
    .vgpr_count:     0
    .vgpr_spill_count: 0
    .wavefront_size: 64
  - .agpr_count:     0
    .args:
      - .offset:         0
        .size:           56
        .value_kind:     by_value
    .group_segment_fixed_size: 0
    .kernarg_segment_align: 8
    .kernarg_segment_size: 56
    .language:       OpenCL C
    .language_version:
      - 2
      - 0
    .max_flat_workgroup_size: 1024
    .name:           _ZN7rocprim17ROCPRIM_400000_NS6detail17trampoline_kernelINS0_14default_configENS1_35adjacent_difference_config_selectorILb0EjEEZNS1_24adjacent_difference_implIS3_Lb0ELb0EPjS7_N6thrust23THRUST_200600_302600_NS5minusIjEEEE10hipError_tPvRmT2_T3_mT4_P12ihipStream_tbEUlT_E_NS1_11comp_targetILNS1_3genE9ELNS1_11target_archE1100ELNS1_3gpuE3ELNS1_3repE0EEENS1_30default_config_static_selectorELNS0_4arch9wavefront6targetE1EEEvT1_
    .private_segment_fixed_size: 0
    .sgpr_count:     6
    .sgpr_spill_count: 0
    .symbol:         _ZN7rocprim17ROCPRIM_400000_NS6detail17trampoline_kernelINS0_14default_configENS1_35adjacent_difference_config_selectorILb0EjEEZNS1_24adjacent_difference_implIS3_Lb0ELb0EPjS7_N6thrust23THRUST_200600_302600_NS5minusIjEEEE10hipError_tPvRmT2_T3_mT4_P12ihipStream_tbEUlT_E_NS1_11comp_targetILNS1_3genE9ELNS1_11target_archE1100ELNS1_3gpuE3ELNS1_3repE0EEENS1_30default_config_static_selectorELNS0_4arch9wavefront6targetE1EEEvT1_.kd
    .uniform_work_group_size: 1
    .uses_dynamic_stack: false
    .vgpr_count:     0
    .vgpr_spill_count: 0
    .wavefront_size: 64
  - .agpr_count:     0
    .args:
      - .offset:         0
        .size:           56
        .value_kind:     by_value
    .group_segment_fixed_size: 0
    .kernarg_segment_align: 8
    .kernarg_segment_size: 56
    .language:       OpenCL C
    .language_version:
      - 2
      - 0
    .max_flat_workgroup_size: 1024
    .name:           _ZN7rocprim17ROCPRIM_400000_NS6detail17trampoline_kernelINS0_14default_configENS1_35adjacent_difference_config_selectorILb0EjEEZNS1_24adjacent_difference_implIS3_Lb0ELb0EPjS7_N6thrust23THRUST_200600_302600_NS5minusIjEEEE10hipError_tPvRmT2_T3_mT4_P12ihipStream_tbEUlT_E_NS1_11comp_targetILNS1_3genE8ELNS1_11target_archE1030ELNS1_3gpuE2ELNS1_3repE0EEENS1_30default_config_static_selectorELNS0_4arch9wavefront6targetE1EEEvT1_
    .private_segment_fixed_size: 0
    .sgpr_count:     6
    .sgpr_spill_count: 0
    .symbol:         _ZN7rocprim17ROCPRIM_400000_NS6detail17trampoline_kernelINS0_14default_configENS1_35adjacent_difference_config_selectorILb0EjEEZNS1_24adjacent_difference_implIS3_Lb0ELb0EPjS7_N6thrust23THRUST_200600_302600_NS5minusIjEEEE10hipError_tPvRmT2_T3_mT4_P12ihipStream_tbEUlT_E_NS1_11comp_targetILNS1_3genE8ELNS1_11target_archE1030ELNS1_3gpuE2ELNS1_3repE0EEENS1_30default_config_static_selectorELNS0_4arch9wavefront6targetE1EEEvT1_.kd
    .uniform_work_group_size: 1
    .uses_dynamic_stack: false
    .vgpr_count:     0
    .vgpr_spill_count: 0
    .wavefront_size: 64
  - .agpr_count:     0
    .args:
      - .offset:         0
        .size:           56
        .value_kind:     by_value
    .group_segment_fixed_size: 0
    .kernarg_segment_align: 8
    .kernarg_segment_size: 56
    .language:       OpenCL C
    .language_version:
      - 2
      - 0
    .max_flat_workgroup_size: 128
    .name:           _ZN7rocprim17ROCPRIM_400000_NS6detail17trampoline_kernelINS0_14default_configENS1_25transform_config_selectorIjLb0EEEZNS1_14transform_implILb0ES3_S5_NS0_18transform_iteratorINS0_17counting_iteratorImlEEZNS1_24adjacent_difference_implIS3_Lb1ELb0EPjSB_N6thrust23THRUST_200600_302600_NS5minusIjEEEE10hipError_tPvRmT2_T3_mT4_P12ihipStream_tbEUlmE_jEESB_NS0_8identityIvEEEESG_SJ_SK_mSL_SN_bEUlT_E_NS1_11comp_targetILNS1_3genE0ELNS1_11target_archE4294967295ELNS1_3gpuE0ELNS1_3repE0EEENS1_30default_config_static_selectorELNS0_4arch9wavefront6targetE1EEEvT1_
    .private_segment_fixed_size: 0
    .sgpr_count:     6
    .sgpr_spill_count: 0
    .symbol:         _ZN7rocprim17ROCPRIM_400000_NS6detail17trampoline_kernelINS0_14default_configENS1_25transform_config_selectorIjLb0EEEZNS1_14transform_implILb0ES3_S5_NS0_18transform_iteratorINS0_17counting_iteratorImlEEZNS1_24adjacent_difference_implIS3_Lb1ELb0EPjSB_N6thrust23THRUST_200600_302600_NS5minusIjEEEE10hipError_tPvRmT2_T3_mT4_P12ihipStream_tbEUlmE_jEESB_NS0_8identityIvEEEESG_SJ_SK_mSL_SN_bEUlT_E_NS1_11comp_targetILNS1_3genE0ELNS1_11target_archE4294967295ELNS1_3gpuE0ELNS1_3repE0EEENS1_30default_config_static_selectorELNS0_4arch9wavefront6targetE1EEEvT1_.kd
    .uniform_work_group_size: 1
    .uses_dynamic_stack: false
    .vgpr_count:     0
    .vgpr_spill_count: 0
    .wavefront_size: 64
  - .agpr_count:     0
    .args:
      - .offset:         0
        .size:           56
        .value_kind:     by_value
      - .offset:         56
        .size:           4
        .value_kind:     hidden_block_count_x
      - .offset:         60
        .size:           4
        .value_kind:     hidden_block_count_y
      - .offset:         64
        .size:           4
        .value_kind:     hidden_block_count_z
      - .offset:         68
        .size:           2
        .value_kind:     hidden_group_size_x
      - .offset:         70
        .size:           2
        .value_kind:     hidden_group_size_y
      - .offset:         72
        .size:           2
        .value_kind:     hidden_group_size_z
      - .offset:         74
        .size:           2
        .value_kind:     hidden_remainder_x
      - .offset:         76
        .size:           2
        .value_kind:     hidden_remainder_y
      - .offset:         78
        .size:           2
        .value_kind:     hidden_remainder_z
      - .offset:         96
        .size:           8
        .value_kind:     hidden_global_offset_x
      - .offset:         104
        .size:           8
        .value_kind:     hidden_global_offset_y
      - .offset:         112
        .size:           8
        .value_kind:     hidden_global_offset_z
      - .offset:         120
        .size:           2
        .value_kind:     hidden_grid_dims
    .group_segment_fixed_size: 0
    .kernarg_segment_align: 8
    .kernarg_segment_size: 312
    .language:       OpenCL C
    .language_version:
      - 2
      - 0
    .max_flat_workgroup_size: 512
    .name:           _ZN7rocprim17ROCPRIM_400000_NS6detail17trampoline_kernelINS0_14default_configENS1_25transform_config_selectorIjLb0EEEZNS1_14transform_implILb0ES3_S5_NS0_18transform_iteratorINS0_17counting_iteratorImlEEZNS1_24adjacent_difference_implIS3_Lb1ELb0EPjSB_N6thrust23THRUST_200600_302600_NS5minusIjEEEE10hipError_tPvRmT2_T3_mT4_P12ihipStream_tbEUlmE_jEESB_NS0_8identityIvEEEESG_SJ_SK_mSL_SN_bEUlT_E_NS1_11comp_targetILNS1_3genE5ELNS1_11target_archE942ELNS1_3gpuE9ELNS1_3repE0EEENS1_30default_config_static_selectorELNS0_4arch9wavefront6targetE1EEEvT1_
    .private_segment_fixed_size: 0
    .sgpr_count:     28
    .sgpr_spill_count: 0
    .symbol:         _ZN7rocprim17ROCPRIM_400000_NS6detail17trampoline_kernelINS0_14default_configENS1_25transform_config_selectorIjLb0EEEZNS1_14transform_implILb0ES3_S5_NS0_18transform_iteratorINS0_17counting_iteratorImlEEZNS1_24adjacent_difference_implIS3_Lb1ELb0EPjSB_N6thrust23THRUST_200600_302600_NS5minusIjEEEE10hipError_tPvRmT2_T3_mT4_P12ihipStream_tbEUlmE_jEESB_NS0_8identityIvEEEESG_SJ_SK_mSL_SN_bEUlT_E_NS1_11comp_targetILNS1_3genE5ELNS1_11target_archE942ELNS1_3gpuE9ELNS1_3repE0EEENS1_30default_config_static_selectorELNS0_4arch9wavefront6targetE1EEEvT1_.kd
    .uniform_work_group_size: 1
    .uses_dynamic_stack: false
    .vgpr_count:     13
    .vgpr_spill_count: 0
    .wavefront_size: 64
  - .agpr_count:     0
    .args:
      - .offset:         0
        .size:           56
        .value_kind:     by_value
    .group_segment_fixed_size: 0
    .kernarg_segment_align: 8
    .kernarg_segment_size: 56
    .language:       OpenCL C
    .language_version:
      - 2
      - 0
    .max_flat_workgroup_size: 1024
    .name:           _ZN7rocprim17ROCPRIM_400000_NS6detail17trampoline_kernelINS0_14default_configENS1_25transform_config_selectorIjLb0EEEZNS1_14transform_implILb0ES3_S5_NS0_18transform_iteratorINS0_17counting_iteratorImlEEZNS1_24adjacent_difference_implIS3_Lb1ELb0EPjSB_N6thrust23THRUST_200600_302600_NS5minusIjEEEE10hipError_tPvRmT2_T3_mT4_P12ihipStream_tbEUlmE_jEESB_NS0_8identityIvEEEESG_SJ_SK_mSL_SN_bEUlT_E_NS1_11comp_targetILNS1_3genE4ELNS1_11target_archE910ELNS1_3gpuE8ELNS1_3repE0EEENS1_30default_config_static_selectorELNS0_4arch9wavefront6targetE1EEEvT1_
    .private_segment_fixed_size: 0
    .sgpr_count:     6
    .sgpr_spill_count: 0
    .symbol:         _ZN7rocprim17ROCPRIM_400000_NS6detail17trampoline_kernelINS0_14default_configENS1_25transform_config_selectorIjLb0EEEZNS1_14transform_implILb0ES3_S5_NS0_18transform_iteratorINS0_17counting_iteratorImlEEZNS1_24adjacent_difference_implIS3_Lb1ELb0EPjSB_N6thrust23THRUST_200600_302600_NS5minusIjEEEE10hipError_tPvRmT2_T3_mT4_P12ihipStream_tbEUlmE_jEESB_NS0_8identityIvEEEESG_SJ_SK_mSL_SN_bEUlT_E_NS1_11comp_targetILNS1_3genE4ELNS1_11target_archE910ELNS1_3gpuE8ELNS1_3repE0EEENS1_30default_config_static_selectorELNS0_4arch9wavefront6targetE1EEEvT1_.kd
    .uniform_work_group_size: 1
    .uses_dynamic_stack: false
    .vgpr_count:     0
    .vgpr_spill_count: 0
    .wavefront_size: 64
  - .agpr_count:     0
    .args:
      - .offset:         0
        .size:           56
        .value_kind:     by_value
    .group_segment_fixed_size: 0
    .kernarg_segment_align: 8
    .kernarg_segment_size: 56
    .language:       OpenCL C
    .language_version:
      - 2
      - 0
    .max_flat_workgroup_size: 128
    .name:           _ZN7rocprim17ROCPRIM_400000_NS6detail17trampoline_kernelINS0_14default_configENS1_25transform_config_selectorIjLb0EEEZNS1_14transform_implILb0ES3_S5_NS0_18transform_iteratorINS0_17counting_iteratorImlEEZNS1_24adjacent_difference_implIS3_Lb1ELb0EPjSB_N6thrust23THRUST_200600_302600_NS5minusIjEEEE10hipError_tPvRmT2_T3_mT4_P12ihipStream_tbEUlmE_jEESB_NS0_8identityIvEEEESG_SJ_SK_mSL_SN_bEUlT_E_NS1_11comp_targetILNS1_3genE3ELNS1_11target_archE908ELNS1_3gpuE7ELNS1_3repE0EEENS1_30default_config_static_selectorELNS0_4arch9wavefront6targetE1EEEvT1_
    .private_segment_fixed_size: 0
    .sgpr_count:     6
    .sgpr_spill_count: 0
    .symbol:         _ZN7rocprim17ROCPRIM_400000_NS6detail17trampoline_kernelINS0_14default_configENS1_25transform_config_selectorIjLb0EEEZNS1_14transform_implILb0ES3_S5_NS0_18transform_iteratorINS0_17counting_iteratorImlEEZNS1_24adjacent_difference_implIS3_Lb1ELb0EPjSB_N6thrust23THRUST_200600_302600_NS5minusIjEEEE10hipError_tPvRmT2_T3_mT4_P12ihipStream_tbEUlmE_jEESB_NS0_8identityIvEEEESG_SJ_SK_mSL_SN_bEUlT_E_NS1_11comp_targetILNS1_3genE3ELNS1_11target_archE908ELNS1_3gpuE7ELNS1_3repE0EEENS1_30default_config_static_selectorELNS0_4arch9wavefront6targetE1EEEvT1_.kd
    .uniform_work_group_size: 1
    .uses_dynamic_stack: false
    .vgpr_count:     0
    .vgpr_spill_count: 0
    .wavefront_size: 64
  - .agpr_count:     0
    .args:
      - .offset:         0
        .size:           56
        .value_kind:     by_value
    .group_segment_fixed_size: 0
    .kernarg_segment_align: 8
    .kernarg_segment_size: 56
    .language:       OpenCL C
    .language_version:
      - 2
      - 0
    .max_flat_workgroup_size: 1024
    .name:           _ZN7rocprim17ROCPRIM_400000_NS6detail17trampoline_kernelINS0_14default_configENS1_25transform_config_selectorIjLb0EEEZNS1_14transform_implILb0ES3_S5_NS0_18transform_iteratorINS0_17counting_iteratorImlEEZNS1_24adjacent_difference_implIS3_Lb1ELb0EPjSB_N6thrust23THRUST_200600_302600_NS5minusIjEEEE10hipError_tPvRmT2_T3_mT4_P12ihipStream_tbEUlmE_jEESB_NS0_8identityIvEEEESG_SJ_SK_mSL_SN_bEUlT_E_NS1_11comp_targetILNS1_3genE2ELNS1_11target_archE906ELNS1_3gpuE6ELNS1_3repE0EEENS1_30default_config_static_selectorELNS0_4arch9wavefront6targetE1EEEvT1_
    .private_segment_fixed_size: 0
    .sgpr_count:     6
    .sgpr_spill_count: 0
    .symbol:         _ZN7rocprim17ROCPRIM_400000_NS6detail17trampoline_kernelINS0_14default_configENS1_25transform_config_selectorIjLb0EEEZNS1_14transform_implILb0ES3_S5_NS0_18transform_iteratorINS0_17counting_iteratorImlEEZNS1_24adjacent_difference_implIS3_Lb1ELb0EPjSB_N6thrust23THRUST_200600_302600_NS5minusIjEEEE10hipError_tPvRmT2_T3_mT4_P12ihipStream_tbEUlmE_jEESB_NS0_8identityIvEEEESG_SJ_SK_mSL_SN_bEUlT_E_NS1_11comp_targetILNS1_3genE2ELNS1_11target_archE906ELNS1_3gpuE6ELNS1_3repE0EEENS1_30default_config_static_selectorELNS0_4arch9wavefront6targetE1EEEvT1_.kd
    .uniform_work_group_size: 1
    .uses_dynamic_stack: false
    .vgpr_count:     0
    .vgpr_spill_count: 0
    .wavefront_size: 64
  - .agpr_count:     0
    .args:
      - .offset:         0
        .size:           56
        .value_kind:     by_value
    .group_segment_fixed_size: 0
    .kernarg_segment_align: 8
    .kernarg_segment_size: 56
    .language:       OpenCL C
    .language_version:
      - 2
      - 0
    .max_flat_workgroup_size: 1024
    .name:           _ZN7rocprim17ROCPRIM_400000_NS6detail17trampoline_kernelINS0_14default_configENS1_25transform_config_selectorIjLb0EEEZNS1_14transform_implILb0ES3_S5_NS0_18transform_iteratorINS0_17counting_iteratorImlEEZNS1_24adjacent_difference_implIS3_Lb1ELb0EPjSB_N6thrust23THRUST_200600_302600_NS5minusIjEEEE10hipError_tPvRmT2_T3_mT4_P12ihipStream_tbEUlmE_jEESB_NS0_8identityIvEEEESG_SJ_SK_mSL_SN_bEUlT_E_NS1_11comp_targetILNS1_3genE10ELNS1_11target_archE1201ELNS1_3gpuE5ELNS1_3repE0EEENS1_30default_config_static_selectorELNS0_4arch9wavefront6targetE1EEEvT1_
    .private_segment_fixed_size: 0
    .sgpr_count:     6
    .sgpr_spill_count: 0
    .symbol:         _ZN7rocprim17ROCPRIM_400000_NS6detail17trampoline_kernelINS0_14default_configENS1_25transform_config_selectorIjLb0EEEZNS1_14transform_implILb0ES3_S5_NS0_18transform_iteratorINS0_17counting_iteratorImlEEZNS1_24adjacent_difference_implIS3_Lb1ELb0EPjSB_N6thrust23THRUST_200600_302600_NS5minusIjEEEE10hipError_tPvRmT2_T3_mT4_P12ihipStream_tbEUlmE_jEESB_NS0_8identityIvEEEESG_SJ_SK_mSL_SN_bEUlT_E_NS1_11comp_targetILNS1_3genE10ELNS1_11target_archE1201ELNS1_3gpuE5ELNS1_3repE0EEENS1_30default_config_static_selectorELNS0_4arch9wavefront6targetE1EEEvT1_.kd
    .uniform_work_group_size: 1
    .uses_dynamic_stack: false
    .vgpr_count:     0
    .vgpr_spill_count: 0
    .wavefront_size: 64
  - .agpr_count:     0
    .args:
      - .offset:         0
        .size:           56
        .value_kind:     by_value
    .group_segment_fixed_size: 0
    .kernarg_segment_align: 8
    .kernarg_segment_size: 56
    .language:       OpenCL C
    .language_version:
      - 2
      - 0
    .max_flat_workgroup_size: 512
    .name:           _ZN7rocprim17ROCPRIM_400000_NS6detail17trampoline_kernelINS0_14default_configENS1_25transform_config_selectorIjLb0EEEZNS1_14transform_implILb0ES3_S5_NS0_18transform_iteratorINS0_17counting_iteratorImlEEZNS1_24adjacent_difference_implIS3_Lb1ELb0EPjSB_N6thrust23THRUST_200600_302600_NS5minusIjEEEE10hipError_tPvRmT2_T3_mT4_P12ihipStream_tbEUlmE_jEESB_NS0_8identityIvEEEESG_SJ_SK_mSL_SN_bEUlT_E_NS1_11comp_targetILNS1_3genE10ELNS1_11target_archE1200ELNS1_3gpuE4ELNS1_3repE0EEENS1_30default_config_static_selectorELNS0_4arch9wavefront6targetE1EEEvT1_
    .private_segment_fixed_size: 0
    .sgpr_count:     6
    .sgpr_spill_count: 0
    .symbol:         _ZN7rocprim17ROCPRIM_400000_NS6detail17trampoline_kernelINS0_14default_configENS1_25transform_config_selectorIjLb0EEEZNS1_14transform_implILb0ES3_S5_NS0_18transform_iteratorINS0_17counting_iteratorImlEEZNS1_24adjacent_difference_implIS3_Lb1ELb0EPjSB_N6thrust23THRUST_200600_302600_NS5minusIjEEEE10hipError_tPvRmT2_T3_mT4_P12ihipStream_tbEUlmE_jEESB_NS0_8identityIvEEEESG_SJ_SK_mSL_SN_bEUlT_E_NS1_11comp_targetILNS1_3genE10ELNS1_11target_archE1200ELNS1_3gpuE4ELNS1_3repE0EEENS1_30default_config_static_selectorELNS0_4arch9wavefront6targetE1EEEvT1_.kd
    .uniform_work_group_size: 1
    .uses_dynamic_stack: false
    .vgpr_count:     0
    .vgpr_spill_count: 0
    .wavefront_size: 64
  - .agpr_count:     0
    .args:
      - .offset:         0
        .size:           56
        .value_kind:     by_value
    .group_segment_fixed_size: 0
    .kernarg_segment_align: 8
    .kernarg_segment_size: 56
    .language:       OpenCL C
    .language_version:
      - 2
      - 0
    .max_flat_workgroup_size: 64
    .name:           _ZN7rocprim17ROCPRIM_400000_NS6detail17trampoline_kernelINS0_14default_configENS1_25transform_config_selectorIjLb0EEEZNS1_14transform_implILb0ES3_S5_NS0_18transform_iteratorINS0_17counting_iteratorImlEEZNS1_24adjacent_difference_implIS3_Lb1ELb0EPjSB_N6thrust23THRUST_200600_302600_NS5minusIjEEEE10hipError_tPvRmT2_T3_mT4_P12ihipStream_tbEUlmE_jEESB_NS0_8identityIvEEEESG_SJ_SK_mSL_SN_bEUlT_E_NS1_11comp_targetILNS1_3genE9ELNS1_11target_archE1100ELNS1_3gpuE3ELNS1_3repE0EEENS1_30default_config_static_selectorELNS0_4arch9wavefront6targetE1EEEvT1_
    .private_segment_fixed_size: 0
    .sgpr_count:     6
    .sgpr_spill_count: 0
    .symbol:         _ZN7rocprim17ROCPRIM_400000_NS6detail17trampoline_kernelINS0_14default_configENS1_25transform_config_selectorIjLb0EEEZNS1_14transform_implILb0ES3_S5_NS0_18transform_iteratorINS0_17counting_iteratorImlEEZNS1_24adjacent_difference_implIS3_Lb1ELb0EPjSB_N6thrust23THRUST_200600_302600_NS5minusIjEEEE10hipError_tPvRmT2_T3_mT4_P12ihipStream_tbEUlmE_jEESB_NS0_8identityIvEEEESG_SJ_SK_mSL_SN_bEUlT_E_NS1_11comp_targetILNS1_3genE9ELNS1_11target_archE1100ELNS1_3gpuE3ELNS1_3repE0EEENS1_30default_config_static_selectorELNS0_4arch9wavefront6targetE1EEEvT1_.kd
    .uniform_work_group_size: 1
    .uses_dynamic_stack: false
    .vgpr_count:     0
    .vgpr_spill_count: 0
    .wavefront_size: 64
  - .agpr_count:     0
    .args:
      - .offset:         0
        .size:           56
        .value_kind:     by_value
    .group_segment_fixed_size: 0
    .kernarg_segment_align: 8
    .kernarg_segment_size: 56
    .language:       OpenCL C
    .language_version:
      - 2
      - 0
    .max_flat_workgroup_size: 256
    .name:           _ZN7rocprim17ROCPRIM_400000_NS6detail17trampoline_kernelINS0_14default_configENS1_25transform_config_selectorIjLb0EEEZNS1_14transform_implILb0ES3_S5_NS0_18transform_iteratorINS0_17counting_iteratorImlEEZNS1_24adjacent_difference_implIS3_Lb1ELb0EPjSB_N6thrust23THRUST_200600_302600_NS5minusIjEEEE10hipError_tPvRmT2_T3_mT4_P12ihipStream_tbEUlmE_jEESB_NS0_8identityIvEEEESG_SJ_SK_mSL_SN_bEUlT_E_NS1_11comp_targetILNS1_3genE8ELNS1_11target_archE1030ELNS1_3gpuE2ELNS1_3repE0EEENS1_30default_config_static_selectorELNS0_4arch9wavefront6targetE1EEEvT1_
    .private_segment_fixed_size: 0
    .sgpr_count:     6
    .sgpr_spill_count: 0
    .symbol:         _ZN7rocprim17ROCPRIM_400000_NS6detail17trampoline_kernelINS0_14default_configENS1_25transform_config_selectorIjLb0EEEZNS1_14transform_implILb0ES3_S5_NS0_18transform_iteratorINS0_17counting_iteratorImlEEZNS1_24adjacent_difference_implIS3_Lb1ELb0EPjSB_N6thrust23THRUST_200600_302600_NS5minusIjEEEE10hipError_tPvRmT2_T3_mT4_P12ihipStream_tbEUlmE_jEESB_NS0_8identityIvEEEESG_SJ_SK_mSL_SN_bEUlT_E_NS1_11comp_targetILNS1_3genE8ELNS1_11target_archE1030ELNS1_3gpuE2ELNS1_3repE0EEENS1_30default_config_static_selectorELNS0_4arch9wavefront6targetE1EEEvT1_.kd
    .uniform_work_group_size: 1
    .uses_dynamic_stack: false
    .vgpr_count:     0
    .vgpr_spill_count: 0
    .wavefront_size: 64
  - .agpr_count:     0
    .args:
      - .offset:         0
        .size:           56
        .value_kind:     by_value
    .group_segment_fixed_size: 0
    .kernarg_segment_align: 8
    .kernarg_segment_size: 56
    .language:       OpenCL C
    .language_version:
      - 2
      - 0
    .max_flat_workgroup_size: 1024
    .name:           _ZN7rocprim17ROCPRIM_400000_NS6detail17trampoline_kernelINS0_14default_configENS1_35adjacent_difference_config_selectorILb1EjEEZNS1_24adjacent_difference_implIS3_Lb1ELb0EPjS7_N6thrust23THRUST_200600_302600_NS5minusIjEEEE10hipError_tPvRmT2_T3_mT4_P12ihipStream_tbEUlT_E_NS1_11comp_targetILNS1_3genE0ELNS1_11target_archE4294967295ELNS1_3gpuE0ELNS1_3repE0EEENS1_30default_config_static_selectorELNS0_4arch9wavefront6targetE1EEEvT1_
    .private_segment_fixed_size: 0
    .sgpr_count:     6
    .sgpr_spill_count: 0
    .symbol:         _ZN7rocprim17ROCPRIM_400000_NS6detail17trampoline_kernelINS0_14default_configENS1_35adjacent_difference_config_selectorILb1EjEEZNS1_24adjacent_difference_implIS3_Lb1ELb0EPjS7_N6thrust23THRUST_200600_302600_NS5minusIjEEEE10hipError_tPvRmT2_T3_mT4_P12ihipStream_tbEUlT_E_NS1_11comp_targetILNS1_3genE0ELNS1_11target_archE4294967295ELNS1_3gpuE0ELNS1_3repE0EEENS1_30default_config_static_selectorELNS0_4arch9wavefront6targetE1EEEvT1_.kd
    .uniform_work_group_size: 1
    .uses_dynamic_stack: false
    .vgpr_count:     0
    .vgpr_spill_count: 0
    .wavefront_size: 64
  - .agpr_count:     0
    .args:
      - .offset:         0
        .size:           56
        .value_kind:     by_value
    .group_segment_fixed_size: 0
    .kernarg_segment_align: 8
    .kernarg_segment_size: 56
    .language:       OpenCL C
    .language_version:
      - 2
      - 0
    .max_flat_workgroup_size: 32
    .name:           _ZN7rocprim17ROCPRIM_400000_NS6detail17trampoline_kernelINS0_14default_configENS1_35adjacent_difference_config_selectorILb1EjEEZNS1_24adjacent_difference_implIS3_Lb1ELb0EPjS7_N6thrust23THRUST_200600_302600_NS5minusIjEEEE10hipError_tPvRmT2_T3_mT4_P12ihipStream_tbEUlT_E_NS1_11comp_targetILNS1_3genE10ELNS1_11target_archE1201ELNS1_3gpuE5ELNS1_3repE0EEENS1_30default_config_static_selectorELNS0_4arch9wavefront6targetE1EEEvT1_
    .private_segment_fixed_size: 0
    .sgpr_count:     6
    .sgpr_spill_count: 0
    .symbol:         _ZN7rocprim17ROCPRIM_400000_NS6detail17trampoline_kernelINS0_14default_configENS1_35adjacent_difference_config_selectorILb1EjEEZNS1_24adjacent_difference_implIS3_Lb1ELb0EPjS7_N6thrust23THRUST_200600_302600_NS5minusIjEEEE10hipError_tPvRmT2_T3_mT4_P12ihipStream_tbEUlT_E_NS1_11comp_targetILNS1_3genE10ELNS1_11target_archE1201ELNS1_3gpuE5ELNS1_3repE0EEENS1_30default_config_static_selectorELNS0_4arch9wavefront6targetE1EEEvT1_.kd
    .uniform_work_group_size: 1
    .uses_dynamic_stack: false
    .vgpr_count:     0
    .vgpr_spill_count: 0
    .wavefront_size: 64
  - .agpr_count:     0
    .args:
      - .offset:         0
        .size:           56
        .value_kind:     by_value
    .group_segment_fixed_size: 10240
    .kernarg_segment_align: 8
    .kernarg_segment_size: 56
    .language:       OpenCL C
    .language_version:
      - 2
      - 0
    .max_flat_workgroup_size: 512
    .name:           _ZN7rocprim17ROCPRIM_400000_NS6detail17trampoline_kernelINS0_14default_configENS1_35adjacent_difference_config_selectorILb1EjEEZNS1_24adjacent_difference_implIS3_Lb1ELb0EPjS7_N6thrust23THRUST_200600_302600_NS5minusIjEEEE10hipError_tPvRmT2_T3_mT4_P12ihipStream_tbEUlT_E_NS1_11comp_targetILNS1_3genE5ELNS1_11target_archE942ELNS1_3gpuE9ELNS1_3repE0EEENS1_30default_config_static_selectorELNS0_4arch9wavefront6targetE1EEEvT1_
    .private_segment_fixed_size: 0
    .sgpr_count:     35
    .sgpr_spill_count: 0
    .symbol:         _ZN7rocprim17ROCPRIM_400000_NS6detail17trampoline_kernelINS0_14default_configENS1_35adjacent_difference_config_selectorILb1EjEEZNS1_24adjacent_difference_implIS3_Lb1ELb0EPjS7_N6thrust23THRUST_200600_302600_NS5minusIjEEEE10hipError_tPvRmT2_T3_mT4_P12ihipStream_tbEUlT_E_NS1_11comp_targetILNS1_3genE5ELNS1_11target_archE942ELNS1_3gpuE9ELNS1_3repE0EEENS1_30default_config_static_selectorELNS0_4arch9wavefront6targetE1EEEvT1_.kd
    .uniform_work_group_size: 1
    .uses_dynamic_stack: false
    .vgpr_count:     26
    .vgpr_spill_count: 0
    .wavefront_size: 64
  - .agpr_count:     0
    .args:
      - .offset:         0
        .size:           56
        .value_kind:     by_value
    .group_segment_fixed_size: 0
    .kernarg_segment_align: 8
    .kernarg_segment_size: 56
    .language:       OpenCL C
    .language_version:
      - 2
      - 0
    .max_flat_workgroup_size: 512
    .name:           _ZN7rocprim17ROCPRIM_400000_NS6detail17trampoline_kernelINS0_14default_configENS1_35adjacent_difference_config_selectorILb1EjEEZNS1_24adjacent_difference_implIS3_Lb1ELb0EPjS7_N6thrust23THRUST_200600_302600_NS5minusIjEEEE10hipError_tPvRmT2_T3_mT4_P12ihipStream_tbEUlT_E_NS1_11comp_targetILNS1_3genE4ELNS1_11target_archE910ELNS1_3gpuE8ELNS1_3repE0EEENS1_30default_config_static_selectorELNS0_4arch9wavefront6targetE1EEEvT1_
    .private_segment_fixed_size: 0
    .sgpr_count:     6
    .sgpr_spill_count: 0
    .symbol:         _ZN7rocprim17ROCPRIM_400000_NS6detail17trampoline_kernelINS0_14default_configENS1_35adjacent_difference_config_selectorILb1EjEEZNS1_24adjacent_difference_implIS3_Lb1ELb0EPjS7_N6thrust23THRUST_200600_302600_NS5minusIjEEEE10hipError_tPvRmT2_T3_mT4_P12ihipStream_tbEUlT_E_NS1_11comp_targetILNS1_3genE4ELNS1_11target_archE910ELNS1_3gpuE8ELNS1_3repE0EEENS1_30default_config_static_selectorELNS0_4arch9wavefront6targetE1EEEvT1_.kd
    .uniform_work_group_size: 1
    .uses_dynamic_stack: false
    .vgpr_count:     0
    .vgpr_spill_count: 0
    .wavefront_size: 64
  - .agpr_count:     0
    .args:
      - .offset:         0
        .size:           56
        .value_kind:     by_value
    .group_segment_fixed_size: 0
    .kernarg_segment_align: 8
    .kernarg_segment_size: 56
    .language:       OpenCL C
    .language_version:
      - 2
      - 0
    .max_flat_workgroup_size: 1024
    .name:           _ZN7rocprim17ROCPRIM_400000_NS6detail17trampoline_kernelINS0_14default_configENS1_35adjacent_difference_config_selectorILb1EjEEZNS1_24adjacent_difference_implIS3_Lb1ELb0EPjS7_N6thrust23THRUST_200600_302600_NS5minusIjEEEE10hipError_tPvRmT2_T3_mT4_P12ihipStream_tbEUlT_E_NS1_11comp_targetILNS1_3genE3ELNS1_11target_archE908ELNS1_3gpuE7ELNS1_3repE0EEENS1_30default_config_static_selectorELNS0_4arch9wavefront6targetE1EEEvT1_
    .private_segment_fixed_size: 0
    .sgpr_count:     6
    .sgpr_spill_count: 0
    .symbol:         _ZN7rocprim17ROCPRIM_400000_NS6detail17trampoline_kernelINS0_14default_configENS1_35adjacent_difference_config_selectorILb1EjEEZNS1_24adjacent_difference_implIS3_Lb1ELb0EPjS7_N6thrust23THRUST_200600_302600_NS5minusIjEEEE10hipError_tPvRmT2_T3_mT4_P12ihipStream_tbEUlT_E_NS1_11comp_targetILNS1_3genE3ELNS1_11target_archE908ELNS1_3gpuE7ELNS1_3repE0EEENS1_30default_config_static_selectorELNS0_4arch9wavefront6targetE1EEEvT1_.kd
    .uniform_work_group_size: 1
    .uses_dynamic_stack: false
    .vgpr_count:     0
    .vgpr_spill_count: 0
    .wavefront_size: 64
  - .agpr_count:     0
    .args:
      - .offset:         0
        .size:           56
        .value_kind:     by_value
    .group_segment_fixed_size: 0
    .kernarg_segment_align: 8
    .kernarg_segment_size: 56
    .language:       OpenCL C
    .language_version:
      - 2
      - 0
    .max_flat_workgroup_size: 256
    .name:           _ZN7rocprim17ROCPRIM_400000_NS6detail17trampoline_kernelINS0_14default_configENS1_35adjacent_difference_config_selectorILb1EjEEZNS1_24adjacent_difference_implIS3_Lb1ELb0EPjS7_N6thrust23THRUST_200600_302600_NS5minusIjEEEE10hipError_tPvRmT2_T3_mT4_P12ihipStream_tbEUlT_E_NS1_11comp_targetILNS1_3genE2ELNS1_11target_archE906ELNS1_3gpuE6ELNS1_3repE0EEENS1_30default_config_static_selectorELNS0_4arch9wavefront6targetE1EEEvT1_
    .private_segment_fixed_size: 0
    .sgpr_count:     6
    .sgpr_spill_count: 0
    .symbol:         _ZN7rocprim17ROCPRIM_400000_NS6detail17trampoline_kernelINS0_14default_configENS1_35adjacent_difference_config_selectorILb1EjEEZNS1_24adjacent_difference_implIS3_Lb1ELb0EPjS7_N6thrust23THRUST_200600_302600_NS5minusIjEEEE10hipError_tPvRmT2_T3_mT4_P12ihipStream_tbEUlT_E_NS1_11comp_targetILNS1_3genE2ELNS1_11target_archE906ELNS1_3gpuE6ELNS1_3repE0EEENS1_30default_config_static_selectorELNS0_4arch9wavefront6targetE1EEEvT1_.kd
    .uniform_work_group_size: 1
    .uses_dynamic_stack: false
    .vgpr_count:     0
    .vgpr_spill_count: 0
    .wavefront_size: 64
  - .agpr_count:     0
    .args:
      - .offset:         0
        .size:           56
        .value_kind:     by_value
    .group_segment_fixed_size: 0
    .kernarg_segment_align: 8
    .kernarg_segment_size: 56
    .language:       OpenCL C
    .language_version:
      - 2
      - 0
    .max_flat_workgroup_size: 128
    .name:           _ZN7rocprim17ROCPRIM_400000_NS6detail17trampoline_kernelINS0_14default_configENS1_35adjacent_difference_config_selectorILb1EjEEZNS1_24adjacent_difference_implIS3_Lb1ELb0EPjS7_N6thrust23THRUST_200600_302600_NS5minusIjEEEE10hipError_tPvRmT2_T3_mT4_P12ihipStream_tbEUlT_E_NS1_11comp_targetILNS1_3genE9ELNS1_11target_archE1100ELNS1_3gpuE3ELNS1_3repE0EEENS1_30default_config_static_selectorELNS0_4arch9wavefront6targetE1EEEvT1_
    .private_segment_fixed_size: 0
    .sgpr_count:     6
    .sgpr_spill_count: 0
    .symbol:         _ZN7rocprim17ROCPRIM_400000_NS6detail17trampoline_kernelINS0_14default_configENS1_35adjacent_difference_config_selectorILb1EjEEZNS1_24adjacent_difference_implIS3_Lb1ELb0EPjS7_N6thrust23THRUST_200600_302600_NS5minusIjEEEE10hipError_tPvRmT2_T3_mT4_P12ihipStream_tbEUlT_E_NS1_11comp_targetILNS1_3genE9ELNS1_11target_archE1100ELNS1_3gpuE3ELNS1_3repE0EEENS1_30default_config_static_selectorELNS0_4arch9wavefront6targetE1EEEvT1_.kd
    .uniform_work_group_size: 1
    .uses_dynamic_stack: false
    .vgpr_count:     0
    .vgpr_spill_count: 0
    .wavefront_size: 64
  - .agpr_count:     0
    .args:
      - .offset:         0
        .size:           56
        .value_kind:     by_value
    .group_segment_fixed_size: 0
    .kernarg_segment_align: 8
    .kernarg_segment_size: 56
    .language:       OpenCL C
    .language_version:
      - 2
      - 0
    .max_flat_workgroup_size: 32
    .name:           _ZN7rocprim17ROCPRIM_400000_NS6detail17trampoline_kernelINS0_14default_configENS1_35adjacent_difference_config_selectorILb1EjEEZNS1_24adjacent_difference_implIS3_Lb1ELb0EPjS7_N6thrust23THRUST_200600_302600_NS5minusIjEEEE10hipError_tPvRmT2_T3_mT4_P12ihipStream_tbEUlT_E_NS1_11comp_targetILNS1_3genE8ELNS1_11target_archE1030ELNS1_3gpuE2ELNS1_3repE0EEENS1_30default_config_static_selectorELNS0_4arch9wavefront6targetE1EEEvT1_
    .private_segment_fixed_size: 0
    .sgpr_count:     6
    .sgpr_spill_count: 0
    .symbol:         _ZN7rocprim17ROCPRIM_400000_NS6detail17trampoline_kernelINS0_14default_configENS1_35adjacent_difference_config_selectorILb1EjEEZNS1_24adjacent_difference_implIS3_Lb1ELb0EPjS7_N6thrust23THRUST_200600_302600_NS5minusIjEEEE10hipError_tPvRmT2_T3_mT4_P12ihipStream_tbEUlT_E_NS1_11comp_targetILNS1_3genE8ELNS1_11target_archE1030ELNS1_3gpuE2ELNS1_3repE0EEENS1_30default_config_static_selectorELNS0_4arch9wavefront6targetE1EEEvT1_.kd
    .uniform_work_group_size: 1
    .uses_dynamic_stack: false
    .vgpr_count:     0
    .vgpr_spill_count: 0
    .wavefront_size: 64
  - .agpr_count:     0
    .args:
      - .offset:         0
        .size:           56
        .value_kind:     by_value
    .group_segment_fixed_size: 0
    .kernarg_segment_align: 8
    .kernarg_segment_size: 56
    .language:       OpenCL C
    .language_version:
      - 2
      - 0
    .max_flat_workgroup_size: 128
    .name:           _ZN7rocprim17ROCPRIM_400000_NS6detail17trampoline_kernelINS0_14default_configENS1_35adjacent_difference_config_selectorILb0EjEEZNS1_24adjacent_difference_implIS3_Lb0ELb0EPjS7_N6thrust23THRUST_200600_302600_NS4plusIjEEEE10hipError_tPvRmT2_T3_mT4_P12ihipStream_tbEUlT_E_NS1_11comp_targetILNS1_3genE0ELNS1_11target_archE4294967295ELNS1_3gpuE0ELNS1_3repE0EEENS1_30default_config_static_selectorELNS0_4arch9wavefront6targetE1EEEvT1_
    .private_segment_fixed_size: 0
    .sgpr_count:     6
    .sgpr_spill_count: 0
    .symbol:         _ZN7rocprim17ROCPRIM_400000_NS6detail17trampoline_kernelINS0_14default_configENS1_35adjacent_difference_config_selectorILb0EjEEZNS1_24adjacent_difference_implIS3_Lb0ELb0EPjS7_N6thrust23THRUST_200600_302600_NS4plusIjEEEE10hipError_tPvRmT2_T3_mT4_P12ihipStream_tbEUlT_E_NS1_11comp_targetILNS1_3genE0ELNS1_11target_archE4294967295ELNS1_3gpuE0ELNS1_3repE0EEENS1_30default_config_static_selectorELNS0_4arch9wavefront6targetE1EEEvT1_.kd
    .uniform_work_group_size: 1
    .uses_dynamic_stack: false
    .vgpr_count:     0
    .vgpr_spill_count: 0
    .wavefront_size: 64
  - .agpr_count:     0
    .args:
      - .offset:         0
        .size:           56
        .value_kind:     by_value
    .group_segment_fixed_size: 0
    .kernarg_segment_align: 8
    .kernarg_segment_size: 56
    .language:       OpenCL C
    .language_version:
      - 2
      - 0
    .max_flat_workgroup_size: 128
    .name:           _ZN7rocprim17ROCPRIM_400000_NS6detail17trampoline_kernelINS0_14default_configENS1_35adjacent_difference_config_selectorILb0EjEEZNS1_24adjacent_difference_implIS3_Lb0ELb0EPjS7_N6thrust23THRUST_200600_302600_NS4plusIjEEEE10hipError_tPvRmT2_T3_mT4_P12ihipStream_tbEUlT_E_NS1_11comp_targetILNS1_3genE10ELNS1_11target_archE1201ELNS1_3gpuE5ELNS1_3repE0EEENS1_30default_config_static_selectorELNS0_4arch9wavefront6targetE1EEEvT1_
    .private_segment_fixed_size: 0
    .sgpr_count:     6
    .sgpr_spill_count: 0
    .symbol:         _ZN7rocprim17ROCPRIM_400000_NS6detail17trampoline_kernelINS0_14default_configENS1_35adjacent_difference_config_selectorILb0EjEEZNS1_24adjacent_difference_implIS3_Lb0ELb0EPjS7_N6thrust23THRUST_200600_302600_NS4plusIjEEEE10hipError_tPvRmT2_T3_mT4_P12ihipStream_tbEUlT_E_NS1_11comp_targetILNS1_3genE10ELNS1_11target_archE1201ELNS1_3gpuE5ELNS1_3repE0EEENS1_30default_config_static_selectorELNS0_4arch9wavefront6targetE1EEEvT1_.kd
    .uniform_work_group_size: 1
    .uses_dynamic_stack: false
    .vgpr_count:     0
    .vgpr_spill_count: 0
    .wavefront_size: 64
  - .agpr_count:     0
    .args:
      - .offset:         0
        .size:           56
        .value_kind:     by_value
    .group_segment_fixed_size: 7424
    .kernarg_segment_align: 8
    .kernarg_segment_size: 56
    .language:       OpenCL C
    .language_version:
      - 2
      - 0
    .max_flat_workgroup_size: 64
    .name:           _ZN7rocprim17ROCPRIM_400000_NS6detail17trampoline_kernelINS0_14default_configENS1_35adjacent_difference_config_selectorILb0EjEEZNS1_24adjacent_difference_implIS3_Lb0ELb0EPjS7_N6thrust23THRUST_200600_302600_NS4plusIjEEEE10hipError_tPvRmT2_T3_mT4_P12ihipStream_tbEUlT_E_NS1_11comp_targetILNS1_3genE5ELNS1_11target_archE942ELNS1_3gpuE9ELNS1_3repE0EEENS1_30default_config_static_selectorELNS0_4arch9wavefront6targetE1EEEvT1_
    .private_segment_fixed_size: 0
    .sgpr_count:     29
    .sgpr_spill_count: 0
    .symbol:         _ZN7rocprim17ROCPRIM_400000_NS6detail17trampoline_kernelINS0_14default_configENS1_35adjacent_difference_config_selectorILb0EjEEZNS1_24adjacent_difference_implIS3_Lb0ELb0EPjS7_N6thrust23THRUST_200600_302600_NS4plusIjEEEE10hipError_tPvRmT2_T3_mT4_P12ihipStream_tbEUlT_E_NS1_11comp_targetILNS1_3genE5ELNS1_11target_archE942ELNS1_3gpuE9ELNS1_3repE0EEENS1_30default_config_static_selectorELNS0_4arch9wavefront6targetE1EEEvT1_.kd
    .uniform_work_group_size: 1
    .uses_dynamic_stack: false
    .vgpr_count:     64
    .vgpr_spill_count: 0
    .wavefront_size: 64
  - .agpr_count:     0
    .args:
      - .offset:         0
        .size:           56
        .value_kind:     by_value
    .group_segment_fixed_size: 0
    .kernarg_segment_align: 8
    .kernarg_segment_size: 56
    .language:       OpenCL C
    .language_version:
      - 2
      - 0
    .max_flat_workgroup_size: 512
    .name:           _ZN7rocprim17ROCPRIM_400000_NS6detail17trampoline_kernelINS0_14default_configENS1_35adjacent_difference_config_selectorILb0EjEEZNS1_24adjacent_difference_implIS3_Lb0ELb0EPjS7_N6thrust23THRUST_200600_302600_NS4plusIjEEEE10hipError_tPvRmT2_T3_mT4_P12ihipStream_tbEUlT_E_NS1_11comp_targetILNS1_3genE4ELNS1_11target_archE910ELNS1_3gpuE8ELNS1_3repE0EEENS1_30default_config_static_selectorELNS0_4arch9wavefront6targetE1EEEvT1_
    .private_segment_fixed_size: 0
    .sgpr_count:     6
    .sgpr_spill_count: 0
    .symbol:         _ZN7rocprim17ROCPRIM_400000_NS6detail17trampoline_kernelINS0_14default_configENS1_35adjacent_difference_config_selectorILb0EjEEZNS1_24adjacent_difference_implIS3_Lb0ELb0EPjS7_N6thrust23THRUST_200600_302600_NS4plusIjEEEE10hipError_tPvRmT2_T3_mT4_P12ihipStream_tbEUlT_E_NS1_11comp_targetILNS1_3genE4ELNS1_11target_archE910ELNS1_3gpuE8ELNS1_3repE0EEENS1_30default_config_static_selectorELNS0_4arch9wavefront6targetE1EEEvT1_.kd
    .uniform_work_group_size: 1
    .uses_dynamic_stack: false
    .vgpr_count:     0
    .vgpr_spill_count: 0
    .wavefront_size: 64
  - .agpr_count:     0
    .args:
      - .offset:         0
        .size:           56
        .value_kind:     by_value
    .group_segment_fixed_size: 0
    .kernarg_segment_align: 8
    .kernarg_segment_size: 56
    .language:       OpenCL C
    .language_version:
      - 2
      - 0
    .max_flat_workgroup_size: 128
    .name:           _ZN7rocprim17ROCPRIM_400000_NS6detail17trampoline_kernelINS0_14default_configENS1_35adjacent_difference_config_selectorILb0EjEEZNS1_24adjacent_difference_implIS3_Lb0ELb0EPjS7_N6thrust23THRUST_200600_302600_NS4plusIjEEEE10hipError_tPvRmT2_T3_mT4_P12ihipStream_tbEUlT_E_NS1_11comp_targetILNS1_3genE3ELNS1_11target_archE908ELNS1_3gpuE7ELNS1_3repE0EEENS1_30default_config_static_selectorELNS0_4arch9wavefront6targetE1EEEvT1_
    .private_segment_fixed_size: 0
    .sgpr_count:     6
    .sgpr_spill_count: 0
    .symbol:         _ZN7rocprim17ROCPRIM_400000_NS6detail17trampoline_kernelINS0_14default_configENS1_35adjacent_difference_config_selectorILb0EjEEZNS1_24adjacent_difference_implIS3_Lb0ELb0EPjS7_N6thrust23THRUST_200600_302600_NS4plusIjEEEE10hipError_tPvRmT2_T3_mT4_P12ihipStream_tbEUlT_E_NS1_11comp_targetILNS1_3genE3ELNS1_11target_archE908ELNS1_3gpuE7ELNS1_3repE0EEENS1_30default_config_static_selectorELNS0_4arch9wavefront6targetE1EEEvT1_.kd
    .uniform_work_group_size: 1
    .uses_dynamic_stack: false
    .vgpr_count:     0
    .vgpr_spill_count: 0
    .wavefront_size: 64
  - .agpr_count:     0
    .args:
      - .offset:         0
        .size:           56
        .value_kind:     by_value
    .group_segment_fixed_size: 0
    .kernarg_segment_align: 8
    .kernarg_segment_size: 56
    .language:       OpenCL C
    .language_version:
      - 2
      - 0
    .max_flat_workgroup_size: 1024
    .name:           _ZN7rocprim17ROCPRIM_400000_NS6detail17trampoline_kernelINS0_14default_configENS1_35adjacent_difference_config_selectorILb0EjEEZNS1_24adjacent_difference_implIS3_Lb0ELb0EPjS7_N6thrust23THRUST_200600_302600_NS4plusIjEEEE10hipError_tPvRmT2_T3_mT4_P12ihipStream_tbEUlT_E_NS1_11comp_targetILNS1_3genE2ELNS1_11target_archE906ELNS1_3gpuE6ELNS1_3repE0EEENS1_30default_config_static_selectorELNS0_4arch9wavefront6targetE1EEEvT1_
    .private_segment_fixed_size: 0
    .sgpr_count:     6
    .sgpr_spill_count: 0
    .symbol:         _ZN7rocprim17ROCPRIM_400000_NS6detail17trampoline_kernelINS0_14default_configENS1_35adjacent_difference_config_selectorILb0EjEEZNS1_24adjacent_difference_implIS3_Lb0ELb0EPjS7_N6thrust23THRUST_200600_302600_NS4plusIjEEEE10hipError_tPvRmT2_T3_mT4_P12ihipStream_tbEUlT_E_NS1_11comp_targetILNS1_3genE2ELNS1_11target_archE906ELNS1_3gpuE6ELNS1_3repE0EEENS1_30default_config_static_selectorELNS0_4arch9wavefront6targetE1EEEvT1_.kd
    .uniform_work_group_size: 1
    .uses_dynamic_stack: false
    .vgpr_count:     0
    .vgpr_spill_count: 0
    .wavefront_size: 64
  - .agpr_count:     0
    .args:
      - .offset:         0
        .size:           56
        .value_kind:     by_value
    .group_segment_fixed_size: 0
    .kernarg_segment_align: 8
    .kernarg_segment_size: 56
    .language:       OpenCL C
    .language_version:
      - 2
      - 0
    .max_flat_workgroup_size: 1024
    .name:           _ZN7rocprim17ROCPRIM_400000_NS6detail17trampoline_kernelINS0_14default_configENS1_35adjacent_difference_config_selectorILb0EjEEZNS1_24adjacent_difference_implIS3_Lb0ELb0EPjS7_N6thrust23THRUST_200600_302600_NS4plusIjEEEE10hipError_tPvRmT2_T3_mT4_P12ihipStream_tbEUlT_E_NS1_11comp_targetILNS1_3genE9ELNS1_11target_archE1100ELNS1_3gpuE3ELNS1_3repE0EEENS1_30default_config_static_selectorELNS0_4arch9wavefront6targetE1EEEvT1_
    .private_segment_fixed_size: 0
    .sgpr_count:     6
    .sgpr_spill_count: 0
    .symbol:         _ZN7rocprim17ROCPRIM_400000_NS6detail17trampoline_kernelINS0_14default_configENS1_35adjacent_difference_config_selectorILb0EjEEZNS1_24adjacent_difference_implIS3_Lb0ELb0EPjS7_N6thrust23THRUST_200600_302600_NS4plusIjEEEE10hipError_tPvRmT2_T3_mT4_P12ihipStream_tbEUlT_E_NS1_11comp_targetILNS1_3genE9ELNS1_11target_archE1100ELNS1_3gpuE3ELNS1_3repE0EEENS1_30default_config_static_selectorELNS0_4arch9wavefront6targetE1EEEvT1_.kd
    .uniform_work_group_size: 1
    .uses_dynamic_stack: false
    .vgpr_count:     0
    .vgpr_spill_count: 0
    .wavefront_size: 64
  - .agpr_count:     0
    .args:
      - .offset:         0
        .size:           56
        .value_kind:     by_value
    .group_segment_fixed_size: 0
    .kernarg_segment_align: 8
    .kernarg_segment_size: 56
    .language:       OpenCL C
    .language_version:
      - 2
      - 0
    .max_flat_workgroup_size: 1024
    .name:           _ZN7rocprim17ROCPRIM_400000_NS6detail17trampoline_kernelINS0_14default_configENS1_35adjacent_difference_config_selectorILb0EjEEZNS1_24adjacent_difference_implIS3_Lb0ELb0EPjS7_N6thrust23THRUST_200600_302600_NS4plusIjEEEE10hipError_tPvRmT2_T3_mT4_P12ihipStream_tbEUlT_E_NS1_11comp_targetILNS1_3genE8ELNS1_11target_archE1030ELNS1_3gpuE2ELNS1_3repE0EEENS1_30default_config_static_selectorELNS0_4arch9wavefront6targetE1EEEvT1_
    .private_segment_fixed_size: 0
    .sgpr_count:     6
    .sgpr_spill_count: 0
    .symbol:         _ZN7rocprim17ROCPRIM_400000_NS6detail17trampoline_kernelINS0_14default_configENS1_35adjacent_difference_config_selectorILb0EjEEZNS1_24adjacent_difference_implIS3_Lb0ELb0EPjS7_N6thrust23THRUST_200600_302600_NS4plusIjEEEE10hipError_tPvRmT2_T3_mT4_P12ihipStream_tbEUlT_E_NS1_11comp_targetILNS1_3genE8ELNS1_11target_archE1030ELNS1_3gpuE2ELNS1_3repE0EEENS1_30default_config_static_selectorELNS0_4arch9wavefront6targetE1EEEvT1_.kd
    .uniform_work_group_size: 1
    .uses_dynamic_stack: false
    .vgpr_count:     0
    .vgpr_spill_count: 0
    .wavefront_size: 64
  - .agpr_count:     0
    .args:
      - .offset:         0
        .size:           56
        .value_kind:     by_value
    .group_segment_fixed_size: 0
    .kernarg_segment_align: 8
    .kernarg_segment_size: 56
    .language:       OpenCL C
    .language_version:
      - 2
      - 0
    .max_flat_workgroup_size: 128
    .name:           _ZN7rocprim17ROCPRIM_400000_NS6detail17trampoline_kernelINS0_14default_configENS1_25transform_config_selectorIjLb0EEEZNS1_14transform_implILb0ES3_S5_NS0_18transform_iteratorINS0_17counting_iteratorImlEEZNS1_24adjacent_difference_implIS3_Lb1ELb0EPjSB_N6thrust23THRUST_200600_302600_NS4plusIjEEEE10hipError_tPvRmT2_T3_mT4_P12ihipStream_tbEUlmE_jEESB_NS0_8identityIvEEEESG_SJ_SK_mSL_SN_bEUlT_E_NS1_11comp_targetILNS1_3genE0ELNS1_11target_archE4294967295ELNS1_3gpuE0ELNS1_3repE0EEENS1_30default_config_static_selectorELNS0_4arch9wavefront6targetE1EEEvT1_
    .private_segment_fixed_size: 0
    .sgpr_count:     6
    .sgpr_spill_count: 0
    .symbol:         _ZN7rocprim17ROCPRIM_400000_NS6detail17trampoline_kernelINS0_14default_configENS1_25transform_config_selectorIjLb0EEEZNS1_14transform_implILb0ES3_S5_NS0_18transform_iteratorINS0_17counting_iteratorImlEEZNS1_24adjacent_difference_implIS3_Lb1ELb0EPjSB_N6thrust23THRUST_200600_302600_NS4plusIjEEEE10hipError_tPvRmT2_T3_mT4_P12ihipStream_tbEUlmE_jEESB_NS0_8identityIvEEEESG_SJ_SK_mSL_SN_bEUlT_E_NS1_11comp_targetILNS1_3genE0ELNS1_11target_archE4294967295ELNS1_3gpuE0ELNS1_3repE0EEENS1_30default_config_static_selectorELNS0_4arch9wavefront6targetE1EEEvT1_.kd
    .uniform_work_group_size: 1
    .uses_dynamic_stack: false
    .vgpr_count:     0
    .vgpr_spill_count: 0
    .wavefront_size: 64
  - .agpr_count:     0
    .args:
      - .offset:         0
        .size:           56
        .value_kind:     by_value
      - .offset:         56
        .size:           4
        .value_kind:     hidden_block_count_x
      - .offset:         60
        .size:           4
        .value_kind:     hidden_block_count_y
      - .offset:         64
        .size:           4
        .value_kind:     hidden_block_count_z
      - .offset:         68
        .size:           2
        .value_kind:     hidden_group_size_x
      - .offset:         70
        .size:           2
        .value_kind:     hidden_group_size_y
      - .offset:         72
        .size:           2
        .value_kind:     hidden_group_size_z
      - .offset:         74
        .size:           2
        .value_kind:     hidden_remainder_x
      - .offset:         76
        .size:           2
        .value_kind:     hidden_remainder_y
      - .offset:         78
        .size:           2
        .value_kind:     hidden_remainder_z
      - .offset:         96
        .size:           8
        .value_kind:     hidden_global_offset_x
      - .offset:         104
        .size:           8
        .value_kind:     hidden_global_offset_y
      - .offset:         112
        .size:           8
        .value_kind:     hidden_global_offset_z
      - .offset:         120
        .size:           2
        .value_kind:     hidden_grid_dims
    .group_segment_fixed_size: 0
    .kernarg_segment_align: 8
    .kernarg_segment_size: 312
    .language:       OpenCL C
    .language_version:
      - 2
      - 0
    .max_flat_workgroup_size: 512
    .name:           _ZN7rocprim17ROCPRIM_400000_NS6detail17trampoline_kernelINS0_14default_configENS1_25transform_config_selectorIjLb0EEEZNS1_14transform_implILb0ES3_S5_NS0_18transform_iteratorINS0_17counting_iteratorImlEEZNS1_24adjacent_difference_implIS3_Lb1ELb0EPjSB_N6thrust23THRUST_200600_302600_NS4plusIjEEEE10hipError_tPvRmT2_T3_mT4_P12ihipStream_tbEUlmE_jEESB_NS0_8identityIvEEEESG_SJ_SK_mSL_SN_bEUlT_E_NS1_11comp_targetILNS1_3genE5ELNS1_11target_archE942ELNS1_3gpuE9ELNS1_3repE0EEENS1_30default_config_static_selectorELNS0_4arch9wavefront6targetE1EEEvT1_
    .private_segment_fixed_size: 0
    .sgpr_count:     28
    .sgpr_spill_count: 0
    .symbol:         _ZN7rocprim17ROCPRIM_400000_NS6detail17trampoline_kernelINS0_14default_configENS1_25transform_config_selectorIjLb0EEEZNS1_14transform_implILb0ES3_S5_NS0_18transform_iteratorINS0_17counting_iteratorImlEEZNS1_24adjacent_difference_implIS3_Lb1ELb0EPjSB_N6thrust23THRUST_200600_302600_NS4plusIjEEEE10hipError_tPvRmT2_T3_mT4_P12ihipStream_tbEUlmE_jEESB_NS0_8identityIvEEEESG_SJ_SK_mSL_SN_bEUlT_E_NS1_11comp_targetILNS1_3genE5ELNS1_11target_archE942ELNS1_3gpuE9ELNS1_3repE0EEENS1_30default_config_static_selectorELNS0_4arch9wavefront6targetE1EEEvT1_.kd
    .uniform_work_group_size: 1
    .uses_dynamic_stack: false
    .vgpr_count:     13
    .vgpr_spill_count: 0
    .wavefront_size: 64
  - .agpr_count:     0
    .args:
      - .offset:         0
        .size:           56
        .value_kind:     by_value
    .group_segment_fixed_size: 0
    .kernarg_segment_align: 8
    .kernarg_segment_size: 56
    .language:       OpenCL C
    .language_version:
      - 2
      - 0
    .max_flat_workgroup_size: 1024
    .name:           _ZN7rocprim17ROCPRIM_400000_NS6detail17trampoline_kernelINS0_14default_configENS1_25transform_config_selectorIjLb0EEEZNS1_14transform_implILb0ES3_S5_NS0_18transform_iteratorINS0_17counting_iteratorImlEEZNS1_24adjacent_difference_implIS3_Lb1ELb0EPjSB_N6thrust23THRUST_200600_302600_NS4plusIjEEEE10hipError_tPvRmT2_T3_mT4_P12ihipStream_tbEUlmE_jEESB_NS0_8identityIvEEEESG_SJ_SK_mSL_SN_bEUlT_E_NS1_11comp_targetILNS1_3genE4ELNS1_11target_archE910ELNS1_3gpuE8ELNS1_3repE0EEENS1_30default_config_static_selectorELNS0_4arch9wavefront6targetE1EEEvT1_
    .private_segment_fixed_size: 0
    .sgpr_count:     6
    .sgpr_spill_count: 0
    .symbol:         _ZN7rocprim17ROCPRIM_400000_NS6detail17trampoline_kernelINS0_14default_configENS1_25transform_config_selectorIjLb0EEEZNS1_14transform_implILb0ES3_S5_NS0_18transform_iteratorINS0_17counting_iteratorImlEEZNS1_24adjacent_difference_implIS3_Lb1ELb0EPjSB_N6thrust23THRUST_200600_302600_NS4plusIjEEEE10hipError_tPvRmT2_T3_mT4_P12ihipStream_tbEUlmE_jEESB_NS0_8identityIvEEEESG_SJ_SK_mSL_SN_bEUlT_E_NS1_11comp_targetILNS1_3genE4ELNS1_11target_archE910ELNS1_3gpuE8ELNS1_3repE0EEENS1_30default_config_static_selectorELNS0_4arch9wavefront6targetE1EEEvT1_.kd
    .uniform_work_group_size: 1
    .uses_dynamic_stack: false
    .vgpr_count:     0
    .vgpr_spill_count: 0
    .wavefront_size: 64
  - .agpr_count:     0
    .args:
      - .offset:         0
        .size:           56
        .value_kind:     by_value
    .group_segment_fixed_size: 0
    .kernarg_segment_align: 8
    .kernarg_segment_size: 56
    .language:       OpenCL C
    .language_version:
      - 2
      - 0
    .max_flat_workgroup_size: 128
    .name:           _ZN7rocprim17ROCPRIM_400000_NS6detail17trampoline_kernelINS0_14default_configENS1_25transform_config_selectorIjLb0EEEZNS1_14transform_implILb0ES3_S5_NS0_18transform_iteratorINS0_17counting_iteratorImlEEZNS1_24adjacent_difference_implIS3_Lb1ELb0EPjSB_N6thrust23THRUST_200600_302600_NS4plusIjEEEE10hipError_tPvRmT2_T3_mT4_P12ihipStream_tbEUlmE_jEESB_NS0_8identityIvEEEESG_SJ_SK_mSL_SN_bEUlT_E_NS1_11comp_targetILNS1_3genE3ELNS1_11target_archE908ELNS1_3gpuE7ELNS1_3repE0EEENS1_30default_config_static_selectorELNS0_4arch9wavefront6targetE1EEEvT1_
    .private_segment_fixed_size: 0
    .sgpr_count:     6
    .sgpr_spill_count: 0
    .symbol:         _ZN7rocprim17ROCPRIM_400000_NS6detail17trampoline_kernelINS0_14default_configENS1_25transform_config_selectorIjLb0EEEZNS1_14transform_implILb0ES3_S5_NS0_18transform_iteratorINS0_17counting_iteratorImlEEZNS1_24adjacent_difference_implIS3_Lb1ELb0EPjSB_N6thrust23THRUST_200600_302600_NS4plusIjEEEE10hipError_tPvRmT2_T3_mT4_P12ihipStream_tbEUlmE_jEESB_NS0_8identityIvEEEESG_SJ_SK_mSL_SN_bEUlT_E_NS1_11comp_targetILNS1_3genE3ELNS1_11target_archE908ELNS1_3gpuE7ELNS1_3repE0EEENS1_30default_config_static_selectorELNS0_4arch9wavefront6targetE1EEEvT1_.kd
    .uniform_work_group_size: 1
    .uses_dynamic_stack: false
    .vgpr_count:     0
    .vgpr_spill_count: 0
    .wavefront_size: 64
  - .agpr_count:     0
    .args:
      - .offset:         0
        .size:           56
        .value_kind:     by_value
    .group_segment_fixed_size: 0
    .kernarg_segment_align: 8
    .kernarg_segment_size: 56
    .language:       OpenCL C
    .language_version:
      - 2
      - 0
    .max_flat_workgroup_size: 1024
    .name:           _ZN7rocprim17ROCPRIM_400000_NS6detail17trampoline_kernelINS0_14default_configENS1_25transform_config_selectorIjLb0EEEZNS1_14transform_implILb0ES3_S5_NS0_18transform_iteratorINS0_17counting_iteratorImlEEZNS1_24adjacent_difference_implIS3_Lb1ELb0EPjSB_N6thrust23THRUST_200600_302600_NS4plusIjEEEE10hipError_tPvRmT2_T3_mT4_P12ihipStream_tbEUlmE_jEESB_NS0_8identityIvEEEESG_SJ_SK_mSL_SN_bEUlT_E_NS1_11comp_targetILNS1_3genE2ELNS1_11target_archE906ELNS1_3gpuE6ELNS1_3repE0EEENS1_30default_config_static_selectorELNS0_4arch9wavefront6targetE1EEEvT1_
    .private_segment_fixed_size: 0
    .sgpr_count:     6
    .sgpr_spill_count: 0
    .symbol:         _ZN7rocprim17ROCPRIM_400000_NS6detail17trampoline_kernelINS0_14default_configENS1_25transform_config_selectorIjLb0EEEZNS1_14transform_implILb0ES3_S5_NS0_18transform_iteratorINS0_17counting_iteratorImlEEZNS1_24adjacent_difference_implIS3_Lb1ELb0EPjSB_N6thrust23THRUST_200600_302600_NS4plusIjEEEE10hipError_tPvRmT2_T3_mT4_P12ihipStream_tbEUlmE_jEESB_NS0_8identityIvEEEESG_SJ_SK_mSL_SN_bEUlT_E_NS1_11comp_targetILNS1_3genE2ELNS1_11target_archE906ELNS1_3gpuE6ELNS1_3repE0EEENS1_30default_config_static_selectorELNS0_4arch9wavefront6targetE1EEEvT1_.kd
    .uniform_work_group_size: 1
    .uses_dynamic_stack: false
    .vgpr_count:     0
    .vgpr_spill_count: 0
    .wavefront_size: 64
  - .agpr_count:     0
    .args:
      - .offset:         0
        .size:           56
        .value_kind:     by_value
    .group_segment_fixed_size: 0
    .kernarg_segment_align: 8
    .kernarg_segment_size: 56
    .language:       OpenCL C
    .language_version:
      - 2
      - 0
    .max_flat_workgroup_size: 1024
    .name:           _ZN7rocprim17ROCPRIM_400000_NS6detail17trampoline_kernelINS0_14default_configENS1_25transform_config_selectorIjLb0EEEZNS1_14transform_implILb0ES3_S5_NS0_18transform_iteratorINS0_17counting_iteratorImlEEZNS1_24adjacent_difference_implIS3_Lb1ELb0EPjSB_N6thrust23THRUST_200600_302600_NS4plusIjEEEE10hipError_tPvRmT2_T3_mT4_P12ihipStream_tbEUlmE_jEESB_NS0_8identityIvEEEESG_SJ_SK_mSL_SN_bEUlT_E_NS1_11comp_targetILNS1_3genE10ELNS1_11target_archE1201ELNS1_3gpuE5ELNS1_3repE0EEENS1_30default_config_static_selectorELNS0_4arch9wavefront6targetE1EEEvT1_
    .private_segment_fixed_size: 0
    .sgpr_count:     6
    .sgpr_spill_count: 0
    .symbol:         _ZN7rocprim17ROCPRIM_400000_NS6detail17trampoline_kernelINS0_14default_configENS1_25transform_config_selectorIjLb0EEEZNS1_14transform_implILb0ES3_S5_NS0_18transform_iteratorINS0_17counting_iteratorImlEEZNS1_24adjacent_difference_implIS3_Lb1ELb0EPjSB_N6thrust23THRUST_200600_302600_NS4plusIjEEEE10hipError_tPvRmT2_T3_mT4_P12ihipStream_tbEUlmE_jEESB_NS0_8identityIvEEEESG_SJ_SK_mSL_SN_bEUlT_E_NS1_11comp_targetILNS1_3genE10ELNS1_11target_archE1201ELNS1_3gpuE5ELNS1_3repE0EEENS1_30default_config_static_selectorELNS0_4arch9wavefront6targetE1EEEvT1_.kd
    .uniform_work_group_size: 1
    .uses_dynamic_stack: false
    .vgpr_count:     0
    .vgpr_spill_count: 0
    .wavefront_size: 64
  - .agpr_count:     0
    .args:
      - .offset:         0
        .size:           56
        .value_kind:     by_value
    .group_segment_fixed_size: 0
    .kernarg_segment_align: 8
    .kernarg_segment_size: 56
    .language:       OpenCL C
    .language_version:
      - 2
      - 0
    .max_flat_workgroup_size: 512
    .name:           _ZN7rocprim17ROCPRIM_400000_NS6detail17trampoline_kernelINS0_14default_configENS1_25transform_config_selectorIjLb0EEEZNS1_14transform_implILb0ES3_S5_NS0_18transform_iteratorINS0_17counting_iteratorImlEEZNS1_24adjacent_difference_implIS3_Lb1ELb0EPjSB_N6thrust23THRUST_200600_302600_NS4plusIjEEEE10hipError_tPvRmT2_T3_mT4_P12ihipStream_tbEUlmE_jEESB_NS0_8identityIvEEEESG_SJ_SK_mSL_SN_bEUlT_E_NS1_11comp_targetILNS1_3genE10ELNS1_11target_archE1200ELNS1_3gpuE4ELNS1_3repE0EEENS1_30default_config_static_selectorELNS0_4arch9wavefront6targetE1EEEvT1_
    .private_segment_fixed_size: 0
    .sgpr_count:     6
    .sgpr_spill_count: 0
    .symbol:         _ZN7rocprim17ROCPRIM_400000_NS6detail17trampoline_kernelINS0_14default_configENS1_25transform_config_selectorIjLb0EEEZNS1_14transform_implILb0ES3_S5_NS0_18transform_iteratorINS0_17counting_iteratorImlEEZNS1_24adjacent_difference_implIS3_Lb1ELb0EPjSB_N6thrust23THRUST_200600_302600_NS4plusIjEEEE10hipError_tPvRmT2_T3_mT4_P12ihipStream_tbEUlmE_jEESB_NS0_8identityIvEEEESG_SJ_SK_mSL_SN_bEUlT_E_NS1_11comp_targetILNS1_3genE10ELNS1_11target_archE1200ELNS1_3gpuE4ELNS1_3repE0EEENS1_30default_config_static_selectorELNS0_4arch9wavefront6targetE1EEEvT1_.kd
    .uniform_work_group_size: 1
    .uses_dynamic_stack: false
    .vgpr_count:     0
    .vgpr_spill_count: 0
    .wavefront_size: 64
  - .agpr_count:     0
    .args:
      - .offset:         0
        .size:           56
        .value_kind:     by_value
    .group_segment_fixed_size: 0
    .kernarg_segment_align: 8
    .kernarg_segment_size: 56
    .language:       OpenCL C
    .language_version:
      - 2
      - 0
    .max_flat_workgroup_size: 64
    .name:           _ZN7rocprim17ROCPRIM_400000_NS6detail17trampoline_kernelINS0_14default_configENS1_25transform_config_selectorIjLb0EEEZNS1_14transform_implILb0ES3_S5_NS0_18transform_iteratorINS0_17counting_iteratorImlEEZNS1_24adjacent_difference_implIS3_Lb1ELb0EPjSB_N6thrust23THRUST_200600_302600_NS4plusIjEEEE10hipError_tPvRmT2_T3_mT4_P12ihipStream_tbEUlmE_jEESB_NS0_8identityIvEEEESG_SJ_SK_mSL_SN_bEUlT_E_NS1_11comp_targetILNS1_3genE9ELNS1_11target_archE1100ELNS1_3gpuE3ELNS1_3repE0EEENS1_30default_config_static_selectorELNS0_4arch9wavefront6targetE1EEEvT1_
    .private_segment_fixed_size: 0
    .sgpr_count:     6
    .sgpr_spill_count: 0
    .symbol:         _ZN7rocprim17ROCPRIM_400000_NS6detail17trampoline_kernelINS0_14default_configENS1_25transform_config_selectorIjLb0EEEZNS1_14transform_implILb0ES3_S5_NS0_18transform_iteratorINS0_17counting_iteratorImlEEZNS1_24adjacent_difference_implIS3_Lb1ELb0EPjSB_N6thrust23THRUST_200600_302600_NS4plusIjEEEE10hipError_tPvRmT2_T3_mT4_P12ihipStream_tbEUlmE_jEESB_NS0_8identityIvEEEESG_SJ_SK_mSL_SN_bEUlT_E_NS1_11comp_targetILNS1_3genE9ELNS1_11target_archE1100ELNS1_3gpuE3ELNS1_3repE0EEENS1_30default_config_static_selectorELNS0_4arch9wavefront6targetE1EEEvT1_.kd
    .uniform_work_group_size: 1
    .uses_dynamic_stack: false
    .vgpr_count:     0
    .vgpr_spill_count: 0
    .wavefront_size: 64
  - .agpr_count:     0
    .args:
      - .offset:         0
        .size:           56
        .value_kind:     by_value
    .group_segment_fixed_size: 0
    .kernarg_segment_align: 8
    .kernarg_segment_size: 56
    .language:       OpenCL C
    .language_version:
      - 2
      - 0
    .max_flat_workgroup_size: 256
    .name:           _ZN7rocprim17ROCPRIM_400000_NS6detail17trampoline_kernelINS0_14default_configENS1_25transform_config_selectorIjLb0EEEZNS1_14transform_implILb0ES3_S5_NS0_18transform_iteratorINS0_17counting_iteratorImlEEZNS1_24adjacent_difference_implIS3_Lb1ELb0EPjSB_N6thrust23THRUST_200600_302600_NS4plusIjEEEE10hipError_tPvRmT2_T3_mT4_P12ihipStream_tbEUlmE_jEESB_NS0_8identityIvEEEESG_SJ_SK_mSL_SN_bEUlT_E_NS1_11comp_targetILNS1_3genE8ELNS1_11target_archE1030ELNS1_3gpuE2ELNS1_3repE0EEENS1_30default_config_static_selectorELNS0_4arch9wavefront6targetE1EEEvT1_
    .private_segment_fixed_size: 0
    .sgpr_count:     6
    .sgpr_spill_count: 0
    .symbol:         _ZN7rocprim17ROCPRIM_400000_NS6detail17trampoline_kernelINS0_14default_configENS1_25transform_config_selectorIjLb0EEEZNS1_14transform_implILb0ES3_S5_NS0_18transform_iteratorINS0_17counting_iteratorImlEEZNS1_24adjacent_difference_implIS3_Lb1ELb0EPjSB_N6thrust23THRUST_200600_302600_NS4plusIjEEEE10hipError_tPvRmT2_T3_mT4_P12ihipStream_tbEUlmE_jEESB_NS0_8identityIvEEEESG_SJ_SK_mSL_SN_bEUlT_E_NS1_11comp_targetILNS1_3genE8ELNS1_11target_archE1030ELNS1_3gpuE2ELNS1_3repE0EEENS1_30default_config_static_selectorELNS0_4arch9wavefront6targetE1EEEvT1_.kd
    .uniform_work_group_size: 1
    .uses_dynamic_stack: false
    .vgpr_count:     0
    .vgpr_spill_count: 0
    .wavefront_size: 64
  - .agpr_count:     0
    .args:
      - .offset:         0
        .size:           56
        .value_kind:     by_value
    .group_segment_fixed_size: 0
    .kernarg_segment_align: 8
    .kernarg_segment_size: 56
    .language:       OpenCL C
    .language_version:
      - 2
      - 0
    .max_flat_workgroup_size: 1024
    .name:           _ZN7rocprim17ROCPRIM_400000_NS6detail17trampoline_kernelINS0_14default_configENS1_35adjacent_difference_config_selectorILb1EjEEZNS1_24adjacent_difference_implIS3_Lb1ELb0EPjS7_N6thrust23THRUST_200600_302600_NS4plusIjEEEE10hipError_tPvRmT2_T3_mT4_P12ihipStream_tbEUlT_E_NS1_11comp_targetILNS1_3genE0ELNS1_11target_archE4294967295ELNS1_3gpuE0ELNS1_3repE0EEENS1_30default_config_static_selectorELNS0_4arch9wavefront6targetE1EEEvT1_
    .private_segment_fixed_size: 0
    .sgpr_count:     6
    .sgpr_spill_count: 0
    .symbol:         _ZN7rocprim17ROCPRIM_400000_NS6detail17trampoline_kernelINS0_14default_configENS1_35adjacent_difference_config_selectorILb1EjEEZNS1_24adjacent_difference_implIS3_Lb1ELb0EPjS7_N6thrust23THRUST_200600_302600_NS4plusIjEEEE10hipError_tPvRmT2_T3_mT4_P12ihipStream_tbEUlT_E_NS1_11comp_targetILNS1_3genE0ELNS1_11target_archE4294967295ELNS1_3gpuE0ELNS1_3repE0EEENS1_30default_config_static_selectorELNS0_4arch9wavefront6targetE1EEEvT1_.kd
    .uniform_work_group_size: 1
    .uses_dynamic_stack: false
    .vgpr_count:     0
    .vgpr_spill_count: 0
    .wavefront_size: 64
  - .agpr_count:     0
    .args:
      - .offset:         0
        .size:           56
        .value_kind:     by_value
    .group_segment_fixed_size: 0
    .kernarg_segment_align: 8
    .kernarg_segment_size: 56
    .language:       OpenCL C
    .language_version:
      - 2
      - 0
    .max_flat_workgroup_size: 32
    .name:           _ZN7rocprim17ROCPRIM_400000_NS6detail17trampoline_kernelINS0_14default_configENS1_35adjacent_difference_config_selectorILb1EjEEZNS1_24adjacent_difference_implIS3_Lb1ELb0EPjS7_N6thrust23THRUST_200600_302600_NS4plusIjEEEE10hipError_tPvRmT2_T3_mT4_P12ihipStream_tbEUlT_E_NS1_11comp_targetILNS1_3genE10ELNS1_11target_archE1201ELNS1_3gpuE5ELNS1_3repE0EEENS1_30default_config_static_selectorELNS0_4arch9wavefront6targetE1EEEvT1_
    .private_segment_fixed_size: 0
    .sgpr_count:     6
    .sgpr_spill_count: 0
    .symbol:         _ZN7rocprim17ROCPRIM_400000_NS6detail17trampoline_kernelINS0_14default_configENS1_35adjacent_difference_config_selectorILb1EjEEZNS1_24adjacent_difference_implIS3_Lb1ELb0EPjS7_N6thrust23THRUST_200600_302600_NS4plusIjEEEE10hipError_tPvRmT2_T3_mT4_P12ihipStream_tbEUlT_E_NS1_11comp_targetILNS1_3genE10ELNS1_11target_archE1201ELNS1_3gpuE5ELNS1_3repE0EEENS1_30default_config_static_selectorELNS0_4arch9wavefront6targetE1EEEvT1_.kd
    .uniform_work_group_size: 1
    .uses_dynamic_stack: false
    .vgpr_count:     0
    .vgpr_spill_count: 0
    .wavefront_size: 64
  - .agpr_count:     0
    .args:
      - .offset:         0
        .size:           56
        .value_kind:     by_value
    .group_segment_fixed_size: 10240
    .kernarg_segment_align: 8
    .kernarg_segment_size: 56
    .language:       OpenCL C
    .language_version:
      - 2
      - 0
    .max_flat_workgroup_size: 512
    .name:           _ZN7rocprim17ROCPRIM_400000_NS6detail17trampoline_kernelINS0_14default_configENS1_35adjacent_difference_config_selectorILb1EjEEZNS1_24adjacent_difference_implIS3_Lb1ELb0EPjS7_N6thrust23THRUST_200600_302600_NS4plusIjEEEE10hipError_tPvRmT2_T3_mT4_P12ihipStream_tbEUlT_E_NS1_11comp_targetILNS1_3genE5ELNS1_11target_archE942ELNS1_3gpuE9ELNS1_3repE0EEENS1_30default_config_static_selectorELNS0_4arch9wavefront6targetE1EEEvT1_
    .private_segment_fixed_size: 0
    .sgpr_count:     35
    .sgpr_spill_count: 0
    .symbol:         _ZN7rocprim17ROCPRIM_400000_NS6detail17trampoline_kernelINS0_14default_configENS1_35adjacent_difference_config_selectorILb1EjEEZNS1_24adjacent_difference_implIS3_Lb1ELb0EPjS7_N6thrust23THRUST_200600_302600_NS4plusIjEEEE10hipError_tPvRmT2_T3_mT4_P12ihipStream_tbEUlT_E_NS1_11comp_targetILNS1_3genE5ELNS1_11target_archE942ELNS1_3gpuE9ELNS1_3repE0EEENS1_30default_config_static_selectorELNS0_4arch9wavefront6targetE1EEEvT1_.kd
    .uniform_work_group_size: 1
    .uses_dynamic_stack: false
    .vgpr_count:     26
    .vgpr_spill_count: 0
    .wavefront_size: 64
  - .agpr_count:     0
    .args:
      - .offset:         0
        .size:           56
        .value_kind:     by_value
    .group_segment_fixed_size: 0
    .kernarg_segment_align: 8
    .kernarg_segment_size: 56
    .language:       OpenCL C
    .language_version:
      - 2
      - 0
    .max_flat_workgroup_size: 512
    .name:           _ZN7rocprim17ROCPRIM_400000_NS6detail17trampoline_kernelINS0_14default_configENS1_35adjacent_difference_config_selectorILb1EjEEZNS1_24adjacent_difference_implIS3_Lb1ELb0EPjS7_N6thrust23THRUST_200600_302600_NS4plusIjEEEE10hipError_tPvRmT2_T3_mT4_P12ihipStream_tbEUlT_E_NS1_11comp_targetILNS1_3genE4ELNS1_11target_archE910ELNS1_3gpuE8ELNS1_3repE0EEENS1_30default_config_static_selectorELNS0_4arch9wavefront6targetE1EEEvT1_
    .private_segment_fixed_size: 0
    .sgpr_count:     6
    .sgpr_spill_count: 0
    .symbol:         _ZN7rocprim17ROCPRIM_400000_NS6detail17trampoline_kernelINS0_14default_configENS1_35adjacent_difference_config_selectorILb1EjEEZNS1_24adjacent_difference_implIS3_Lb1ELb0EPjS7_N6thrust23THRUST_200600_302600_NS4plusIjEEEE10hipError_tPvRmT2_T3_mT4_P12ihipStream_tbEUlT_E_NS1_11comp_targetILNS1_3genE4ELNS1_11target_archE910ELNS1_3gpuE8ELNS1_3repE0EEENS1_30default_config_static_selectorELNS0_4arch9wavefront6targetE1EEEvT1_.kd
    .uniform_work_group_size: 1
    .uses_dynamic_stack: false
    .vgpr_count:     0
    .vgpr_spill_count: 0
    .wavefront_size: 64
  - .agpr_count:     0
    .args:
      - .offset:         0
        .size:           56
        .value_kind:     by_value
    .group_segment_fixed_size: 0
    .kernarg_segment_align: 8
    .kernarg_segment_size: 56
    .language:       OpenCL C
    .language_version:
      - 2
      - 0
    .max_flat_workgroup_size: 1024
    .name:           _ZN7rocprim17ROCPRIM_400000_NS6detail17trampoline_kernelINS0_14default_configENS1_35adjacent_difference_config_selectorILb1EjEEZNS1_24adjacent_difference_implIS3_Lb1ELb0EPjS7_N6thrust23THRUST_200600_302600_NS4plusIjEEEE10hipError_tPvRmT2_T3_mT4_P12ihipStream_tbEUlT_E_NS1_11comp_targetILNS1_3genE3ELNS1_11target_archE908ELNS1_3gpuE7ELNS1_3repE0EEENS1_30default_config_static_selectorELNS0_4arch9wavefront6targetE1EEEvT1_
    .private_segment_fixed_size: 0
    .sgpr_count:     6
    .sgpr_spill_count: 0
    .symbol:         _ZN7rocprim17ROCPRIM_400000_NS6detail17trampoline_kernelINS0_14default_configENS1_35adjacent_difference_config_selectorILb1EjEEZNS1_24adjacent_difference_implIS3_Lb1ELb0EPjS7_N6thrust23THRUST_200600_302600_NS4plusIjEEEE10hipError_tPvRmT2_T3_mT4_P12ihipStream_tbEUlT_E_NS1_11comp_targetILNS1_3genE3ELNS1_11target_archE908ELNS1_3gpuE7ELNS1_3repE0EEENS1_30default_config_static_selectorELNS0_4arch9wavefront6targetE1EEEvT1_.kd
    .uniform_work_group_size: 1
    .uses_dynamic_stack: false
    .vgpr_count:     0
    .vgpr_spill_count: 0
    .wavefront_size: 64
  - .agpr_count:     0
    .args:
      - .offset:         0
        .size:           56
        .value_kind:     by_value
    .group_segment_fixed_size: 0
    .kernarg_segment_align: 8
    .kernarg_segment_size: 56
    .language:       OpenCL C
    .language_version:
      - 2
      - 0
    .max_flat_workgroup_size: 256
    .name:           _ZN7rocprim17ROCPRIM_400000_NS6detail17trampoline_kernelINS0_14default_configENS1_35adjacent_difference_config_selectorILb1EjEEZNS1_24adjacent_difference_implIS3_Lb1ELb0EPjS7_N6thrust23THRUST_200600_302600_NS4plusIjEEEE10hipError_tPvRmT2_T3_mT4_P12ihipStream_tbEUlT_E_NS1_11comp_targetILNS1_3genE2ELNS1_11target_archE906ELNS1_3gpuE6ELNS1_3repE0EEENS1_30default_config_static_selectorELNS0_4arch9wavefront6targetE1EEEvT1_
    .private_segment_fixed_size: 0
    .sgpr_count:     6
    .sgpr_spill_count: 0
    .symbol:         _ZN7rocprim17ROCPRIM_400000_NS6detail17trampoline_kernelINS0_14default_configENS1_35adjacent_difference_config_selectorILb1EjEEZNS1_24adjacent_difference_implIS3_Lb1ELb0EPjS7_N6thrust23THRUST_200600_302600_NS4plusIjEEEE10hipError_tPvRmT2_T3_mT4_P12ihipStream_tbEUlT_E_NS1_11comp_targetILNS1_3genE2ELNS1_11target_archE906ELNS1_3gpuE6ELNS1_3repE0EEENS1_30default_config_static_selectorELNS0_4arch9wavefront6targetE1EEEvT1_.kd
    .uniform_work_group_size: 1
    .uses_dynamic_stack: false
    .vgpr_count:     0
    .vgpr_spill_count: 0
    .wavefront_size: 64
  - .agpr_count:     0
    .args:
      - .offset:         0
        .size:           56
        .value_kind:     by_value
    .group_segment_fixed_size: 0
    .kernarg_segment_align: 8
    .kernarg_segment_size: 56
    .language:       OpenCL C
    .language_version:
      - 2
      - 0
    .max_flat_workgroup_size: 128
    .name:           _ZN7rocprim17ROCPRIM_400000_NS6detail17trampoline_kernelINS0_14default_configENS1_35adjacent_difference_config_selectorILb1EjEEZNS1_24adjacent_difference_implIS3_Lb1ELb0EPjS7_N6thrust23THRUST_200600_302600_NS4plusIjEEEE10hipError_tPvRmT2_T3_mT4_P12ihipStream_tbEUlT_E_NS1_11comp_targetILNS1_3genE9ELNS1_11target_archE1100ELNS1_3gpuE3ELNS1_3repE0EEENS1_30default_config_static_selectorELNS0_4arch9wavefront6targetE1EEEvT1_
    .private_segment_fixed_size: 0
    .sgpr_count:     6
    .sgpr_spill_count: 0
    .symbol:         _ZN7rocprim17ROCPRIM_400000_NS6detail17trampoline_kernelINS0_14default_configENS1_35adjacent_difference_config_selectorILb1EjEEZNS1_24adjacent_difference_implIS3_Lb1ELb0EPjS7_N6thrust23THRUST_200600_302600_NS4plusIjEEEE10hipError_tPvRmT2_T3_mT4_P12ihipStream_tbEUlT_E_NS1_11comp_targetILNS1_3genE9ELNS1_11target_archE1100ELNS1_3gpuE3ELNS1_3repE0EEENS1_30default_config_static_selectorELNS0_4arch9wavefront6targetE1EEEvT1_.kd
    .uniform_work_group_size: 1
    .uses_dynamic_stack: false
    .vgpr_count:     0
    .vgpr_spill_count: 0
    .wavefront_size: 64
  - .agpr_count:     0
    .args:
      - .offset:         0
        .size:           56
        .value_kind:     by_value
    .group_segment_fixed_size: 0
    .kernarg_segment_align: 8
    .kernarg_segment_size: 56
    .language:       OpenCL C
    .language_version:
      - 2
      - 0
    .max_flat_workgroup_size: 32
    .name:           _ZN7rocprim17ROCPRIM_400000_NS6detail17trampoline_kernelINS0_14default_configENS1_35adjacent_difference_config_selectorILb1EjEEZNS1_24adjacent_difference_implIS3_Lb1ELb0EPjS7_N6thrust23THRUST_200600_302600_NS4plusIjEEEE10hipError_tPvRmT2_T3_mT4_P12ihipStream_tbEUlT_E_NS1_11comp_targetILNS1_3genE8ELNS1_11target_archE1030ELNS1_3gpuE2ELNS1_3repE0EEENS1_30default_config_static_selectorELNS0_4arch9wavefront6targetE1EEEvT1_
    .private_segment_fixed_size: 0
    .sgpr_count:     6
    .sgpr_spill_count: 0
    .symbol:         _ZN7rocprim17ROCPRIM_400000_NS6detail17trampoline_kernelINS0_14default_configENS1_35adjacent_difference_config_selectorILb1EjEEZNS1_24adjacent_difference_implIS3_Lb1ELb0EPjS7_N6thrust23THRUST_200600_302600_NS4plusIjEEEE10hipError_tPvRmT2_T3_mT4_P12ihipStream_tbEUlT_E_NS1_11comp_targetILNS1_3genE8ELNS1_11target_archE1030ELNS1_3gpuE2ELNS1_3repE0EEENS1_30default_config_static_selectorELNS0_4arch9wavefront6targetE1EEEvT1_.kd
    .uniform_work_group_size: 1
    .uses_dynamic_stack: false
    .vgpr_count:     0
    .vgpr_spill_count: 0
    .wavefront_size: 64
  - .agpr_count:     0
    .args:
      - .offset:         0
        .size:           16
        .value_kind:     by_value
      - .offset:         16
        .size:           8
        .value_kind:     by_value
      - .offset:         24
        .size:           8
        .value_kind:     by_value
    .group_segment_fixed_size: 0
    .kernarg_segment_align: 8
    .kernarg_segment_size: 32
    .language:       OpenCL C
    .language_version:
      - 2
      - 0
    .max_flat_workgroup_size: 256
    .name:           _ZN6thrust23THRUST_200600_302600_NS11hip_rocprim14__parallel_for6kernelILj256ENS1_20__uninitialized_fill7functorINS0_10device_ptrIdEEdEEmLj1EEEvT0_T1_SA_
    .private_segment_fixed_size: 0
    .sgpr_count:     18
    .sgpr_spill_count: 0
    .symbol:         _ZN6thrust23THRUST_200600_302600_NS11hip_rocprim14__parallel_for6kernelILj256ENS1_20__uninitialized_fill7functorINS0_10device_ptrIdEEdEEmLj1EEEvT0_T1_SA_.kd
    .uniform_work_group_size: 1
    .uses_dynamic_stack: false
    .vgpr_count:     4
    .vgpr_spill_count: 0
    .wavefront_size: 64
  - .agpr_count:     0
    .args:
      - .offset:         0
        .size:           56
        .value_kind:     by_value
    .group_segment_fixed_size: 0
    .kernarg_segment_align: 8
    .kernarg_segment_size: 56
    .language:       OpenCL C
    .language_version:
      - 2
      - 0
    .max_flat_workgroup_size: 128
    .name:           _ZN7rocprim17ROCPRIM_400000_NS6detail17trampoline_kernelINS0_14default_configENS1_35adjacent_difference_config_selectorILb0EdEEZNS1_24adjacent_difference_implIS3_Lb0ELb0EPdS7_N6thrust23THRUST_200600_302600_NS5minusIdEEEE10hipError_tPvRmT2_T3_mT4_P12ihipStream_tbEUlT_E_NS1_11comp_targetILNS1_3genE0ELNS1_11target_archE4294967295ELNS1_3gpuE0ELNS1_3repE0EEENS1_30default_config_static_selectorELNS0_4arch9wavefront6targetE1EEEvT1_
    .private_segment_fixed_size: 0
    .sgpr_count:     6
    .sgpr_spill_count: 0
    .symbol:         _ZN7rocprim17ROCPRIM_400000_NS6detail17trampoline_kernelINS0_14default_configENS1_35adjacent_difference_config_selectorILb0EdEEZNS1_24adjacent_difference_implIS3_Lb0ELb0EPdS7_N6thrust23THRUST_200600_302600_NS5minusIdEEEE10hipError_tPvRmT2_T3_mT4_P12ihipStream_tbEUlT_E_NS1_11comp_targetILNS1_3genE0ELNS1_11target_archE4294967295ELNS1_3gpuE0ELNS1_3repE0EEENS1_30default_config_static_selectorELNS0_4arch9wavefront6targetE1EEEvT1_.kd
    .uniform_work_group_size: 1
    .uses_dynamic_stack: false
    .vgpr_count:     0
    .vgpr_spill_count: 0
    .wavefront_size: 64
  - .agpr_count:     0
    .args:
      - .offset:         0
        .size:           56
        .value_kind:     by_value
    .group_segment_fixed_size: 0
    .kernarg_segment_align: 8
    .kernarg_segment_size: 56
    .language:       OpenCL C
    .language_version:
      - 2
      - 0
    .max_flat_workgroup_size: 32
    .name:           _ZN7rocprim17ROCPRIM_400000_NS6detail17trampoline_kernelINS0_14default_configENS1_35adjacent_difference_config_selectorILb0EdEEZNS1_24adjacent_difference_implIS3_Lb0ELb0EPdS7_N6thrust23THRUST_200600_302600_NS5minusIdEEEE10hipError_tPvRmT2_T3_mT4_P12ihipStream_tbEUlT_E_NS1_11comp_targetILNS1_3genE10ELNS1_11target_archE1201ELNS1_3gpuE5ELNS1_3repE0EEENS1_30default_config_static_selectorELNS0_4arch9wavefront6targetE1EEEvT1_
    .private_segment_fixed_size: 0
    .sgpr_count:     6
    .sgpr_spill_count: 0
    .symbol:         _ZN7rocprim17ROCPRIM_400000_NS6detail17trampoline_kernelINS0_14default_configENS1_35adjacent_difference_config_selectorILb0EdEEZNS1_24adjacent_difference_implIS3_Lb0ELb0EPdS7_N6thrust23THRUST_200600_302600_NS5minusIdEEEE10hipError_tPvRmT2_T3_mT4_P12ihipStream_tbEUlT_E_NS1_11comp_targetILNS1_3genE10ELNS1_11target_archE1201ELNS1_3gpuE5ELNS1_3repE0EEENS1_30default_config_static_selectorELNS0_4arch9wavefront6targetE1EEEvT1_.kd
    .uniform_work_group_size: 1
    .uses_dynamic_stack: false
    .vgpr_count:     0
    .vgpr_spill_count: 0
    .wavefront_size: 64
  - .agpr_count:     0
    .args:
      - .offset:         0
        .size:           56
        .value_kind:     by_value
    .group_segment_fixed_size: 6656
    .kernarg_segment_align: 8
    .kernarg_segment_size: 56
    .language:       OpenCL C
    .language_version:
      - 2
      - 0
    .max_flat_workgroup_size: 64
    .name:           _ZN7rocprim17ROCPRIM_400000_NS6detail17trampoline_kernelINS0_14default_configENS1_35adjacent_difference_config_selectorILb0EdEEZNS1_24adjacent_difference_implIS3_Lb0ELb0EPdS7_N6thrust23THRUST_200600_302600_NS5minusIdEEEE10hipError_tPvRmT2_T3_mT4_P12ihipStream_tbEUlT_E_NS1_11comp_targetILNS1_3genE5ELNS1_11target_archE942ELNS1_3gpuE9ELNS1_3repE0EEENS1_30default_config_static_selectorELNS0_4arch9wavefront6targetE1EEEvT1_
    .private_segment_fixed_size: 0
    .sgpr_count:     29
    .sgpr_spill_count: 0
    .symbol:         _ZN7rocprim17ROCPRIM_400000_NS6detail17trampoline_kernelINS0_14default_configENS1_35adjacent_difference_config_selectorILb0EdEEZNS1_24adjacent_difference_implIS3_Lb0ELb0EPdS7_N6thrust23THRUST_200600_302600_NS5minusIdEEEE10hipError_tPvRmT2_T3_mT4_P12ihipStream_tbEUlT_E_NS1_11comp_targetILNS1_3genE5ELNS1_11target_archE942ELNS1_3gpuE9ELNS1_3repE0EEENS1_30default_config_static_selectorELNS0_4arch9wavefront6targetE1EEEvT1_.kd
    .uniform_work_group_size: 1
    .uses_dynamic_stack: false
    .vgpr_count:     68
    .vgpr_spill_count: 0
    .wavefront_size: 64
  - .agpr_count:     0
    .args:
      - .offset:         0
        .size:           56
        .value_kind:     by_value
    .group_segment_fixed_size: 0
    .kernarg_segment_align: 8
    .kernarg_segment_size: 56
    .language:       OpenCL C
    .language_version:
      - 2
      - 0
    .max_flat_workgroup_size: 256
    .name:           _ZN7rocprim17ROCPRIM_400000_NS6detail17trampoline_kernelINS0_14default_configENS1_35adjacent_difference_config_selectorILb0EdEEZNS1_24adjacent_difference_implIS3_Lb0ELb0EPdS7_N6thrust23THRUST_200600_302600_NS5minusIdEEEE10hipError_tPvRmT2_T3_mT4_P12ihipStream_tbEUlT_E_NS1_11comp_targetILNS1_3genE4ELNS1_11target_archE910ELNS1_3gpuE8ELNS1_3repE0EEENS1_30default_config_static_selectorELNS0_4arch9wavefront6targetE1EEEvT1_
    .private_segment_fixed_size: 0
    .sgpr_count:     6
    .sgpr_spill_count: 0
    .symbol:         _ZN7rocprim17ROCPRIM_400000_NS6detail17trampoline_kernelINS0_14default_configENS1_35adjacent_difference_config_selectorILb0EdEEZNS1_24adjacent_difference_implIS3_Lb0ELb0EPdS7_N6thrust23THRUST_200600_302600_NS5minusIdEEEE10hipError_tPvRmT2_T3_mT4_P12ihipStream_tbEUlT_E_NS1_11comp_targetILNS1_3genE4ELNS1_11target_archE910ELNS1_3gpuE8ELNS1_3repE0EEENS1_30default_config_static_selectorELNS0_4arch9wavefront6targetE1EEEvT1_.kd
    .uniform_work_group_size: 1
    .uses_dynamic_stack: false
    .vgpr_count:     0
    .vgpr_spill_count: 0
    .wavefront_size: 64
  - .agpr_count:     0
    .args:
      - .offset:         0
        .size:           56
        .value_kind:     by_value
    .group_segment_fixed_size: 0
    .kernarg_segment_align: 8
    .kernarg_segment_size: 56
    .language:       OpenCL C
    .language_version:
      - 2
      - 0
    .max_flat_workgroup_size: 128
    .name:           _ZN7rocprim17ROCPRIM_400000_NS6detail17trampoline_kernelINS0_14default_configENS1_35adjacent_difference_config_selectorILb0EdEEZNS1_24adjacent_difference_implIS3_Lb0ELb0EPdS7_N6thrust23THRUST_200600_302600_NS5minusIdEEEE10hipError_tPvRmT2_T3_mT4_P12ihipStream_tbEUlT_E_NS1_11comp_targetILNS1_3genE3ELNS1_11target_archE908ELNS1_3gpuE7ELNS1_3repE0EEENS1_30default_config_static_selectorELNS0_4arch9wavefront6targetE1EEEvT1_
    .private_segment_fixed_size: 0
    .sgpr_count:     6
    .sgpr_spill_count: 0
    .symbol:         _ZN7rocprim17ROCPRIM_400000_NS6detail17trampoline_kernelINS0_14default_configENS1_35adjacent_difference_config_selectorILb0EdEEZNS1_24adjacent_difference_implIS3_Lb0ELb0EPdS7_N6thrust23THRUST_200600_302600_NS5minusIdEEEE10hipError_tPvRmT2_T3_mT4_P12ihipStream_tbEUlT_E_NS1_11comp_targetILNS1_3genE3ELNS1_11target_archE908ELNS1_3gpuE7ELNS1_3repE0EEENS1_30default_config_static_selectorELNS0_4arch9wavefront6targetE1EEEvT1_.kd
    .uniform_work_group_size: 1
    .uses_dynamic_stack: false
    .vgpr_count:     0
    .vgpr_spill_count: 0
    .wavefront_size: 64
  - .agpr_count:     0
    .args:
      - .offset:         0
        .size:           56
        .value_kind:     by_value
    .group_segment_fixed_size: 0
    .kernarg_segment_align: 8
    .kernarg_segment_size: 56
    .language:       OpenCL C
    .language_version:
      - 2
      - 0
    .max_flat_workgroup_size: 1024
    .name:           _ZN7rocprim17ROCPRIM_400000_NS6detail17trampoline_kernelINS0_14default_configENS1_35adjacent_difference_config_selectorILb0EdEEZNS1_24adjacent_difference_implIS3_Lb0ELb0EPdS7_N6thrust23THRUST_200600_302600_NS5minusIdEEEE10hipError_tPvRmT2_T3_mT4_P12ihipStream_tbEUlT_E_NS1_11comp_targetILNS1_3genE2ELNS1_11target_archE906ELNS1_3gpuE6ELNS1_3repE0EEENS1_30default_config_static_selectorELNS0_4arch9wavefront6targetE1EEEvT1_
    .private_segment_fixed_size: 0
    .sgpr_count:     6
    .sgpr_spill_count: 0
    .symbol:         _ZN7rocprim17ROCPRIM_400000_NS6detail17trampoline_kernelINS0_14default_configENS1_35adjacent_difference_config_selectorILb0EdEEZNS1_24adjacent_difference_implIS3_Lb0ELb0EPdS7_N6thrust23THRUST_200600_302600_NS5minusIdEEEE10hipError_tPvRmT2_T3_mT4_P12ihipStream_tbEUlT_E_NS1_11comp_targetILNS1_3genE2ELNS1_11target_archE906ELNS1_3gpuE6ELNS1_3repE0EEENS1_30default_config_static_selectorELNS0_4arch9wavefront6targetE1EEEvT1_.kd
    .uniform_work_group_size: 1
    .uses_dynamic_stack: false
    .vgpr_count:     0
    .vgpr_spill_count: 0
    .wavefront_size: 64
  - .agpr_count:     0
    .args:
      - .offset:         0
        .size:           56
        .value_kind:     by_value
    .group_segment_fixed_size: 0
    .kernarg_segment_align: 8
    .kernarg_segment_size: 56
    .language:       OpenCL C
    .language_version:
      - 2
      - 0
    .max_flat_workgroup_size: 1024
    .name:           _ZN7rocprim17ROCPRIM_400000_NS6detail17trampoline_kernelINS0_14default_configENS1_35adjacent_difference_config_selectorILb0EdEEZNS1_24adjacent_difference_implIS3_Lb0ELb0EPdS7_N6thrust23THRUST_200600_302600_NS5minusIdEEEE10hipError_tPvRmT2_T3_mT4_P12ihipStream_tbEUlT_E_NS1_11comp_targetILNS1_3genE9ELNS1_11target_archE1100ELNS1_3gpuE3ELNS1_3repE0EEENS1_30default_config_static_selectorELNS0_4arch9wavefront6targetE1EEEvT1_
    .private_segment_fixed_size: 0
    .sgpr_count:     6
    .sgpr_spill_count: 0
    .symbol:         _ZN7rocprim17ROCPRIM_400000_NS6detail17trampoline_kernelINS0_14default_configENS1_35adjacent_difference_config_selectorILb0EdEEZNS1_24adjacent_difference_implIS3_Lb0ELb0EPdS7_N6thrust23THRUST_200600_302600_NS5minusIdEEEE10hipError_tPvRmT2_T3_mT4_P12ihipStream_tbEUlT_E_NS1_11comp_targetILNS1_3genE9ELNS1_11target_archE1100ELNS1_3gpuE3ELNS1_3repE0EEENS1_30default_config_static_selectorELNS0_4arch9wavefront6targetE1EEEvT1_.kd
    .uniform_work_group_size: 1
    .uses_dynamic_stack: false
    .vgpr_count:     0
    .vgpr_spill_count: 0
    .wavefront_size: 64
  - .agpr_count:     0
    .args:
      - .offset:         0
        .size:           56
        .value_kind:     by_value
    .group_segment_fixed_size: 0
    .kernarg_segment_align: 8
    .kernarg_segment_size: 56
    .language:       OpenCL C
    .language_version:
      - 2
      - 0
    .max_flat_workgroup_size: 1024
    .name:           _ZN7rocprim17ROCPRIM_400000_NS6detail17trampoline_kernelINS0_14default_configENS1_35adjacent_difference_config_selectorILb0EdEEZNS1_24adjacent_difference_implIS3_Lb0ELb0EPdS7_N6thrust23THRUST_200600_302600_NS5minusIdEEEE10hipError_tPvRmT2_T3_mT4_P12ihipStream_tbEUlT_E_NS1_11comp_targetILNS1_3genE8ELNS1_11target_archE1030ELNS1_3gpuE2ELNS1_3repE0EEENS1_30default_config_static_selectorELNS0_4arch9wavefront6targetE1EEEvT1_
    .private_segment_fixed_size: 0
    .sgpr_count:     6
    .sgpr_spill_count: 0
    .symbol:         _ZN7rocprim17ROCPRIM_400000_NS6detail17trampoline_kernelINS0_14default_configENS1_35adjacent_difference_config_selectorILb0EdEEZNS1_24adjacent_difference_implIS3_Lb0ELb0EPdS7_N6thrust23THRUST_200600_302600_NS5minusIdEEEE10hipError_tPvRmT2_T3_mT4_P12ihipStream_tbEUlT_E_NS1_11comp_targetILNS1_3genE8ELNS1_11target_archE1030ELNS1_3gpuE2ELNS1_3repE0EEENS1_30default_config_static_selectorELNS0_4arch9wavefront6targetE1EEEvT1_.kd
    .uniform_work_group_size: 1
    .uses_dynamic_stack: false
    .vgpr_count:     0
    .vgpr_spill_count: 0
    .wavefront_size: 64
  - .agpr_count:     0
    .args:
      - .offset:         0
        .size:           56
        .value_kind:     by_value
    .group_segment_fixed_size: 0
    .kernarg_segment_align: 8
    .kernarg_segment_size: 56
    .language:       OpenCL C
    .language_version:
      - 2
      - 0
    .max_flat_workgroup_size: 128
    .name:           _ZN7rocprim17ROCPRIM_400000_NS6detail17trampoline_kernelINS0_14default_configENS1_25transform_config_selectorIdLb0EEEZNS1_14transform_implILb0ES3_S5_NS0_18transform_iteratorINS0_17counting_iteratorImlEEZNS1_24adjacent_difference_implIS3_Lb1ELb0EPdSB_N6thrust23THRUST_200600_302600_NS5minusIdEEEE10hipError_tPvRmT2_T3_mT4_P12ihipStream_tbEUlmE_dEESB_NS0_8identityIvEEEESG_SJ_SK_mSL_SN_bEUlT_E_NS1_11comp_targetILNS1_3genE0ELNS1_11target_archE4294967295ELNS1_3gpuE0ELNS1_3repE0EEENS1_30default_config_static_selectorELNS0_4arch9wavefront6targetE1EEEvT1_
    .private_segment_fixed_size: 0
    .sgpr_count:     6
    .sgpr_spill_count: 0
    .symbol:         _ZN7rocprim17ROCPRIM_400000_NS6detail17trampoline_kernelINS0_14default_configENS1_25transform_config_selectorIdLb0EEEZNS1_14transform_implILb0ES3_S5_NS0_18transform_iteratorINS0_17counting_iteratorImlEEZNS1_24adjacent_difference_implIS3_Lb1ELb0EPdSB_N6thrust23THRUST_200600_302600_NS5minusIdEEEE10hipError_tPvRmT2_T3_mT4_P12ihipStream_tbEUlmE_dEESB_NS0_8identityIvEEEESG_SJ_SK_mSL_SN_bEUlT_E_NS1_11comp_targetILNS1_3genE0ELNS1_11target_archE4294967295ELNS1_3gpuE0ELNS1_3repE0EEENS1_30default_config_static_selectorELNS0_4arch9wavefront6targetE1EEEvT1_.kd
    .uniform_work_group_size: 1
    .uses_dynamic_stack: false
    .vgpr_count:     0
    .vgpr_spill_count: 0
    .wavefront_size: 64
  - .agpr_count:     0
    .args:
      - .offset:         0
        .size:           56
        .value_kind:     by_value
      - .offset:         56
        .size:           4
        .value_kind:     hidden_block_count_x
      - .offset:         60
        .size:           4
        .value_kind:     hidden_block_count_y
      - .offset:         64
        .size:           4
        .value_kind:     hidden_block_count_z
      - .offset:         68
        .size:           2
        .value_kind:     hidden_group_size_x
      - .offset:         70
        .size:           2
        .value_kind:     hidden_group_size_y
      - .offset:         72
        .size:           2
        .value_kind:     hidden_group_size_z
      - .offset:         74
        .size:           2
        .value_kind:     hidden_remainder_x
      - .offset:         76
        .size:           2
        .value_kind:     hidden_remainder_y
      - .offset:         78
        .size:           2
        .value_kind:     hidden_remainder_z
      - .offset:         96
        .size:           8
        .value_kind:     hidden_global_offset_x
      - .offset:         104
        .size:           8
        .value_kind:     hidden_global_offset_y
      - .offset:         112
        .size:           8
        .value_kind:     hidden_global_offset_z
      - .offset:         120
        .size:           2
        .value_kind:     hidden_grid_dims
    .group_segment_fixed_size: 0
    .kernarg_segment_align: 8
    .kernarg_segment_size: 312
    .language:       OpenCL C
    .language_version:
      - 2
      - 0
    .max_flat_workgroup_size: 512
    .name:           _ZN7rocprim17ROCPRIM_400000_NS6detail17trampoline_kernelINS0_14default_configENS1_25transform_config_selectorIdLb0EEEZNS1_14transform_implILb0ES3_S5_NS0_18transform_iteratorINS0_17counting_iteratorImlEEZNS1_24adjacent_difference_implIS3_Lb1ELb0EPdSB_N6thrust23THRUST_200600_302600_NS5minusIdEEEE10hipError_tPvRmT2_T3_mT4_P12ihipStream_tbEUlmE_dEESB_NS0_8identityIvEEEESG_SJ_SK_mSL_SN_bEUlT_E_NS1_11comp_targetILNS1_3genE5ELNS1_11target_archE942ELNS1_3gpuE9ELNS1_3repE0EEENS1_30default_config_static_selectorELNS0_4arch9wavefront6targetE1EEEvT1_
    .private_segment_fixed_size: 0
    .sgpr_count:     26
    .sgpr_spill_count: 0
    .symbol:         _ZN7rocprim17ROCPRIM_400000_NS6detail17trampoline_kernelINS0_14default_configENS1_25transform_config_selectorIdLb0EEEZNS1_14transform_implILb0ES3_S5_NS0_18transform_iteratorINS0_17counting_iteratorImlEEZNS1_24adjacent_difference_implIS3_Lb1ELb0EPdSB_N6thrust23THRUST_200600_302600_NS5minusIdEEEE10hipError_tPvRmT2_T3_mT4_P12ihipStream_tbEUlmE_dEESB_NS0_8identityIvEEEESG_SJ_SK_mSL_SN_bEUlT_E_NS1_11comp_targetILNS1_3genE5ELNS1_11target_archE942ELNS1_3gpuE9ELNS1_3repE0EEENS1_30default_config_static_selectorELNS0_4arch9wavefront6targetE1EEEvT1_.kd
    .uniform_work_group_size: 1
    .uses_dynamic_stack: false
    .vgpr_count:     20
    .vgpr_spill_count: 0
    .wavefront_size: 64
  - .agpr_count:     0
    .args:
      - .offset:         0
        .size:           56
        .value_kind:     by_value
    .group_segment_fixed_size: 0
    .kernarg_segment_align: 8
    .kernarg_segment_size: 56
    .language:       OpenCL C
    .language_version:
      - 2
      - 0
    .max_flat_workgroup_size: 256
    .name:           _ZN7rocprim17ROCPRIM_400000_NS6detail17trampoline_kernelINS0_14default_configENS1_25transform_config_selectorIdLb0EEEZNS1_14transform_implILb0ES3_S5_NS0_18transform_iteratorINS0_17counting_iteratorImlEEZNS1_24adjacent_difference_implIS3_Lb1ELb0EPdSB_N6thrust23THRUST_200600_302600_NS5minusIdEEEE10hipError_tPvRmT2_T3_mT4_P12ihipStream_tbEUlmE_dEESB_NS0_8identityIvEEEESG_SJ_SK_mSL_SN_bEUlT_E_NS1_11comp_targetILNS1_3genE4ELNS1_11target_archE910ELNS1_3gpuE8ELNS1_3repE0EEENS1_30default_config_static_selectorELNS0_4arch9wavefront6targetE1EEEvT1_
    .private_segment_fixed_size: 0
    .sgpr_count:     6
    .sgpr_spill_count: 0
    .symbol:         _ZN7rocprim17ROCPRIM_400000_NS6detail17trampoline_kernelINS0_14default_configENS1_25transform_config_selectorIdLb0EEEZNS1_14transform_implILb0ES3_S5_NS0_18transform_iteratorINS0_17counting_iteratorImlEEZNS1_24adjacent_difference_implIS3_Lb1ELb0EPdSB_N6thrust23THRUST_200600_302600_NS5minusIdEEEE10hipError_tPvRmT2_T3_mT4_P12ihipStream_tbEUlmE_dEESB_NS0_8identityIvEEEESG_SJ_SK_mSL_SN_bEUlT_E_NS1_11comp_targetILNS1_3genE4ELNS1_11target_archE910ELNS1_3gpuE8ELNS1_3repE0EEENS1_30default_config_static_selectorELNS0_4arch9wavefront6targetE1EEEvT1_.kd
    .uniform_work_group_size: 1
    .uses_dynamic_stack: false
    .vgpr_count:     0
    .vgpr_spill_count: 0
    .wavefront_size: 64
  - .agpr_count:     0
    .args:
      - .offset:         0
        .size:           56
        .value_kind:     by_value
    .group_segment_fixed_size: 0
    .kernarg_segment_align: 8
    .kernarg_segment_size: 56
    .language:       OpenCL C
    .language_version:
      - 2
      - 0
    .max_flat_workgroup_size: 128
    .name:           _ZN7rocprim17ROCPRIM_400000_NS6detail17trampoline_kernelINS0_14default_configENS1_25transform_config_selectorIdLb0EEEZNS1_14transform_implILb0ES3_S5_NS0_18transform_iteratorINS0_17counting_iteratorImlEEZNS1_24adjacent_difference_implIS3_Lb1ELb0EPdSB_N6thrust23THRUST_200600_302600_NS5minusIdEEEE10hipError_tPvRmT2_T3_mT4_P12ihipStream_tbEUlmE_dEESB_NS0_8identityIvEEEESG_SJ_SK_mSL_SN_bEUlT_E_NS1_11comp_targetILNS1_3genE3ELNS1_11target_archE908ELNS1_3gpuE7ELNS1_3repE0EEENS1_30default_config_static_selectorELNS0_4arch9wavefront6targetE1EEEvT1_
    .private_segment_fixed_size: 0
    .sgpr_count:     6
    .sgpr_spill_count: 0
    .symbol:         _ZN7rocprim17ROCPRIM_400000_NS6detail17trampoline_kernelINS0_14default_configENS1_25transform_config_selectorIdLb0EEEZNS1_14transform_implILb0ES3_S5_NS0_18transform_iteratorINS0_17counting_iteratorImlEEZNS1_24adjacent_difference_implIS3_Lb1ELb0EPdSB_N6thrust23THRUST_200600_302600_NS5minusIdEEEE10hipError_tPvRmT2_T3_mT4_P12ihipStream_tbEUlmE_dEESB_NS0_8identityIvEEEESG_SJ_SK_mSL_SN_bEUlT_E_NS1_11comp_targetILNS1_3genE3ELNS1_11target_archE908ELNS1_3gpuE7ELNS1_3repE0EEENS1_30default_config_static_selectorELNS0_4arch9wavefront6targetE1EEEvT1_.kd
    .uniform_work_group_size: 1
    .uses_dynamic_stack: false
    .vgpr_count:     0
    .vgpr_spill_count: 0
    .wavefront_size: 64
  - .agpr_count:     0
    .args:
      - .offset:         0
        .size:           56
        .value_kind:     by_value
    .group_segment_fixed_size: 0
    .kernarg_segment_align: 8
    .kernarg_segment_size: 56
    .language:       OpenCL C
    .language_version:
      - 2
      - 0
    .max_flat_workgroup_size: 1024
    .name:           _ZN7rocprim17ROCPRIM_400000_NS6detail17trampoline_kernelINS0_14default_configENS1_25transform_config_selectorIdLb0EEEZNS1_14transform_implILb0ES3_S5_NS0_18transform_iteratorINS0_17counting_iteratorImlEEZNS1_24adjacent_difference_implIS3_Lb1ELb0EPdSB_N6thrust23THRUST_200600_302600_NS5minusIdEEEE10hipError_tPvRmT2_T3_mT4_P12ihipStream_tbEUlmE_dEESB_NS0_8identityIvEEEESG_SJ_SK_mSL_SN_bEUlT_E_NS1_11comp_targetILNS1_3genE2ELNS1_11target_archE906ELNS1_3gpuE6ELNS1_3repE0EEENS1_30default_config_static_selectorELNS0_4arch9wavefront6targetE1EEEvT1_
    .private_segment_fixed_size: 0
    .sgpr_count:     6
    .sgpr_spill_count: 0
    .symbol:         _ZN7rocprim17ROCPRIM_400000_NS6detail17trampoline_kernelINS0_14default_configENS1_25transform_config_selectorIdLb0EEEZNS1_14transform_implILb0ES3_S5_NS0_18transform_iteratorINS0_17counting_iteratorImlEEZNS1_24adjacent_difference_implIS3_Lb1ELb0EPdSB_N6thrust23THRUST_200600_302600_NS5minusIdEEEE10hipError_tPvRmT2_T3_mT4_P12ihipStream_tbEUlmE_dEESB_NS0_8identityIvEEEESG_SJ_SK_mSL_SN_bEUlT_E_NS1_11comp_targetILNS1_3genE2ELNS1_11target_archE906ELNS1_3gpuE6ELNS1_3repE0EEENS1_30default_config_static_selectorELNS0_4arch9wavefront6targetE1EEEvT1_.kd
    .uniform_work_group_size: 1
    .uses_dynamic_stack: false
    .vgpr_count:     0
    .vgpr_spill_count: 0
    .wavefront_size: 64
  - .agpr_count:     0
    .args:
      - .offset:         0
        .size:           56
        .value_kind:     by_value
    .group_segment_fixed_size: 0
    .kernarg_segment_align: 8
    .kernarg_segment_size: 56
    .language:       OpenCL C
    .language_version:
      - 2
      - 0
    .max_flat_workgroup_size: 64
    .name:           _ZN7rocprim17ROCPRIM_400000_NS6detail17trampoline_kernelINS0_14default_configENS1_25transform_config_selectorIdLb0EEEZNS1_14transform_implILb0ES3_S5_NS0_18transform_iteratorINS0_17counting_iteratorImlEEZNS1_24adjacent_difference_implIS3_Lb1ELb0EPdSB_N6thrust23THRUST_200600_302600_NS5minusIdEEEE10hipError_tPvRmT2_T3_mT4_P12ihipStream_tbEUlmE_dEESB_NS0_8identityIvEEEESG_SJ_SK_mSL_SN_bEUlT_E_NS1_11comp_targetILNS1_3genE10ELNS1_11target_archE1201ELNS1_3gpuE5ELNS1_3repE0EEENS1_30default_config_static_selectorELNS0_4arch9wavefront6targetE1EEEvT1_
    .private_segment_fixed_size: 0
    .sgpr_count:     6
    .sgpr_spill_count: 0
    .symbol:         _ZN7rocprim17ROCPRIM_400000_NS6detail17trampoline_kernelINS0_14default_configENS1_25transform_config_selectorIdLb0EEEZNS1_14transform_implILb0ES3_S5_NS0_18transform_iteratorINS0_17counting_iteratorImlEEZNS1_24adjacent_difference_implIS3_Lb1ELb0EPdSB_N6thrust23THRUST_200600_302600_NS5minusIdEEEE10hipError_tPvRmT2_T3_mT4_P12ihipStream_tbEUlmE_dEESB_NS0_8identityIvEEEESG_SJ_SK_mSL_SN_bEUlT_E_NS1_11comp_targetILNS1_3genE10ELNS1_11target_archE1201ELNS1_3gpuE5ELNS1_3repE0EEENS1_30default_config_static_selectorELNS0_4arch9wavefront6targetE1EEEvT1_.kd
    .uniform_work_group_size: 1
    .uses_dynamic_stack: false
    .vgpr_count:     0
    .vgpr_spill_count: 0
    .wavefront_size: 64
  - .agpr_count:     0
    .args:
      - .offset:         0
        .size:           56
        .value_kind:     by_value
    .group_segment_fixed_size: 0
    .kernarg_segment_align: 8
    .kernarg_segment_size: 56
    .language:       OpenCL C
    .language_version:
      - 2
      - 0
    .max_flat_workgroup_size: 512
    .name:           _ZN7rocprim17ROCPRIM_400000_NS6detail17trampoline_kernelINS0_14default_configENS1_25transform_config_selectorIdLb0EEEZNS1_14transform_implILb0ES3_S5_NS0_18transform_iteratorINS0_17counting_iteratorImlEEZNS1_24adjacent_difference_implIS3_Lb1ELb0EPdSB_N6thrust23THRUST_200600_302600_NS5minusIdEEEE10hipError_tPvRmT2_T3_mT4_P12ihipStream_tbEUlmE_dEESB_NS0_8identityIvEEEESG_SJ_SK_mSL_SN_bEUlT_E_NS1_11comp_targetILNS1_3genE10ELNS1_11target_archE1200ELNS1_3gpuE4ELNS1_3repE0EEENS1_30default_config_static_selectorELNS0_4arch9wavefront6targetE1EEEvT1_
    .private_segment_fixed_size: 0
    .sgpr_count:     6
    .sgpr_spill_count: 0
    .symbol:         _ZN7rocprim17ROCPRIM_400000_NS6detail17trampoline_kernelINS0_14default_configENS1_25transform_config_selectorIdLb0EEEZNS1_14transform_implILb0ES3_S5_NS0_18transform_iteratorINS0_17counting_iteratorImlEEZNS1_24adjacent_difference_implIS3_Lb1ELb0EPdSB_N6thrust23THRUST_200600_302600_NS5minusIdEEEE10hipError_tPvRmT2_T3_mT4_P12ihipStream_tbEUlmE_dEESB_NS0_8identityIvEEEESG_SJ_SK_mSL_SN_bEUlT_E_NS1_11comp_targetILNS1_3genE10ELNS1_11target_archE1200ELNS1_3gpuE4ELNS1_3repE0EEENS1_30default_config_static_selectorELNS0_4arch9wavefront6targetE1EEEvT1_.kd
    .uniform_work_group_size: 1
    .uses_dynamic_stack: false
    .vgpr_count:     0
    .vgpr_spill_count: 0
    .wavefront_size: 64
  - .agpr_count:     0
    .args:
      - .offset:         0
        .size:           56
        .value_kind:     by_value
    .group_segment_fixed_size: 0
    .kernarg_segment_align: 8
    .kernarg_segment_size: 56
    .language:       OpenCL C
    .language_version:
      - 2
      - 0
    .max_flat_workgroup_size: 512
    .name:           _ZN7rocprim17ROCPRIM_400000_NS6detail17trampoline_kernelINS0_14default_configENS1_25transform_config_selectorIdLb0EEEZNS1_14transform_implILb0ES3_S5_NS0_18transform_iteratorINS0_17counting_iteratorImlEEZNS1_24adjacent_difference_implIS3_Lb1ELb0EPdSB_N6thrust23THRUST_200600_302600_NS5minusIdEEEE10hipError_tPvRmT2_T3_mT4_P12ihipStream_tbEUlmE_dEESB_NS0_8identityIvEEEESG_SJ_SK_mSL_SN_bEUlT_E_NS1_11comp_targetILNS1_3genE9ELNS1_11target_archE1100ELNS1_3gpuE3ELNS1_3repE0EEENS1_30default_config_static_selectorELNS0_4arch9wavefront6targetE1EEEvT1_
    .private_segment_fixed_size: 0
    .sgpr_count:     6
    .sgpr_spill_count: 0
    .symbol:         _ZN7rocprim17ROCPRIM_400000_NS6detail17trampoline_kernelINS0_14default_configENS1_25transform_config_selectorIdLb0EEEZNS1_14transform_implILb0ES3_S5_NS0_18transform_iteratorINS0_17counting_iteratorImlEEZNS1_24adjacent_difference_implIS3_Lb1ELb0EPdSB_N6thrust23THRUST_200600_302600_NS5minusIdEEEE10hipError_tPvRmT2_T3_mT4_P12ihipStream_tbEUlmE_dEESB_NS0_8identityIvEEEESG_SJ_SK_mSL_SN_bEUlT_E_NS1_11comp_targetILNS1_3genE9ELNS1_11target_archE1100ELNS1_3gpuE3ELNS1_3repE0EEENS1_30default_config_static_selectorELNS0_4arch9wavefront6targetE1EEEvT1_.kd
    .uniform_work_group_size: 1
    .uses_dynamic_stack: false
    .vgpr_count:     0
    .vgpr_spill_count: 0
    .wavefront_size: 64
  - .agpr_count:     0
    .args:
      - .offset:         0
        .size:           56
        .value_kind:     by_value
    .group_segment_fixed_size: 0
    .kernarg_segment_align: 8
    .kernarg_segment_size: 56
    .language:       OpenCL C
    .language_version:
      - 2
      - 0
    .max_flat_workgroup_size: 512
    .name:           _ZN7rocprim17ROCPRIM_400000_NS6detail17trampoline_kernelINS0_14default_configENS1_25transform_config_selectorIdLb0EEEZNS1_14transform_implILb0ES3_S5_NS0_18transform_iteratorINS0_17counting_iteratorImlEEZNS1_24adjacent_difference_implIS3_Lb1ELb0EPdSB_N6thrust23THRUST_200600_302600_NS5minusIdEEEE10hipError_tPvRmT2_T3_mT4_P12ihipStream_tbEUlmE_dEESB_NS0_8identityIvEEEESG_SJ_SK_mSL_SN_bEUlT_E_NS1_11comp_targetILNS1_3genE8ELNS1_11target_archE1030ELNS1_3gpuE2ELNS1_3repE0EEENS1_30default_config_static_selectorELNS0_4arch9wavefront6targetE1EEEvT1_
    .private_segment_fixed_size: 0
    .sgpr_count:     6
    .sgpr_spill_count: 0
    .symbol:         _ZN7rocprim17ROCPRIM_400000_NS6detail17trampoline_kernelINS0_14default_configENS1_25transform_config_selectorIdLb0EEEZNS1_14transform_implILb0ES3_S5_NS0_18transform_iteratorINS0_17counting_iteratorImlEEZNS1_24adjacent_difference_implIS3_Lb1ELb0EPdSB_N6thrust23THRUST_200600_302600_NS5minusIdEEEE10hipError_tPvRmT2_T3_mT4_P12ihipStream_tbEUlmE_dEESB_NS0_8identityIvEEEESG_SJ_SK_mSL_SN_bEUlT_E_NS1_11comp_targetILNS1_3genE8ELNS1_11target_archE1030ELNS1_3gpuE2ELNS1_3repE0EEENS1_30default_config_static_selectorELNS0_4arch9wavefront6targetE1EEEvT1_.kd
    .uniform_work_group_size: 1
    .uses_dynamic_stack: false
    .vgpr_count:     0
    .vgpr_spill_count: 0
    .wavefront_size: 64
  - .agpr_count:     0
    .args:
      - .offset:         0
        .size:           56
        .value_kind:     by_value
    .group_segment_fixed_size: 0
    .kernarg_segment_align: 8
    .kernarg_segment_size: 56
    .language:       OpenCL C
    .language_version:
      - 2
      - 0
    .max_flat_workgroup_size: 512
    .name:           _ZN7rocprim17ROCPRIM_400000_NS6detail17trampoline_kernelINS0_14default_configENS1_35adjacent_difference_config_selectorILb1EdEEZNS1_24adjacent_difference_implIS3_Lb1ELb0EPdS7_N6thrust23THRUST_200600_302600_NS5minusIdEEEE10hipError_tPvRmT2_T3_mT4_P12ihipStream_tbEUlT_E_NS1_11comp_targetILNS1_3genE0ELNS1_11target_archE4294967295ELNS1_3gpuE0ELNS1_3repE0EEENS1_30default_config_static_selectorELNS0_4arch9wavefront6targetE1EEEvT1_
    .private_segment_fixed_size: 0
    .sgpr_count:     6
    .sgpr_spill_count: 0
    .symbol:         _ZN7rocprim17ROCPRIM_400000_NS6detail17trampoline_kernelINS0_14default_configENS1_35adjacent_difference_config_selectorILb1EdEEZNS1_24adjacent_difference_implIS3_Lb1ELb0EPdS7_N6thrust23THRUST_200600_302600_NS5minusIdEEEE10hipError_tPvRmT2_T3_mT4_P12ihipStream_tbEUlT_E_NS1_11comp_targetILNS1_3genE0ELNS1_11target_archE4294967295ELNS1_3gpuE0ELNS1_3repE0EEENS1_30default_config_static_selectorELNS0_4arch9wavefront6targetE1EEEvT1_.kd
    .uniform_work_group_size: 1
    .uses_dynamic_stack: false
    .vgpr_count:     0
    .vgpr_spill_count: 0
    .wavefront_size: 64
  - .agpr_count:     0
    .args:
      - .offset:         0
        .size:           56
        .value_kind:     by_value
    .group_segment_fixed_size: 0
    .kernarg_segment_align: 8
    .kernarg_segment_size: 56
    .language:       OpenCL C
    .language_version:
      - 2
      - 0
    .max_flat_workgroup_size: 256
    .name:           _ZN7rocprim17ROCPRIM_400000_NS6detail17trampoline_kernelINS0_14default_configENS1_35adjacent_difference_config_selectorILb1EdEEZNS1_24adjacent_difference_implIS3_Lb1ELb0EPdS7_N6thrust23THRUST_200600_302600_NS5minusIdEEEE10hipError_tPvRmT2_T3_mT4_P12ihipStream_tbEUlT_E_NS1_11comp_targetILNS1_3genE10ELNS1_11target_archE1201ELNS1_3gpuE5ELNS1_3repE0EEENS1_30default_config_static_selectorELNS0_4arch9wavefront6targetE1EEEvT1_
    .private_segment_fixed_size: 0
    .sgpr_count:     6
    .sgpr_spill_count: 0
    .symbol:         _ZN7rocprim17ROCPRIM_400000_NS6detail17trampoline_kernelINS0_14default_configENS1_35adjacent_difference_config_selectorILb1EdEEZNS1_24adjacent_difference_implIS3_Lb1ELb0EPdS7_N6thrust23THRUST_200600_302600_NS5minusIdEEEE10hipError_tPvRmT2_T3_mT4_P12ihipStream_tbEUlT_E_NS1_11comp_targetILNS1_3genE10ELNS1_11target_archE1201ELNS1_3gpuE5ELNS1_3repE0EEENS1_30default_config_static_selectorELNS0_4arch9wavefront6targetE1EEEvT1_.kd
    .uniform_work_group_size: 1
    .uses_dynamic_stack: false
    .vgpr_count:     0
    .vgpr_spill_count: 0
    .wavefront_size: 64
  - .agpr_count:     0
    .args:
      - .offset:         0
        .size:           56
        .value_kind:     by_value
    .group_segment_fixed_size: 2112
    .kernarg_segment_align: 8
    .kernarg_segment_size: 56
    .language:       OpenCL C
    .language_version:
      - 2
      - 0
    .max_flat_workgroup_size: 128
    .name:           _ZN7rocprim17ROCPRIM_400000_NS6detail17trampoline_kernelINS0_14default_configENS1_35adjacent_difference_config_selectorILb1EdEEZNS1_24adjacent_difference_implIS3_Lb1ELb0EPdS7_N6thrust23THRUST_200600_302600_NS5minusIdEEEE10hipError_tPvRmT2_T3_mT4_P12ihipStream_tbEUlT_E_NS1_11comp_targetILNS1_3genE5ELNS1_11target_archE942ELNS1_3gpuE9ELNS1_3repE0EEENS1_30default_config_static_selectorELNS0_4arch9wavefront6targetE1EEEvT1_
    .private_segment_fixed_size: 0
    .sgpr_count:     34
    .sgpr_spill_count: 0
    .symbol:         _ZN7rocprim17ROCPRIM_400000_NS6detail17trampoline_kernelINS0_14default_configENS1_35adjacent_difference_config_selectorILb1EdEEZNS1_24adjacent_difference_implIS3_Lb1ELb0EPdS7_N6thrust23THRUST_200600_302600_NS5minusIdEEEE10hipError_tPvRmT2_T3_mT4_P12ihipStream_tbEUlT_E_NS1_11comp_targetILNS1_3genE5ELNS1_11target_archE942ELNS1_3gpuE9ELNS1_3repE0EEENS1_30default_config_static_selectorELNS0_4arch9wavefront6targetE1EEEvT1_.kd
    .uniform_work_group_size: 1
    .uses_dynamic_stack: false
    .vgpr_count:     16
    .vgpr_spill_count: 0
    .wavefront_size: 64
  - .agpr_count:     0
    .args:
      - .offset:         0
        .size:           56
        .value_kind:     by_value
    .group_segment_fixed_size: 0
    .kernarg_segment_align: 8
    .kernarg_segment_size: 56
    .language:       OpenCL C
    .language_version:
      - 2
      - 0
    .max_flat_workgroup_size: 512
    .name:           _ZN7rocprim17ROCPRIM_400000_NS6detail17trampoline_kernelINS0_14default_configENS1_35adjacent_difference_config_selectorILb1EdEEZNS1_24adjacent_difference_implIS3_Lb1ELb0EPdS7_N6thrust23THRUST_200600_302600_NS5minusIdEEEE10hipError_tPvRmT2_T3_mT4_P12ihipStream_tbEUlT_E_NS1_11comp_targetILNS1_3genE4ELNS1_11target_archE910ELNS1_3gpuE8ELNS1_3repE0EEENS1_30default_config_static_selectorELNS0_4arch9wavefront6targetE1EEEvT1_
    .private_segment_fixed_size: 0
    .sgpr_count:     6
    .sgpr_spill_count: 0
    .symbol:         _ZN7rocprim17ROCPRIM_400000_NS6detail17trampoline_kernelINS0_14default_configENS1_35adjacent_difference_config_selectorILb1EdEEZNS1_24adjacent_difference_implIS3_Lb1ELb0EPdS7_N6thrust23THRUST_200600_302600_NS5minusIdEEEE10hipError_tPvRmT2_T3_mT4_P12ihipStream_tbEUlT_E_NS1_11comp_targetILNS1_3genE4ELNS1_11target_archE910ELNS1_3gpuE8ELNS1_3repE0EEENS1_30default_config_static_selectorELNS0_4arch9wavefront6targetE1EEEvT1_.kd
    .uniform_work_group_size: 1
    .uses_dynamic_stack: false
    .vgpr_count:     0
    .vgpr_spill_count: 0
    .wavefront_size: 64
  - .agpr_count:     0
    .args:
      - .offset:         0
        .size:           56
        .value_kind:     by_value
    .group_segment_fixed_size: 0
    .kernarg_segment_align: 8
    .kernarg_segment_size: 56
    .language:       OpenCL C
    .language_version:
      - 2
      - 0
    .max_flat_workgroup_size: 512
    .name:           _ZN7rocprim17ROCPRIM_400000_NS6detail17trampoline_kernelINS0_14default_configENS1_35adjacent_difference_config_selectorILb1EdEEZNS1_24adjacent_difference_implIS3_Lb1ELb0EPdS7_N6thrust23THRUST_200600_302600_NS5minusIdEEEE10hipError_tPvRmT2_T3_mT4_P12ihipStream_tbEUlT_E_NS1_11comp_targetILNS1_3genE3ELNS1_11target_archE908ELNS1_3gpuE7ELNS1_3repE0EEENS1_30default_config_static_selectorELNS0_4arch9wavefront6targetE1EEEvT1_
    .private_segment_fixed_size: 0
    .sgpr_count:     6
    .sgpr_spill_count: 0
    .symbol:         _ZN7rocprim17ROCPRIM_400000_NS6detail17trampoline_kernelINS0_14default_configENS1_35adjacent_difference_config_selectorILb1EdEEZNS1_24adjacent_difference_implIS3_Lb1ELb0EPdS7_N6thrust23THRUST_200600_302600_NS5minusIdEEEE10hipError_tPvRmT2_T3_mT4_P12ihipStream_tbEUlT_E_NS1_11comp_targetILNS1_3genE3ELNS1_11target_archE908ELNS1_3gpuE7ELNS1_3repE0EEENS1_30default_config_static_selectorELNS0_4arch9wavefront6targetE1EEEvT1_.kd
    .uniform_work_group_size: 1
    .uses_dynamic_stack: false
    .vgpr_count:     0
    .vgpr_spill_count: 0
    .wavefront_size: 64
  - .agpr_count:     0
    .args:
      - .offset:         0
        .size:           56
        .value_kind:     by_value
    .group_segment_fixed_size: 0
    .kernarg_segment_align: 8
    .kernarg_segment_size: 56
    .language:       OpenCL C
    .language_version:
      - 2
      - 0
    .max_flat_workgroup_size: 128
    .name:           _ZN7rocprim17ROCPRIM_400000_NS6detail17trampoline_kernelINS0_14default_configENS1_35adjacent_difference_config_selectorILb1EdEEZNS1_24adjacent_difference_implIS3_Lb1ELb0EPdS7_N6thrust23THRUST_200600_302600_NS5minusIdEEEE10hipError_tPvRmT2_T3_mT4_P12ihipStream_tbEUlT_E_NS1_11comp_targetILNS1_3genE2ELNS1_11target_archE906ELNS1_3gpuE6ELNS1_3repE0EEENS1_30default_config_static_selectorELNS0_4arch9wavefront6targetE1EEEvT1_
    .private_segment_fixed_size: 0
    .sgpr_count:     6
    .sgpr_spill_count: 0
    .symbol:         _ZN7rocprim17ROCPRIM_400000_NS6detail17trampoline_kernelINS0_14default_configENS1_35adjacent_difference_config_selectorILb1EdEEZNS1_24adjacent_difference_implIS3_Lb1ELb0EPdS7_N6thrust23THRUST_200600_302600_NS5minusIdEEEE10hipError_tPvRmT2_T3_mT4_P12ihipStream_tbEUlT_E_NS1_11comp_targetILNS1_3genE2ELNS1_11target_archE906ELNS1_3gpuE6ELNS1_3repE0EEENS1_30default_config_static_selectorELNS0_4arch9wavefront6targetE1EEEvT1_.kd
    .uniform_work_group_size: 1
    .uses_dynamic_stack: false
    .vgpr_count:     0
    .vgpr_spill_count: 0
    .wavefront_size: 64
  - .agpr_count:     0
    .args:
      - .offset:         0
        .size:           56
        .value_kind:     by_value
    .group_segment_fixed_size: 0
    .kernarg_segment_align: 8
    .kernarg_segment_size: 56
    .language:       OpenCL C
    .language_version:
      - 2
      - 0
    .max_flat_workgroup_size: 128
    .name:           _ZN7rocprim17ROCPRIM_400000_NS6detail17trampoline_kernelINS0_14default_configENS1_35adjacent_difference_config_selectorILb1EdEEZNS1_24adjacent_difference_implIS3_Lb1ELb0EPdS7_N6thrust23THRUST_200600_302600_NS5minusIdEEEE10hipError_tPvRmT2_T3_mT4_P12ihipStream_tbEUlT_E_NS1_11comp_targetILNS1_3genE9ELNS1_11target_archE1100ELNS1_3gpuE3ELNS1_3repE0EEENS1_30default_config_static_selectorELNS0_4arch9wavefront6targetE1EEEvT1_
    .private_segment_fixed_size: 0
    .sgpr_count:     6
    .sgpr_spill_count: 0
    .symbol:         _ZN7rocprim17ROCPRIM_400000_NS6detail17trampoline_kernelINS0_14default_configENS1_35adjacent_difference_config_selectorILb1EdEEZNS1_24adjacent_difference_implIS3_Lb1ELb0EPdS7_N6thrust23THRUST_200600_302600_NS5minusIdEEEE10hipError_tPvRmT2_T3_mT4_P12ihipStream_tbEUlT_E_NS1_11comp_targetILNS1_3genE9ELNS1_11target_archE1100ELNS1_3gpuE3ELNS1_3repE0EEENS1_30default_config_static_selectorELNS0_4arch9wavefront6targetE1EEEvT1_.kd
    .uniform_work_group_size: 1
    .uses_dynamic_stack: false
    .vgpr_count:     0
    .vgpr_spill_count: 0
    .wavefront_size: 64
  - .agpr_count:     0
    .args:
      - .offset:         0
        .size:           56
        .value_kind:     by_value
    .group_segment_fixed_size: 0
    .kernarg_segment_align: 8
    .kernarg_segment_size: 56
    .language:       OpenCL C
    .language_version:
      - 2
      - 0
    .max_flat_workgroup_size: 32
    .name:           _ZN7rocprim17ROCPRIM_400000_NS6detail17trampoline_kernelINS0_14default_configENS1_35adjacent_difference_config_selectorILb1EdEEZNS1_24adjacent_difference_implIS3_Lb1ELb0EPdS7_N6thrust23THRUST_200600_302600_NS5minusIdEEEE10hipError_tPvRmT2_T3_mT4_P12ihipStream_tbEUlT_E_NS1_11comp_targetILNS1_3genE8ELNS1_11target_archE1030ELNS1_3gpuE2ELNS1_3repE0EEENS1_30default_config_static_selectorELNS0_4arch9wavefront6targetE1EEEvT1_
    .private_segment_fixed_size: 0
    .sgpr_count:     6
    .sgpr_spill_count: 0
    .symbol:         _ZN7rocprim17ROCPRIM_400000_NS6detail17trampoline_kernelINS0_14default_configENS1_35adjacent_difference_config_selectorILb1EdEEZNS1_24adjacent_difference_implIS3_Lb1ELb0EPdS7_N6thrust23THRUST_200600_302600_NS5minusIdEEEE10hipError_tPvRmT2_T3_mT4_P12ihipStream_tbEUlT_E_NS1_11comp_targetILNS1_3genE8ELNS1_11target_archE1030ELNS1_3gpuE2ELNS1_3repE0EEENS1_30default_config_static_selectorELNS0_4arch9wavefront6targetE1EEEvT1_.kd
    .uniform_work_group_size: 1
    .uses_dynamic_stack: false
    .vgpr_count:     0
    .vgpr_spill_count: 0
    .wavefront_size: 64
  - .agpr_count:     0
    .args:
      - .offset:         0
        .size:           56
        .value_kind:     by_value
    .group_segment_fixed_size: 0
    .kernarg_segment_align: 8
    .kernarg_segment_size: 56
    .language:       OpenCL C
    .language_version:
      - 2
      - 0
    .max_flat_workgroup_size: 128
    .name:           _ZN7rocprim17ROCPRIM_400000_NS6detail17trampoline_kernelINS0_14default_configENS1_35adjacent_difference_config_selectorILb0EdEEZNS1_24adjacent_difference_implIS3_Lb0ELb0EPdS7_N6thrust23THRUST_200600_302600_NS4plusIdEEEE10hipError_tPvRmT2_T3_mT4_P12ihipStream_tbEUlT_E_NS1_11comp_targetILNS1_3genE0ELNS1_11target_archE4294967295ELNS1_3gpuE0ELNS1_3repE0EEENS1_30default_config_static_selectorELNS0_4arch9wavefront6targetE1EEEvT1_
    .private_segment_fixed_size: 0
    .sgpr_count:     6
    .sgpr_spill_count: 0
    .symbol:         _ZN7rocprim17ROCPRIM_400000_NS6detail17trampoline_kernelINS0_14default_configENS1_35adjacent_difference_config_selectorILb0EdEEZNS1_24adjacent_difference_implIS3_Lb0ELb0EPdS7_N6thrust23THRUST_200600_302600_NS4plusIdEEEE10hipError_tPvRmT2_T3_mT4_P12ihipStream_tbEUlT_E_NS1_11comp_targetILNS1_3genE0ELNS1_11target_archE4294967295ELNS1_3gpuE0ELNS1_3repE0EEENS1_30default_config_static_selectorELNS0_4arch9wavefront6targetE1EEEvT1_.kd
    .uniform_work_group_size: 1
    .uses_dynamic_stack: false
    .vgpr_count:     0
    .vgpr_spill_count: 0
    .wavefront_size: 64
  - .agpr_count:     0
    .args:
      - .offset:         0
        .size:           56
        .value_kind:     by_value
    .group_segment_fixed_size: 0
    .kernarg_segment_align: 8
    .kernarg_segment_size: 56
    .language:       OpenCL C
    .language_version:
      - 2
      - 0
    .max_flat_workgroup_size: 32
    .name:           _ZN7rocprim17ROCPRIM_400000_NS6detail17trampoline_kernelINS0_14default_configENS1_35adjacent_difference_config_selectorILb0EdEEZNS1_24adjacent_difference_implIS3_Lb0ELb0EPdS7_N6thrust23THRUST_200600_302600_NS4plusIdEEEE10hipError_tPvRmT2_T3_mT4_P12ihipStream_tbEUlT_E_NS1_11comp_targetILNS1_3genE10ELNS1_11target_archE1201ELNS1_3gpuE5ELNS1_3repE0EEENS1_30default_config_static_selectorELNS0_4arch9wavefront6targetE1EEEvT1_
    .private_segment_fixed_size: 0
    .sgpr_count:     6
    .sgpr_spill_count: 0
    .symbol:         _ZN7rocprim17ROCPRIM_400000_NS6detail17trampoline_kernelINS0_14default_configENS1_35adjacent_difference_config_selectorILb0EdEEZNS1_24adjacent_difference_implIS3_Lb0ELb0EPdS7_N6thrust23THRUST_200600_302600_NS4plusIdEEEE10hipError_tPvRmT2_T3_mT4_P12ihipStream_tbEUlT_E_NS1_11comp_targetILNS1_3genE10ELNS1_11target_archE1201ELNS1_3gpuE5ELNS1_3repE0EEENS1_30default_config_static_selectorELNS0_4arch9wavefront6targetE1EEEvT1_.kd
    .uniform_work_group_size: 1
    .uses_dynamic_stack: false
    .vgpr_count:     0
    .vgpr_spill_count: 0
    .wavefront_size: 64
  - .agpr_count:     0
    .args:
      - .offset:         0
        .size:           56
        .value_kind:     by_value
    .group_segment_fixed_size: 6656
    .kernarg_segment_align: 8
    .kernarg_segment_size: 56
    .language:       OpenCL C
    .language_version:
      - 2
      - 0
    .max_flat_workgroup_size: 64
    .name:           _ZN7rocprim17ROCPRIM_400000_NS6detail17trampoline_kernelINS0_14default_configENS1_35adjacent_difference_config_selectorILb0EdEEZNS1_24adjacent_difference_implIS3_Lb0ELb0EPdS7_N6thrust23THRUST_200600_302600_NS4plusIdEEEE10hipError_tPvRmT2_T3_mT4_P12ihipStream_tbEUlT_E_NS1_11comp_targetILNS1_3genE5ELNS1_11target_archE942ELNS1_3gpuE9ELNS1_3repE0EEENS1_30default_config_static_selectorELNS0_4arch9wavefront6targetE1EEEvT1_
    .private_segment_fixed_size: 0
    .sgpr_count:     29
    .sgpr_spill_count: 0
    .symbol:         _ZN7rocprim17ROCPRIM_400000_NS6detail17trampoline_kernelINS0_14default_configENS1_35adjacent_difference_config_selectorILb0EdEEZNS1_24adjacent_difference_implIS3_Lb0ELb0EPdS7_N6thrust23THRUST_200600_302600_NS4plusIdEEEE10hipError_tPvRmT2_T3_mT4_P12ihipStream_tbEUlT_E_NS1_11comp_targetILNS1_3genE5ELNS1_11target_archE942ELNS1_3gpuE9ELNS1_3repE0EEENS1_30default_config_static_selectorELNS0_4arch9wavefront6targetE1EEEvT1_.kd
    .uniform_work_group_size: 1
    .uses_dynamic_stack: false
    .vgpr_count:     68
    .vgpr_spill_count: 0
    .wavefront_size: 64
  - .agpr_count:     0
    .args:
      - .offset:         0
        .size:           56
        .value_kind:     by_value
    .group_segment_fixed_size: 0
    .kernarg_segment_align: 8
    .kernarg_segment_size: 56
    .language:       OpenCL C
    .language_version:
      - 2
      - 0
    .max_flat_workgroup_size: 256
    .name:           _ZN7rocprim17ROCPRIM_400000_NS6detail17trampoline_kernelINS0_14default_configENS1_35adjacent_difference_config_selectorILb0EdEEZNS1_24adjacent_difference_implIS3_Lb0ELb0EPdS7_N6thrust23THRUST_200600_302600_NS4plusIdEEEE10hipError_tPvRmT2_T3_mT4_P12ihipStream_tbEUlT_E_NS1_11comp_targetILNS1_3genE4ELNS1_11target_archE910ELNS1_3gpuE8ELNS1_3repE0EEENS1_30default_config_static_selectorELNS0_4arch9wavefront6targetE1EEEvT1_
    .private_segment_fixed_size: 0
    .sgpr_count:     6
    .sgpr_spill_count: 0
    .symbol:         _ZN7rocprim17ROCPRIM_400000_NS6detail17trampoline_kernelINS0_14default_configENS1_35adjacent_difference_config_selectorILb0EdEEZNS1_24adjacent_difference_implIS3_Lb0ELb0EPdS7_N6thrust23THRUST_200600_302600_NS4plusIdEEEE10hipError_tPvRmT2_T3_mT4_P12ihipStream_tbEUlT_E_NS1_11comp_targetILNS1_3genE4ELNS1_11target_archE910ELNS1_3gpuE8ELNS1_3repE0EEENS1_30default_config_static_selectorELNS0_4arch9wavefront6targetE1EEEvT1_.kd
    .uniform_work_group_size: 1
    .uses_dynamic_stack: false
    .vgpr_count:     0
    .vgpr_spill_count: 0
    .wavefront_size: 64
  - .agpr_count:     0
    .args:
      - .offset:         0
        .size:           56
        .value_kind:     by_value
    .group_segment_fixed_size: 0
    .kernarg_segment_align: 8
    .kernarg_segment_size: 56
    .language:       OpenCL C
    .language_version:
      - 2
      - 0
    .max_flat_workgroup_size: 128
    .name:           _ZN7rocprim17ROCPRIM_400000_NS6detail17trampoline_kernelINS0_14default_configENS1_35adjacent_difference_config_selectorILb0EdEEZNS1_24adjacent_difference_implIS3_Lb0ELb0EPdS7_N6thrust23THRUST_200600_302600_NS4plusIdEEEE10hipError_tPvRmT2_T3_mT4_P12ihipStream_tbEUlT_E_NS1_11comp_targetILNS1_3genE3ELNS1_11target_archE908ELNS1_3gpuE7ELNS1_3repE0EEENS1_30default_config_static_selectorELNS0_4arch9wavefront6targetE1EEEvT1_
    .private_segment_fixed_size: 0
    .sgpr_count:     6
    .sgpr_spill_count: 0
    .symbol:         _ZN7rocprim17ROCPRIM_400000_NS6detail17trampoline_kernelINS0_14default_configENS1_35adjacent_difference_config_selectorILb0EdEEZNS1_24adjacent_difference_implIS3_Lb0ELb0EPdS7_N6thrust23THRUST_200600_302600_NS4plusIdEEEE10hipError_tPvRmT2_T3_mT4_P12ihipStream_tbEUlT_E_NS1_11comp_targetILNS1_3genE3ELNS1_11target_archE908ELNS1_3gpuE7ELNS1_3repE0EEENS1_30default_config_static_selectorELNS0_4arch9wavefront6targetE1EEEvT1_.kd
    .uniform_work_group_size: 1
    .uses_dynamic_stack: false
    .vgpr_count:     0
    .vgpr_spill_count: 0
    .wavefront_size: 64
  - .agpr_count:     0
    .args:
      - .offset:         0
        .size:           56
        .value_kind:     by_value
    .group_segment_fixed_size: 0
    .kernarg_segment_align: 8
    .kernarg_segment_size: 56
    .language:       OpenCL C
    .language_version:
      - 2
      - 0
    .max_flat_workgroup_size: 1024
    .name:           _ZN7rocprim17ROCPRIM_400000_NS6detail17trampoline_kernelINS0_14default_configENS1_35adjacent_difference_config_selectorILb0EdEEZNS1_24adjacent_difference_implIS3_Lb0ELb0EPdS7_N6thrust23THRUST_200600_302600_NS4plusIdEEEE10hipError_tPvRmT2_T3_mT4_P12ihipStream_tbEUlT_E_NS1_11comp_targetILNS1_3genE2ELNS1_11target_archE906ELNS1_3gpuE6ELNS1_3repE0EEENS1_30default_config_static_selectorELNS0_4arch9wavefront6targetE1EEEvT1_
    .private_segment_fixed_size: 0
    .sgpr_count:     6
    .sgpr_spill_count: 0
    .symbol:         _ZN7rocprim17ROCPRIM_400000_NS6detail17trampoline_kernelINS0_14default_configENS1_35adjacent_difference_config_selectorILb0EdEEZNS1_24adjacent_difference_implIS3_Lb0ELb0EPdS7_N6thrust23THRUST_200600_302600_NS4plusIdEEEE10hipError_tPvRmT2_T3_mT4_P12ihipStream_tbEUlT_E_NS1_11comp_targetILNS1_3genE2ELNS1_11target_archE906ELNS1_3gpuE6ELNS1_3repE0EEENS1_30default_config_static_selectorELNS0_4arch9wavefront6targetE1EEEvT1_.kd
    .uniform_work_group_size: 1
    .uses_dynamic_stack: false
    .vgpr_count:     0
    .vgpr_spill_count: 0
    .wavefront_size: 64
  - .agpr_count:     0
    .args:
      - .offset:         0
        .size:           56
        .value_kind:     by_value
    .group_segment_fixed_size: 0
    .kernarg_segment_align: 8
    .kernarg_segment_size: 56
    .language:       OpenCL C
    .language_version:
      - 2
      - 0
    .max_flat_workgroup_size: 1024
    .name:           _ZN7rocprim17ROCPRIM_400000_NS6detail17trampoline_kernelINS0_14default_configENS1_35adjacent_difference_config_selectorILb0EdEEZNS1_24adjacent_difference_implIS3_Lb0ELb0EPdS7_N6thrust23THRUST_200600_302600_NS4plusIdEEEE10hipError_tPvRmT2_T3_mT4_P12ihipStream_tbEUlT_E_NS1_11comp_targetILNS1_3genE9ELNS1_11target_archE1100ELNS1_3gpuE3ELNS1_3repE0EEENS1_30default_config_static_selectorELNS0_4arch9wavefront6targetE1EEEvT1_
    .private_segment_fixed_size: 0
    .sgpr_count:     6
    .sgpr_spill_count: 0
    .symbol:         _ZN7rocprim17ROCPRIM_400000_NS6detail17trampoline_kernelINS0_14default_configENS1_35adjacent_difference_config_selectorILb0EdEEZNS1_24adjacent_difference_implIS3_Lb0ELb0EPdS7_N6thrust23THRUST_200600_302600_NS4plusIdEEEE10hipError_tPvRmT2_T3_mT4_P12ihipStream_tbEUlT_E_NS1_11comp_targetILNS1_3genE9ELNS1_11target_archE1100ELNS1_3gpuE3ELNS1_3repE0EEENS1_30default_config_static_selectorELNS0_4arch9wavefront6targetE1EEEvT1_.kd
    .uniform_work_group_size: 1
    .uses_dynamic_stack: false
    .vgpr_count:     0
    .vgpr_spill_count: 0
    .wavefront_size: 64
  - .agpr_count:     0
    .args:
      - .offset:         0
        .size:           56
        .value_kind:     by_value
    .group_segment_fixed_size: 0
    .kernarg_segment_align: 8
    .kernarg_segment_size: 56
    .language:       OpenCL C
    .language_version:
      - 2
      - 0
    .max_flat_workgroup_size: 1024
    .name:           _ZN7rocprim17ROCPRIM_400000_NS6detail17trampoline_kernelINS0_14default_configENS1_35adjacent_difference_config_selectorILb0EdEEZNS1_24adjacent_difference_implIS3_Lb0ELb0EPdS7_N6thrust23THRUST_200600_302600_NS4plusIdEEEE10hipError_tPvRmT2_T3_mT4_P12ihipStream_tbEUlT_E_NS1_11comp_targetILNS1_3genE8ELNS1_11target_archE1030ELNS1_3gpuE2ELNS1_3repE0EEENS1_30default_config_static_selectorELNS0_4arch9wavefront6targetE1EEEvT1_
    .private_segment_fixed_size: 0
    .sgpr_count:     6
    .sgpr_spill_count: 0
    .symbol:         _ZN7rocprim17ROCPRIM_400000_NS6detail17trampoline_kernelINS0_14default_configENS1_35adjacent_difference_config_selectorILb0EdEEZNS1_24adjacent_difference_implIS3_Lb0ELb0EPdS7_N6thrust23THRUST_200600_302600_NS4plusIdEEEE10hipError_tPvRmT2_T3_mT4_P12ihipStream_tbEUlT_E_NS1_11comp_targetILNS1_3genE8ELNS1_11target_archE1030ELNS1_3gpuE2ELNS1_3repE0EEENS1_30default_config_static_selectorELNS0_4arch9wavefront6targetE1EEEvT1_.kd
    .uniform_work_group_size: 1
    .uses_dynamic_stack: false
    .vgpr_count:     0
    .vgpr_spill_count: 0
    .wavefront_size: 64
  - .agpr_count:     0
    .args:
      - .offset:         0
        .size:           56
        .value_kind:     by_value
    .group_segment_fixed_size: 0
    .kernarg_segment_align: 8
    .kernarg_segment_size: 56
    .language:       OpenCL C
    .language_version:
      - 2
      - 0
    .max_flat_workgroup_size: 128
    .name:           _ZN7rocprim17ROCPRIM_400000_NS6detail17trampoline_kernelINS0_14default_configENS1_25transform_config_selectorIdLb0EEEZNS1_14transform_implILb0ES3_S5_NS0_18transform_iteratorINS0_17counting_iteratorImlEEZNS1_24adjacent_difference_implIS3_Lb1ELb0EPdSB_N6thrust23THRUST_200600_302600_NS4plusIdEEEE10hipError_tPvRmT2_T3_mT4_P12ihipStream_tbEUlmE_dEESB_NS0_8identityIvEEEESG_SJ_SK_mSL_SN_bEUlT_E_NS1_11comp_targetILNS1_3genE0ELNS1_11target_archE4294967295ELNS1_3gpuE0ELNS1_3repE0EEENS1_30default_config_static_selectorELNS0_4arch9wavefront6targetE1EEEvT1_
    .private_segment_fixed_size: 0
    .sgpr_count:     6
    .sgpr_spill_count: 0
    .symbol:         _ZN7rocprim17ROCPRIM_400000_NS6detail17trampoline_kernelINS0_14default_configENS1_25transform_config_selectorIdLb0EEEZNS1_14transform_implILb0ES3_S5_NS0_18transform_iteratorINS0_17counting_iteratorImlEEZNS1_24adjacent_difference_implIS3_Lb1ELb0EPdSB_N6thrust23THRUST_200600_302600_NS4plusIdEEEE10hipError_tPvRmT2_T3_mT4_P12ihipStream_tbEUlmE_dEESB_NS0_8identityIvEEEESG_SJ_SK_mSL_SN_bEUlT_E_NS1_11comp_targetILNS1_3genE0ELNS1_11target_archE4294967295ELNS1_3gpuE0ELNS1_3repE0EEENS1_30default_config_static_selectorELNS0_4arch9wavefront6targetE1EEEvT1_.kd
    .uniform_work_group_size: 1
    .uses_dynamic_stack: false
    .vgpr_count:     0
    .vgpr_spill_count: 0
    .wavefront_size: 64
  - .agpr_count:     0
    .args:
      - .offset:         0
        .size:           56
        .value_kind:     by_value
      - .offset:         56
        .size:           4
        .value_kind:     hidden_block_count_x
      - .offset:         60
        .size:           4
        .value_kind:     hidden_block_count_y
      - .offset:         64
        .size:           4
        .value_kind:     hidden_block_count_z
      - .offset:         68
        .size:           2
        .value_kind:     hidden_group_size_x
      - .offset:         70
        .size:           2
        .value_kind:     hidden_group_size_y
      - .offset:         72
        .size:           2
        .value_kind:     hidden_group_size_z
      - .offset:         74
        .size:           2
        .value_kind:     hidden_remainder_x
      - .offset:         76
        .size:           2
        .value_kind:     hidden_remainder_y
      - .offset:         78
        .size:           2
        .value_kind:     hidden_remainder_z
      - .offset:         96
        .size:           8
        .value_kind:     hidden_global_offset_x
      - .offset:         104
        .size:           8
        .value_kind:     hidden_global_offset_y
      - .offset:         112
        .size:           8
        .value_kind:     hidden_global_offset_z
      - .offset:         120
        .size:           2
        .value_kind:     hidden_grid_dims
    .group_segment_fixed_size: 0
    .kernarg_segment_align: 8
    .kernarg_segment_size: 312
    .language:       OpenCL C
    .language_version:
      - 2
      - 0
    .max_flat_workgroup_size: 512
    .name:           _ZN7rocprim17ROCPRIM_400000_NS6detail17trampoline_kernelINS0_14default_configENS1_25transform_config_selectorIdLb0EEEZNS1_14transform_implILb0ES3_S5_NS0_18transform_iteratorINS0_17counting_iteratorImlEEZNS1_24adjacent_difference_implIS3_Lb1ELb0EPdSB_N6thrust23THRUST_200600_302600_NS4plusIdEEEE10hipError_tPvRmT2_T3_mT4_P12ihipStream_tbEUlmE_dEESB_NS0_8identityIvEEEESG_SJ_SK_mSL_SN_bEUlT_E_NS1_11comp_targetILNS1_3genE5ELNS1_11target_archE942ELNS1_3gpuE9ELNS1_3repE0EEENS1_30default_config_static_selectorELNS0_4arch9wavefront6targetE1EEEvT1_
    .private_segment_fixed_size: 0
    .sgpr_count:     26
    .sgpr_spill_count: 0
    .symbol:         _ZN7rocprim17ROCPRIM_400000_NS6detail17trampoline_kernelINS0_14default_configENS1_25transform_config_selectorIdLb0EEEZNS1_14transform_implILb0ES3_S5_NS0_18transform_iteratorINS0_17counting_iteratorImlEEZNS1_24adjacent_difference_implIS3_Lb1ELb0EPdSB_N6thrust23THRUST_200600_302600_NS4plusIdEEEE10hipError_tPvRmT2_T3_mT4_P12ihipStream_tbEUlmE_dEESB_NS0_8identityIvEEEESG_SJ_SK_mSL_SN_bEUlT_E_NS1_11comp_targetILNS1_3genE5ELNS1_11target_archE942ELNS1_3gpuE9ELNS1_3repE0EEENS1_30default_config_static_selectorELNS0_4arch9wavefront6targetE1EEEvT1_.kd
    .uniform_work_group_size: 1
    .uses_dynamic_stack: false
    .vgpr_count:     20
    .vgpr_spill_count: 0
    .wavefront_size: 64
  - .agpr_count:     0
    .args:
      - .offset:         0
        .size:           56
        .value_kind:     by_value
    .group_segment_fixed_size: 0
    .kernarg_segment_align: 8
    .kernarg_segment_size: 56
    .language:       OpenCL C
    .language_version:
      - 2
      - 0
    .max_flat_workgroup_size: 256
    .name:           _ZN7rocprim17ROCPRIM_400000_NS6detail17trampoline_kernelINS0_14default_configENS1_25transform_config_selectorIdLb0EEEZNS1_14transform_implILb0ES3_S5_NS0_18transform_iteratorINS0_17counting_iteratorImlEEZNS1_24adjacent_difference_implIS3_Lb1ELb0EPdSB_N6thrust23THRUST_200600_302600_NS4plusIdEEEE10hipError_tPvRmT2_T3_mT4_P12ihipStream_tbEUlmE_dEESB_NS0_8identityIvEEEESG_SJ_SK_mSL_SN_bEUlT_E_NS1_11comp_targetILNS1_3genE4ELNS1_11target_archE910ELNS1_3gpuE8ELNS1_3repE0EEENS1_30default_config_static_selectorELNS0_4arch9wavefront6targetE1EEEvT1_
    .private_segment_fixed_size: 0
    .sgpr_count:     6
    .sgpr_spill_count: 0
    .symbol:         _ZN7rocprim17ROCPRIM_400000_NS6detail17trampoline_kernelINS0_14default_configENS1_25transform_config_selectorIdLb0EEEZNS1_14transform_implILb0ES3_S5_NS0_18transform_iteratorINS0_17counting_iteratorImlEEZNS1_24adjacent_difference_implIS3_Lb1ELb0EPdSB_N6thrust23THRUST_200600_302600_NS4plusIdEEEE10hipError_tPvRmT2_T3_mT4_P12ihipStream_tbEUlmE_dEESB_NS0_8identityIvEEEESG_SJ_SK_mSL_SN_bEUlT_E_NS1_11comp_targetILNS1_3genE4ELNS1_11target_archE910ELNS1_3gpuE8ELNS1_3repE0EEENS1_30default_config_static_selectorELNS0_4arch9wavefront6targetE1EEEvT1_.kd
    .uniform_work_group_size: 1
    .uses_dynamic_stack: false
    .vgpr_count:     0
    .vgpr_spill_count: 0
    .wavefront_size: 64
  - .agpr_count:     0
    .args:
      - .offset:         0
        .size:           56
        .value_kind:     by_value
    .group_segment_fixed_size: 0
    .kernarg_segment_align: 8
    .kernarg_segment_size: 56
    .language:       OpenCL C
    .language_version:
      - 2
      - 0
    .max_flat_workgroup_size: 128
    .name:           _ZN7rocprim17ROCPRIM_400000_NS6detail17trampoline_kernelINS0_14default_configENS1_25transform_config_selectorIdLb0EEEZNS1_14transform_implILb0ES3_S5_NS0_18transform_iteratorINS0_17counting_iteratorImlEEZNS1_24adjacent_difference_implIS3_Lb1ELb0EPdSB_N6thrust23THRUST_200600_302600_NS4plusIdEEEE10hipError_tPvRmT2_T3_mT4_P12ihipStream_tbEUlmE_dEESB_NS0_8identityIvEEEESG_SJ_SK_mSL_SN_bEUlT_E_NS1_11comp_targetILNS1_3genE3ELNS1_11target_archE908ELNS1_3gpuE7ELNS1_3repE0EEENS1_30default_config_static_selectorELNS0_4arch9wavefront6targetE1EEEvT1_
    .private_segment_fixed_size: 0
    .sgpr_count:     6
    .sgpr_spill_count: 0
    .symbol:         _ZN7rocprim17ROCPRIM_400000_NS6detail17trampoline_kernelINS0_14default_configENS1_25transform_config_selectorIdLb0EEEZNS1_14transform_implILb0ES3_S5_NS0_18transform_iteratorINS0_17counting_iteratorImlEEZNS1_24adjacent_difference_implIS3_Lb1ELb0EPdSB_N6thrust23THRUST_200600_302600_NS4plusIdEEEE10hipError_tPvRmT2_T3_mT4_P12ihipStream_tbEUlmE_dEESB_NS0_8identityIvEEEESG_SJ_SK_mSL_SN_bEUlT_E_NS1_11comp_targetILNS1_3genE3ELNS1_11target_archE908ELNS1_3gpuE7ELNS1_3repE0EEENS1_30default_config_static_selectorELNS0_4arch9wavefront6targetE1EEEvT1_.kd
    .uniform_work_group_size: 1
    .uses_dynamic_stack: false
    .vgpr_count:     0
    .vgpr_spill_count: 0
    .wavefront_size: 64
  - .agpr_count:     0
    .args:
      - .offset:         0
        .size:           56
        .value_kind:     by_value
    .group_segment_fixed_size: 0
    .kernarg_segment_align: 8
    .kernarg_segment_size: 56
    .language:       OpenCL C
    .language_version:
      - 2
      - 0
    .max_flat_workgroup_size: 1024
    .name:           _ZN7rocprim17ROCPRIM_400000_NS6detail17trampoline_kernelINS0_14default_configENS1_25transform_config_selectorIdLb0EEEZNS1_14transform_implILb0ES3_S5_NS0_18transform_iteratorINS0_17counting_iteratorImlEEZNS1_24adjacent_difference_implIS3_Lb1ELb0EPdSB_N6thrust23THRUST_200600_302600_NS4plusIdEEEE10hipError_tPvRmT2_T3_mT4_P12ihipStream_tbEUlmE_dEESB_NS0_8identityIvEEEESG_SJ_SK_mSL_SN_bEUlT_E_NS1_11comp_targetILNS1_3genE2ELNS1_11target_archE906ELNS1_3gpuE6ELNS1_3repE0EEENS1_30default_config_static_selectorELNS0_4arch9wavefront6targetE1EEEvT1_
    .private_segment_fixed_size: 0
    .sgpr_count:     6
    .sgpr_spill_count: 0
    .symbol:         _ZN7rocprim17ROCPRIM_400000_NS6detail17trampoline_kernelINS0_14default_configENS1_25transform_config_selectorIdLb0EEEZNS1_14transform_implILb0ES3_S5_NS0_18transform_iteratorINS0_17counting_iteratorImlEEZNS1_24adjacent_difference_implIS3_Lb1ELb0EPdSB_N6thrust23THRUST_200600_302600_NS4plusIdEEEE10hipError_tPvRmT2_T3_mT4_P12ihipStream_tbEUlmE_dEESB_NS0_8identityIvEEEESG_SJ_SK_mSL_SN_bEUlT_E_NS1_11comp_targetILNS1_3genE2ELNS1_11target_archE906ELNS1_3gpuE6ELNS1_3repE0EEENS1_30default_config_static_selectorELNS0_4arch9wavefront6targetE1EEEvT1_.kd
    .uniform_work_group_size: 1
    .uses_dynamic_stack: false
    .vgpr_count:     0
    .vgpr_spill_count: 0
    .wavefront_size: 64
  - .agpr_count:     0
    .args:
      - .offset:         0
        .size:           56
        .value_kind:     by_value
    .group_segment_fixed_size: 0
    .kernarg_segment_align: 8
    .kernarg_segment_size: 56
    .language:       OpenCL C
    .language_version:
      - 2
      - 0
    .max_flat_workgroup_size: 64
    .name:           _ZN7rocprim17ROCPRIM_400000_NS6detail17trampoline_kernelINS0_14default_configENS1_25transform_config_selectorIdLb0EEEZNS1_14transform_implILb0ES3_S5_NS0_18transform_iteratorINS0_17counting_iteratorImlEEZNS1_24adjacent_difference_implIS3_Lb1ELb0EPdSB_N6thrust23THRUST_200600_302600_NS4plusIdEEEE10hipError_tPvRmT2_T3_mT4_P12ihipStream_tbEUlmE_dEESB_NS0_8identityIvEEEESG_SJ_SK_mSL_SN_bEUlT_E_NS1_11comp_targetILNS1_3genE10ELNS1_11target_archE1201ELNS1_3gpuE5ELNS1_3repE0EEENS1_30default_config_static_selectorELNS0_4arch9wavefront6targetE1EEEvT1_
    .private_segment_fixed_size: 0
    .sgpr_count:     6
    .sgpr_spill_count: 0
    .symbol:         _ZN7rocprim17ROCPRIM_400000_NS6detail17trampoline_kernelINS0_14default_configENS1_25transform_config_selectorIdLb0EEEZNS1_14transform_implILb0ES3_S5_NS0_18transform_iteratorINS0_17counting_iteratorImlEEZNS1_24adjacent_difference_implIS3_Lb1ELb0EPdSB_N6thrust23THRUST_200600_302600_NS4plusIdEEEE10hipError_tPvRmT2_T3_mT4_P12ihipStream_tbEUlmE_dEESB_NS0_8identityIvEEEESG_SJ_SK_mSL_SN_bEUlT_E_NS1_11comp_targetILNS1_3genE10ELNS1_11target_archE1201ELNS1_3gpuE5ELNS1_3repE0EEENS1_30default_config_static_selectorELNS0_4arch9wavefront6targetE1EEEvT1_.kd
    .uniform_work_group_size: 1
    .uses_dynamic_stack: false
    .vgpr_count:     0
    .vgpr_spill_count: 0
    .wavefront_size: 64
  - .agpr_count:     0
    .args:
      - .offset:         0
        .size:           56
        .value_kind:     by_value
    .group_segment_fixed_size: 0
    .kernarg_segment_align: 8
    .kernarg_segment_size: 56
    .language:       OpenCL C
    .language_version:
      - 2
      - 0
    .max_flat_workgroup_size: 512
    .name:           _ZN7rocprim17ROCPRIM_400000_NS6detail17trampoline_kernelINS0_14default_configENS1_25transform_config_selectorIdLb0EEEZNS1_14transform_implILb0ES3_S5_NS0_18transform_iteratorINS0_17counting_iteratorImlEEZNS1_24adjacent_difference_implIS3_Lb1ELb0EPdSB_N6thrust23THRUST_200600_302600_NS4plusIdEEEE10hipError_tPvRmT2_T3_mT4_P12ihipStream_tbEUlmE_dEESB_NS0_8identityIvEEEESG_SJ_SK_mSL_SN_bEUlT_E_NS1_11comp_targetILNS1_3genE10ELNS1_11target_archE1200ELNS1_3gpuE4ELNS1_3repE0EEENS1_30default_config_static_selectorELNS0_4arch9wavefront6targetE1EEEvT1_
    .private_segment_fixed_size: 0
    .sgpr_count:     6
    .sgpr_spill_count: 0
    .symbol:         _ZN7rocprim17ROCPRIM_400000_NS6detail17trampoline_kernelINS0_14default_configENS1_25transform_config_selectorIdLb0EEEZNS1_14transform_implILb0ES3_S5_NS0_18transform_iteratorINS0_17counting_iteratorImlEEZNS1_24adjacent_difference_implIS3_Lb1ELb0EPdSB_N6thrust23THRUST_200600_302600_NS4plusIdEEEE10hipError_tPvRmT2_T3_mT4_P12ihipStream_tbEUlmE_dEESB_NS0_8identityIvEEEESG_SJ_SK_mSL_SN_bEUlT_E_NS1_11comp_targetILNS1_3genE10ELNS1_11target_archE1200ELNS1_3gpuE4ELNS1_3repE0EEENS1_30default_config_static_selectorELNS0_4arch9wavefront6targetE1EEEvT1_.kd
    .uniform_work_group_size: 1
    .uses_dynamic_stack: false
    .vgpr_count:     0
    .vgpr_spill_count: 0
    .wavefront_size: 64
  - .agpr_count:     0
    .args:
      - .offset:         0
        .size:           56
        .value_kind:     by_value
    .group_segment_fixed_size: 0
    .kernarg_segment_align: 8
    .kernarg_segment_size: 56
    .language:       OpenCL C
    .language_version:
      - 2
      - 0
    .max_flat_workgroup_size: 512
    .name:           _ZN7rocprim17ROCPRIM_400000_NS6detail17trampoline_kernelINS0_14default_configENS1_25transform_config_selectorIdLb0EEEZNS1_14transform_implILb0ES3_S5_NS0_18transform_iteratorINS0_17counting_iteratorImlEEZNS1_24adjacent_difference_implIS3_Lb1ELb0EPdSB_N6thrust23THRUST_200600_302600_NS4plusIdEEEE10hipError_tPvRmT2_T3_mT4_P12ihipStream_tbEUlmE_dEESB_NS0_8identityIvEEEESG_SJ_SK_mSL_SN_bEUlT_E_NS1_11comp_targetILNS1_3genE9ELNS1_11target_archE1100ELNS1_3gpuE3ELNS1_3repE0EEENS1_30default_config_static_selectorELNS0_4arch9wavefront6targetE1EEEvT1_
    .private_segment_fixed_size: 0
    .sgpr_count:     6
    .sgpr_spill_count: 0
    .symbol:         _ZN7rocprim17ROCPRIM_400000_NS6detail17trampoline_kernelINS0_14default_configENS1_25transform_config_selectorIdLb0EEEZNS1_14transform_implILb0ES3_S5_NS0_18transform_iteratorINS0_17counting_iteratorImlEEZNS1_24adjacent_difference_implIS3_Lb1ELb0EPdSB_N6thrust23THRUST_200600_302600_NS4plusIdEEEE10hipError_tPvRmT2_T3_mT4_P12ihipStream_tbEUlmE_dEESB_NS0_8identityIvEEEESG_SJ_SK_mSL_SN_bEUlT_E_NS1_11comp_targetILNS1_3genE9ELNS1_11target_archE1100ELNS1_3gpuE3ELNS1_3repE0EEENS1_30default_config_static_selectorELNS0_4arch9wavefront6targetE1EEEvT1_.kd
    .uniform_work_group_size: 1
    .uses_dynamic_stack: false
    .vgpr_count:     0
    .vgpr_spill_count: 0
    .wavefront_size: 64
  - .agpr_count:     0
    .args:
      - .offset:         0
        .size:           56
        .value_kind:     by_value
    .group_segment_fixed_size: 0
    .kernarg_segment_align: 8
    .kernarg_segment_size: 56
    .language:       OpenCL C
    .language_version:
      - 2
      - 0
    .max_flat_workgroup_size: 512
    .name:           _ZN7rocprim17ROCPRIM_400000_NS6detail17trampoline_kernelINS0_14default_configENS1_25transform_config_selectorIdLb0EEEZNS1_14transform_implILb0ES3_S5_NS0_18transform_iteratorINS0_17counting_iteratorImlEEZNS1_24adjacent_difference_implIS3_Lb1ELb0EPdSB_N6thrust23THRUST_200600_302600_NS4plusIdEEEE10hipError_tPvRmT2_T3_mT4_P12ihipStream_tbEUlmE_dEESB_NS0_8identityIvEEEESG_SJ_SK_mSL_SN_bEUlT_E_NS1_11comp_targetILNS1_3genE8ELNS1_11target_archE1030ELNS1_3gpuE2ELNS1_3repE0EEENS1_30default_config_static_selectorELNS0_4arch9wavefront6targetE1EEEvT1_
    .private_segment_fixed_size: 0
    .sgpr_count:     6
    .sgpr_spill_count: 0
    .symbol:         _ZN7rocprim17ROCPRIM_400000_NS6detail17trampoline_kernelINS0_14default_configENS1_25transform_config_selectorIdLb0EEEZNS1_14transform_implILb0ES3_S5_NS0_18transform_iteratorINS0_17counting_iteratorImlEEZNS1_24adjacent_difference_implIS3_Lb1ELb0EPdSB_N6thrust23THRUST_200600_302600_NS4plusIdEEEE10hipError_tPvRmT2_T3_mT4_P12ihipStream_tbEUlmE_dEESB_NS0_8identityIvEEEESG_SJ_SK_mSL_SN_bEUlT_E_NS1_11comp_targetILNS1_3genE8ELNS1_11target_archE1030ELNS1_3gpuE2ELNS1_3repE0EEENS1_30default_config_static_selectorELNS0_4arch9wavefront6targetE1EEEvT1_.kd
    .uniform_work_group_size: 1
    .uses_dynamic_stack: false
    .vgpr_count:     0
    .vgpr_spill_count: 0
    .wavefront_size: 64
  - .agpr_count:     0
    .args:
      - .offset:         0
        .size:           56
        .value_kind:     by_value
    .group_segment_fixed_size: 0
    .kernarg_segment_align: 8
    .kernarg_segment_size: 56
    .language:       OpenCL C
    .language_version:
      - 2
      - 0
    .max_flat_workgroup_size: 512
    .name:           _ZN7rocprim17ROCPRIM_400000_NS6detail17trampoline_kernelINS0_14default_configENS1_35adjacent_difference_config_selectorILb1EdEEZNS1_24adjacent_difference_implIS3_Lb1ELb0EPdS7_N6thrust23THRUST_200600_302600_NS4plusIdEEEE10hipError_tPvRmT2_T3_mT4_P12ihipStream_tbEUlT_E_NS1_11comp_targetILNS1_3genE0ELNS1_11target_archE4294967295ELNS1_3gpuE0ELNS1_3repE0EEENS1_30default_config_static_selectorELNS0_4arch9wavefront6targetE1EEEvT1_
    .private_segment_fixed_size: 0
    .sgpr_count:     6
    .sgpr_spill_count: 0
    .symbol:         _ZN7rocprim17ROCPRIM_400000_NS6detail17trampoline_kernelINS0_14default_configENS1_35adjacent_difference_config_selectorILb1EdEEZNS1_24adjacent_difference_implIS3_Lb1ELb0EPdS7_N6thrust23THRUST_200600_302600_NS4plusIdEEEE10hipError_tPvRmT2_T3_mT4_P12ihipStream_tbEUlT_E_NS1_11comp_targetILNS1_3genE0ELNS1_11target_archE4294967295ELNS1_3gpuE0ELNS1_3repE0EEENS1_30default_config_static_selectorELNS0_4arch9wavefront6targetE1EEEvT1_.kd
    .uniform_work_group_size: 1
    .uses_dynamic_stack: false
    .vgpr_count:     0
    .vgpr_spill_count: 0
    .wavefront_size: 64
  - .agpr_count:     0
    .args:
      - .offset:         0
        .size:           56
        .value_kind:     by_value
    .group_segment_fixed_size: 0
    .kernarg_segment_align: 8
    .kernarg_segment_size: 56
    .language:       OpenCL C
    .language_version:
      - 2
      - 0
    .max_flat_workgroup_size: 256
    .name:           _ZN7rocprim17ROCPRIM_400000_NS6detail17trampoline_kernelINS0_14default_configENS1_35adjacent_difference_config_selectorILb1EdEEZNS1_24adjacent_difference_implIS3_Lb1ELb0EPdS7_N6thrust23THRUST_200600_302600_NS4plusIdEEEE10hipError_tPvRmT2_T3_mT4_P12ihipStream_tbEUlT_E_NS1_11comp_targetILNS1_3genE10ELNS1_11target_archE1201ELNS1_3gpuE5ELNS1_3repE0EEENS1_30default_config_static_selectorELNS0_4arch9wavefront6targetE1EEEvT1_
    .private_segment_fixed_size: 0
    .sgpr_count:     6
    .sgpr_spill_count: 0
    .symbol:         _ZN7rocprim17ROCPRIM_400000_NS6detail17trampoline_kernelINS0_14default_configENS1_35adjacent_difference_config_selectorILb1EdEEZNS1_24adjacent_difference_implIS3_Lb1ELb0EPdS7_N6thrust23THRUST_200600_302600_NS4plusIdEEEE10hipError_tPvRmT2_T3_mT4_P12ihipStream_tbEUlT_E_NS1_11comp_targetILNS1_3genE10ELNS1_11target_archE1201ELNS1_3gpuE5ELNS1_3repE0EEENS1_30default_config_static_selectorELNS0_4arch9wavefront6targetE1EEEvT1_.kd
    .uniform_work_group_size: 1
    .uses_dynamic_stack: false
    .vgpr_count:     0
    .vgpr_spill_count: 0
    .wavefront_size: 64
  - .agpr_count:     0
    .args:
      - .offset:         0
        .size:           56
        .value_kind:     by_value
    .group_segment_fixed_size: 2112
    .kernarg_segment_align: 8
    .kernarg_segment_size: 56
    .language:       OpenCL C
    .language_version:
      - 2
      - 0
    .max_flat_workgroup_size: 128
    .name:           _ZN7rocprim17ROCPRIM_400000_NS6detail17trampoline_kernelINS0_14default_configENS1_35adjacent_difference_config_selectorILb1EdEEZNS1_24adjacent_difference_implIS3_Lb1ELb0EPdS7_N6thrust23THRUST_200600_302600_NS4plusIdEEEE10hipError_tPvRmT2_T3_mT4_P12ihipStream_tbEUlT_E_NS1_11comp_targetILNS1_3genE5ELNS1_11target_archE942ELNS1_3gpuE9ELNS1_3repE0EEENS1_30default_config_static_selectorELNS0_4arch9wavefront6targetE1EEEvT1_
    .private_segment_fixed_size: 0
    .sgpr_count:     34
    .sgpr_spill_count: 0
    .symbol:         _ZN7rocprim17ROCPRIM_400000_NS6detail17trampoline_kernelINS0_14default_configENS1_35adjacent_difference_config_selectorILb1EdEEZNS1_24adjacent_difference_implIS3_Lb1ELb0EPdS7_N6thrust23THRUST_200600_302600_NS4plusIdEEEE10hipError_tPvRmT2_T3_mT4_P12ihipStream_tbEUlT_E_NS1_11comp_targetILNS1_3genE5ELNS1_11target_archE942ELNS1_3gpuE9ELNS1_3repE0EEENS1_30default_config_static_selectorELNS0_4arch9wavefront6targetE1EEEvT1_.kd
    .uniform_work_group_size: 1
    .uses_dynamic_stack: false
    .vgpr_count:     16
    .vgpr_spill_count: 0
    .wavefront_size: 64
  - .agpr_count:     0
    .args:
      - .offset:         0
        .size:           56
        .value_kind:     by_value
    .group_segment_fixed_size: 0
    .kernarg_segment_align: 8
    .kernarg_segment_size: 56
    .language:       OpenCL C
    .language_version:
      - 2
      - 0
    .max_flat_workgroup_size: 512
    .name:           _ZN7rocprim17ROCPRIM_400000_NS6detail17trampoline_kernelINS0_14default_configENS1_35adjacent_difference_config_selectorILb1EdEEZNS1_24adjacent_difference_implIS3_Lb1ELb0EPdS7_N6thrust23THRUST_200600_302600_NS4plusIdEEEE10hipError_tPvRmT2_T3_mT4_P12ihipStream_tbEUlT_E_NS1_11comp_targetILNS1_3genE4ELNS1_11target_archE910ELNS1_3gpuE8ELNS1_3repE0EEENS1_30default_config_static_selectorELNS0_4arch9wavefront6targetE1EEEvT1_
    .private_segment_fixed_size: 0
    .sgpr_count:     6
    .sgpr_spill_count: 0
    .symbol:         _ZN7rocprim17ROCPRIM_400000_NS6detail17trampoline_kernelINS0_14default_configENS1_35adjacent_difference_config_selectorILb1EdEEZNS1_24adjacent_difference_implIS3_Lb1ELb0EPdS7_N6thrust23THRUST_200600_302600_NS4plusIdEEEE10hipError_tPvRmT2_T3_mT4_P12ihipStream_tbEUlT_E_NS1_11comp_targetILNS1_3genE4ELNS1_11target_archE910ELNS1_3gpuE8ELNS1_3repE0EEENS1_30default_config_static_selectorELNS0_4arch9wavefront6targetE1EEEvT1_.kd
    .uniform_work_group_size: 1
    .uses_dynamic_stack: false
    .vgpr_count:     0
    .vgpr_spill_count: 0
    .wavefront_size: 64
  - .agpr_count:     0
    .args:
      - .offset:         0
        .size:           56
        .value_kind:     by_value
    .group_segment_fixed_size: 0
    .kernarg_segment_align: 8
    .kernarg_segment_size: 56
    .language:       OpenCL C
    .language_version:
      - 2
      - 0
    .max_flat_workgroup_size: 512
    .name:           _ZN7rocprim17ROCPRIM_400000_NS6detail17trampoline_kernelINS0_14default_configENS1_35adjacent_difference_config_selectorILb1EdEEZNS1_24adjacent_difference_implIS3_Lb1ELb0EPdS7_N6thrust23THRUST_200600_302600_NS4plusIdEEEE10hipError_tPvRmT2_T3_mT4_P12ihipStream_tbEUlT_E_NS1_11comp_targetILNS1_3genE3ELNS1_11target_archE908ELNS1_3gpuE7ELNS1_3repE0EEENS1_30default_config_static_selectorELNS0_4arch9wavefront6targetE1EEEvT1_
    .private_segment_fixed_size: 0
    .sgpr_count:     6
    .sgpr_spill_count: 0
    .symbol:         _ZN7rocprim17ROCPRIM_400000_NS6detail17trampoline_kernelINS0_14default_configENS1_35adjacent_difference_config_selectorILb1EdEEZNS1_24adjacent_difference_implIS3_Lb1ELb0EPdS7_N6thrust23THRUST_200600_302600_NS4plusIdEEEE10hipError_tPvRmT2_T3_mT4_P12ihipStream_tbEUlT_E_NS1_11comp_targetILNS1_3genE3ELNS1_11target_archE908ELNS1_3gpuE7ELNS1_3repE0EEENS1_30default_config_static_selectorELNS0_4arch9wavefront6targetE1EEEvT1_.kd
    .uniform_work_group_size: 1
    .uses_dynamic_stack: false
    .vgpr_count:     0
    .vgpr_spill_count: 0
    .wavefront_size: 64
  - .agpr_count:     0
    .args:
      - .offset:         0
        .size:           56
        .value_kind:     by_value
    .group_segment_fixed_size: 0
    .kernarg_segment_align: 8
    .kernarg_segment_size: 56
    .language:       OpenCL C
    .language_version:
      - 2
      - 0
    .max_flat_workgroup_size: 128
    .name:           _ZN7rocprim17ROCPRIM_400000_NS6detail17trampoline_kernelINS0_14default_configENS1_35adjacent_difference_config_selectorILb1EdEEZNS1_24adjacent_difference_implIS3_Lb1ELb0EPdS7_N6thrust23THRUST_200600_302600_NS4plusIdEEEE10hipError_tPvRmT2_T3_mT4_P12ihipStream_tbEUlT_E_NS1_11comp_targetILNS1_3genE2ELNS1_11target_archE906ELNS1_3gpuE6ELNS1_3repE0EEENS1_30default_config_static_selectorELNS0_4arch9wavefront6targetE1EEEvT1_
    .private_segment_fixed_size: 0
    .sgpr_count:     6
    .sgpr_spill_count: 0
    .symbol:         _ZN7rocprim17ROCPRIM_400000_NS6detail17trampoline_kernelINS0_14default_configENS1_35adjacent_difference_config_selectorILb1EdEEZNS1_24adjacent_difference_implIS3_Lb1ELb0EPdS7_N6thrust23THRUST_200600_302600_NS4plusIdEEEE10hipError_tPvRmT2_T3_mT4_P12ihipStream_tbEUlT_E_NS1_11comp_targetILNS1_3genE2ELNS1_11target_archE906ELNS1_3gpuE6ELNS1_3repE0EEENS1_30default_config_static_selectorELNS0_4arch9wavefront6targetE1EEEvT1_.kd
    .uniform_work_group_size: 1
    .uses_dynamic_stack: false
    .vgpr_count:     0
    .vgpr_spill_count: 0
    .wavefront_size: 64
  - .agpr_count:     0
    .args:
      - .offset:         0
        .size:           56
        .value_kind:     by_value
    .group_segment_fixed_size: 0
    .kernarg_segment_align: 8
    .kernarg_segment_size: 56
    .language:       OpenCL C
    .language_version:
      - 2
      - 0
    .max_flat_workgroup_size: 128
    .name:           _ZN7rocprim17ROCPRIM_400000_NS6detail17trampoline_kernelINS0_14default_configENS1_35adjacent_difference_config_selectorILb1EdEEZNS1_24adjacent_difference_implIS3_Lb1ELb0EPdS7_N6thrust23THRUST_200600_302600_NS4plusIdEEEE10hipError_tPvRmT2_T3_mT4_P12ihipStream_tbEUlT_E_NS1_11comp_targetILNS1_3genE9ELNS1_11target_archE1100ELNS1_3gpuE3ELNS1_3repE0EEENS1_30default_config_static_selectorELNS0_4arch9wavefront6targetE1EEEvT1_
    .private_segment_fixed_size: 0
    .sgpr_count:     6
    .sgpr_spill_count: 0
    .symbol:         _ZN7rocprim17ROCPRIM_400000_NS6detail17trampoline_kernelINS0_14default_configENS1_35adjacent_difference_config_selectorILb1EdEEZNS1_24adjacent_difference_implIS3_Lb1ELb0EPdS7_N6thrust23THRUST_200600_302600_NS4plusIdEEEE10hipError_tPvRmT2_T3_mT4_P12ihipStream_tbEUlT_E_NS1_11comp_targetILNS1_3genE9ELNS1_11target_archE1100ELNS1_3gpuE3ELNS1_3repE0EEENS1_30default_config_static_selectorELNS0_4arch9wavefront6targetE1EEEvT1_.kd
    .uniform_work_group_size: 1
    .uses_dynamic_stack: false
    .vgpr_count:     0
    .vgpr_spill_count: 0
    .wavefront_size: 64
  - .agpr_count:     0
    .args:
      - .offset:         0
        .size:           56
        .value_kind:     by_value
    .group_segment_fixed_size: 0
    .kernarg_segment_align: 8
    .kernarg_segment_size: 56
    .language:       OpenCL C
    .language_version:
      - 2
      - 0
    .max_flat_workgroup_size: 32
    .name:           _ZN7rocprim17ROCPRIM_400000_NS6detail17trampoline_kernelINS0_14default_configENS1_35adjacent_difference_config_selectorILb1EdEEZNS1_24adjacent_difference_implIS3_Lb1ELb0EPdS7_N6thrust23THRUST_200600_302600_NS4plusIdEEEE10hipError_tPvRmT2_T3_mT4_P12ihipStream_tbEUlT_E_NS1_11comp_targetILNS1_3genE8ELNS1_11target_archE1030ELNS1_3gpuE2ELNS1_3repE0EEENS1_30default_config_static_selectorELNS0_4arch9wavefront6targetE1EEEvT1_
    .private_segment_fixed_size: 0
    .sgpr_count:     6
    .sgpr_spill_count: 0
    .symbol:         _ZN7rocprim17ROCPRIM_400000_NS6detail17trampoline_kernelINS0_14default_configENS1_35adjacent_difference_config_selectorILb1EdEEZNS1_24adjacent_difference_implIS3_Lb1ELb0EPdS7_N6thrust23THRUST_200600_302600_NS4plusIdEEEE10hipError_tPvRmT2_T3_mT4_P12ihipStream_tbEUlT_E_NS1_11comp_targetILNS1_3genE8ELNS1_11target_archE1030ELNS1_3gpuE2ELNS1_3repE0EEENS1_30default_config_static_selectorELNS0_4arch9wavefront6targetE1EEEvT1_.kd
    .uniform_work_group_size: 1
    .uses_dynamic_stack: false
    .vgpr_count:     0
    .vgpr_spill_count: 0
    .wavefront_size: 64
  - .agpr_count:     0
    .args:
      - .offset:         0
        .size:           56
        .value_kind:     by_value
    .group_segment_fixed_size: 0
    .kernarg_segment_align: 8
    .kernarg_segment_size: 56
    .language:       OpenCL C
    .language_version:
      - 2
      - 0
    .max_flat_workgroup_size: 64
    .name:           _ZN7rocprim17ROCPRIM_400000_NS6detail17trampoline_kernelINS0_14default_configENS1_35adjacent_difference_config_selectorILb0EaEEZNS1_24adjacent_difference_implIS3_Lb0ELb0EPKaPaN6thrust23THRUST_200600_302600_NS4plusIaEEEE10hipError_tPvRmT2_T3_mT4_P12ihipStream_tbEUlT_E_NS1_11comp_targetILNS1_3genE0ELNS1_11target_archE4294967295ELNS1_3gpuE0ELNS1_3repE0EEENS1_30default_config_static_selectorELNS0_4arch9wavefront6targetE1EEEvT1_
    .private_segment_fixed_size: 0
    .sgpr_count:     6
    .sgpr_spill_count: 0
    .symbol:         _ZN7rocprim17ROCPRIM_400000_NS6detail17trampoline_kernelINS0_14default_configENS1_35adjacent_difference_config_selectorILb0EaEEZNS1_24adjacent_difference_implIS3_Lb0ELb0EPKaPaN6thrust23THRUST_200600_302600_NS4plusIaEEEE10hipError_tPvRmT2_T3_mT4_P12ihipStream_tbEUlT_E_NS1_11comp_targetILNS1_3genE0ELNS1_11target_archE4294967295ELNS1_3gpuE0ELNS1_3repE0EEENS1_30default_config_static_selectorELNS0_4arch9wavefront6targetE1EEEvT1_.kd
    .uniform_work_group_size: 1
    .uses_dynamic_stack: false
    .vgpr_count:     0
    .vgpr_spill_count: 0
    .wavefront_size: 64
  - .agpr_count:     0
    .args:
      - .offset:         0
        .size:           56
        .value_kind:     by_value
    .group_segment_fixed_size: 0
    .kernarg_segment_align: 8
    .kernarg_segment_size: 56
    .language:       OpenCL C
    .language_version:
      - 2
      - 0
    .max_flat_workgroup_size: 1024
    .name:           _ZN7rocprim17ROCPRIM_400000_NS6detail17trampoline_kernelINS0_14default_configENS1_35adjacent_difference_config_selectorILb0EaEEZNS1_24adjacent_difference_implIS3_Lb0ELb0EPKaPaN6thrust23THRUST_200600_302600_NS4plusIaEEEE10hipError_tPvRmT2_T3_mT4_P12ihipStream_tbEUlT_E_NS1_11comp_targetILNS1_3genE10ELNS1_11target_archE1201ELNS1_3gpuE5ELNS1_3repE0EEENS1_30default_config_static_selectorELNS0_4arch9wavefront6targetE1EEEvT1_
    .private_segment_fixed_size: 0
    .sgpr_count:     6
    .sgpr_spill_count: 0
    .symbol:         _ZN7rocprim17ROCPRIM_400000_NS6detail17trampoline_kernelINS0_14default_configENS1_35adjacent_difference_config_selectorILb0EaEEZNS1_24adjacent_difference_implIS3_Lb0ELb0EPKaPaN6thrust23THRUST_200600_302600_NS4plusIaEEEE10hipError_tPvRmT2_T3_mT4_P12ihipStream_tbEUlT_E_NS1_11comp_targetILNS1_3genE10ELNS1_11target_archE1201ELNS1_3gpuE5ELNS1_3repE0EEENS1_30default_config_static_selectorELNS0_4arch9wavefront6targetE1EEEvT1_.kd
    .uniform_work_group_size: 1
    .uses_dynamic_stack: false
    .vgpr_count:     0
    .vgpr_spill_count: 0
    .wavefront_size: 64
  - .agpr_count:     0
    .args:
      - .offset:         0
        .size:           56
        .value_kind:     by_value
    .group_segment_fixed_size: 2432
    .kernarg_segment_align: 8
    .kernarg_segment_size: 56
    .language:       OpenCL C
    .language_version:
      - 2
      - 0
    .max_flat_workgroup_size: 128
    .name:           _ZN7rocprim17ROCPRIM_400000_NS6detail17trampoline_kernelINS0_14default_configENS1_35adjacent_difference_config_selectorILb0EaEEZNS1_24adjacent_difference_implIS3_Lb0ELb0EPKaPaN6thrust23THRUST_200600_302600_NS4plusIaEEEE10hipError_tPvRmT2_T3_mT4_P12ihipStream_tbEUlT_E_NS1_11comp_targetILNS1_3genE5ELNS1_11target_archE942ELNS1_3gpuE9ELNS1_3repE0EEENS1_30default_config_static_selectorELNS0_4arch9wavefront6targetE1EEEvT1_
    .private_segment_fixed_size: 0
    .sgpr_count:     54
    .sgpr_spill_count: 0
    .symbol:         _ZN7rocprim17ROCPRIM_400000_NS6detail17trampoline_kernelINS0_14default_configENS1_35adjacent_difference_config_selectorILb0EaEEZNS1_24adjacent_difference_implIS3_Lb0ELb0EPKaPaN6thrust23THRUST_200600_302600_NS4plusIaEEEE10hipError_tPvRmT2_T3_mT4_P12ihipStream_tbEUlT_E_NS1_11comp_targetILNS1_3genE5ELNS1_11target_archE942ELNS1_3gpuE9ELNS1_3repE0EEENS1_30default_config_static_selectorELNS0_4arch9wavefront6targetE1EEEvT1_.kd
    .uniform_work_group_size: 1
    .uses_dynamic_stack: false
    .vgpr_count:     42
    .vgpr_spill_count: 0
    .wavefront_size: 64
  - .agpr_count:     0
    .args:
      - .offset:         0
        .size:           56
        .value_kind:     by_value
    .group_segment_fixed_size: 0
    .kernarg_segment_align: 8
    .kernarg_segment_size: 56
    .language:       OpenCL C
    .language_version:
      - 2
      - 0
    .max_flat_workgroup_size: 64
    .name:           _ZN7rocprim17ROCPRIM_400000_NS6detail17trampoline_kernelINS0_14default_configENS1_35adjacent_difference_config_selectorILb0EaEEZNS1_24adjacent_difference_implIS3_Lb0ELb0EPKaPaN6thrust23THRUST_200600_302600_NS4plusIaEEEE10hipError_tPvRmT2_T3_mT4_P12ihipStream_tbEUlT_E_NS1_11comp_targetILNS1_3genE4ELNS1_11target_archE910ELNS1_3gpuE8ELNS1_3repE0EEENS1_30default_config_static_selectorELNS0_4arch9wavefront6targetE1EEEvT1_
    .private_segment_fixed_size: 0
    .sgpr_count:     6
    .sgpr_spill_count: 0
    .symbol:         _ZN7rocprim17ROCPRIM_400000_NS6detail17trampoline_kernelINS0_14default_configENS1_35adjacent_difference_config_selectorILb0EaEEZNS1_24adjacent_difference_implIS3_Lb0ELb0EPKaPaN6thrust23THRUST_200600_302600_NS4plusIaEEEE10hipError_tPvRmT2_T3_mT4_P12ihipStream_tbEUlT_E_NS1_11comp_targetILNS1_3genE4ELNS1_11target_archE910ELNS1_3gpuE8ELNS1_3repE0EEENS1_30default_config_static_selectorELNS0_4arch9wavefront6targetE1EEEvT1_.kd
    .uniform_work_group_size: 1
    .uses_dynamic_stack: false
    .vgpr_count:     0
    .vgpr_spill_count: 0
    .wavefront_size: 64
  - .agpr_count:     0
    .args:
      - .offset:         0
        .size:           56
        .value_kind:     by_value
    .group_segment_fixed_size: 0
    .kernarg_segment_align: 8
    .kernarg_segment_size: 56
    .language:       OpenCL C
    .language_version:
      - 2
      - 0
    .max_flat_workgroup_size: 64
    .name:           _ZN7rocprim17ROCPRIM_400000_NS6detail17trampoline_kernelINS0_14default_configENS1_35adjacent_difference_config_selectorILb0EaEEZNS1_24adjacent_difference_implIS3_Lb0ELb0EPKaPaN6thrust23THRUST_200600_302600_NS4plusIaEEEE10hipError_tPvRmT2_T3_mT4_P12ihipStream_tbEUlT_E_NS1_11comp_targetILNS1_3genE3ELNS1_11target_archE908ELNS1_3gpuE7ELNS1_3repE0EEENS1_30default_config_static_selectorELNS0_4arch9wavefront6targetE1EEEvT1_
    .private_segment_fixed_size: 0
    .sgpr_count:     6
    .sgpr_spill_count: 0
    .symbol:         _ZN7rocprim17ROCPRIM_400000_NS6detail17trampoline_kernelINS0_14default_configENS1_35adjacent_difference_config_selectorILb0EaEEZNS1_24adjacent_difference_implIS3_Lb0ELb0EPKaPaN6thrust23THRUST_200600_302600_NS4plusIaEEEE10hipError_tPvRmT2_T3_mT4_P12ihipStream_tbEUlT_E_NS1_11comp_targetILNS1_3genE3ELNS1_11target_archE908ELNS1_3gpuE7ELNS1_3repE0EEENS1_30default_config_static_selectorELNS0_4arch9wavefront6targetE1EEEvT1_.kd
    .uniform_work_group_size: 1
    .uses_dynamic_stack: false
    .vgpr_count:     0
    .vgpr_spill_count: 0
    .wavefront_size: 64
  - .agpr_count:     0
    .args:
      - .offset:         0
        .size:           56
        .value_kind:     by_value
    .group_segment_fixed_size: 0
    .kernarg_segment_align: 8
    .kernarg_segment_size: 56
    .language:       OpenCL C
    .language_version:
      - 2
      - 0
    .max_flat_workgroup_size: 64
    .name:           _ZN7rocprim17ROCPRIM_400000_NS6detail17trampoline_kernelINS0_14default_configENS1_35adjacent_difference_config_selectorILb0EaEEZNS1_24adjacent_difference_implIS3_Lb0ELb0EPKaPaN6thrust23THRUST_200600_302600_NS4plusIaEEEE10hipError_tPvRmT2_T3_mT4_P12ihipStream_tbEUlT_E_NS1_11comp_targetILNS1_3genE2ELNS1_11target_archE906ELNS1_3gpuE6ELNS1_3repE0EEENS1_30default_config_static_selectorELNS0_4arch9wavefront6targetE1EEEvT1_
    .private_segment_fixed_size: 0
    .sgpr_count:     6
    .sgpr_spill_count: 0
    .symbol:         _ZN7rocprim17ROCPRIM_400000_NS6detail17trampoline_kernelINS0_14default_configENS1_35adjacent_difference_config_selectorILb0EaEEZNS1_24adjacent_difference_implIS3_Lb0ELb0EPKaPaN6thrust23THRUST_200600_302600_NS4plusIaEEEE10hipError_tPvRmT2_T3_mT4_P12ihipStream_tbEUlT_E_NS1_11comp_targetILNS1_3genE2ELNS1_11target_archE906ELNS1_3gpuE6ELNS1_3repE0EEENS1_30default_config_static_selectorELNS0_4arch9wavefront6targetE1EEEvT1_.kd
    .uniform_work_group_size: 1
    .uses_dynamic_stack: false
    .vgpr_count:     0
    .vgpr_spill_count: 0
    .wavefront_size: 64
  - .agpr_count:     0
    .args:
      - .offset:         0
        .size:           56
        .value_kind:     by_value
    .group_segment_fixed_size: 0
    .kernarg_segment_align: 8
    .kernarg_segment_size: 56
    .language:       OpenCL C
    .language_version:
      - 2
      - 0
    .max_flat_workgroup_size: 64
    .name:           _ZN7rocprim17ROCPRIM_400000_NS6detail17trampoline_kernelINS0_14default_configENS1_35adjacent_difference_config_selectorILb0EaEEZNS1_24adjacent_difference_implIS3_Lb0ELb0EPKaPaN6thrust23THRUST_200600_302600_NS4plusIaEEEE10hipError_tPvRmT2_T3_mT4_P12ihipStream_tbEUlT_E_NS1_11comp_targetILNS1_3genE9ELNS1_11target_archE1100ELNS1_3gpuE3ELNS1_3repE0EEENS1_30default_config_static_selectorELNS0_4arch9wavefront6targetE1EEEvT1_
    .private_segment_fixed_size: 0
    .sgpr_count:     6
    .sgpr_spill_count: 0
    .symbol:         _ZN7rocprim17ROCPRIM_400000_NS6detail17trampoline_kernelINS0_14default_configENS1_35adjacent_difference_config_selectorILb0EaEEZNS1_24adjacent_difference_implIS3_Lb0ELb0EPKaPaN6thrust23THRUST_200600_302600_NS4plusIaEEEE10hipError_tPvRmT2_T3_mT4_P12ihipStream_tbEUlT_E_NS1_11comp_targetILNS1_3genE9ELNS1_11target_archE1100ELNS1_3gpuE3ELNS1_3repE0EEENS1_30default_config_static_selectorELNS0_4arch9wavefront6targetE1EEEvT1_.kd
    .uniform_work_group_size: 1
    .uses_dynamic_stack: false
    .vgpr_count:     0
    .vgpr_spill_count: 0
    .wavefront_size: 64
  - .agpr_count:     0
    .args:
      - .offset:         0
        .size:           56
        .value_kind:     by_value
    .group_segment_fixed_size: 0
    .kernarg_segment_align: 8
    .kernarg_segment_size: 56
    .language:       OpenCL C
    .language_version:
      - 2
      - 0
    .max_flat_workgroup_size: 64
    .name:           _ZN7rocprim17ROCPRIM_400000_NS6detail17trampoline_kernelINS0_14default_configENS1_35adjacent_difference_config_selectorILb0EaEEZNS1_24adjacent_difference_implIS3_Lb0ELb0EPKaPaN6thrust23THRUST_200600_302600_NS4plusIaEEEE10hipError_tPvRmT2_T3_mT4_P12ihipStream_tbEUlT_E_NS1_11comp_targetILNS1_3genE8ELNS1_11target_archE1030ELNS1_3gpuE2ELNS1_3repE0EEENS1_30default_config_static_selectorELNS0_4arch9wavefront6targetE1EEEvT1_
    .private_segment_fixed_size: 0
    .sgpr_count:     6
    .sgpr_spill_count: 0
    .symbol:         _ZN7rocprim17ROCPRIM_400000_NS6detail17trampoline_kernelINS0_14default_configENS1_35adjacent_difference_config_selectorILb0EaEEZNS1_24adjacent_difference_implIS3_Lb0ELb0EPKaPaN6thrust23THRUST_200600_302600_NS4plusIaEEEE10hipError_tPvRmT2_T3_mT4_P12ihipStream_tbEUlT_E_NS1_11comp_targetILNS1_3genE8ELNS1_11target_archE1030ELNS1_3gpuE2ELNS1_3repE0EEENS1_30default_config_static_selectorELNS0_4arch9wavefront6targetE1EEEvT1_.kd
    .uniform_work_group_size: 1
    .uses_dynamic_stack: false
    .vgpr_count:     0
    .vgpr_spill_count: 0
    .wavefront_size: 64
  - .agpr_count:     0
    .args:
      - .offset:         0
        .size:           56
        .value_kind:     by_value
    .group_segment_fixed_size: 0
    .kernarg_segment_align: 8
    .kernarg_segment_size: 56
    .language:       OpenCL C
    .language_version:
      - 2
      - 0
    .max_flat_workgroup_size: 128
    .name:           _ZN7rocprim17ROCPRIM_400000_NS6detail17trampoline_kernelINS0_14default_configENS1_25transform_config_selectorIaLb0EEEZNS1_14transform_implILb0ES3_S5_NS0_18transform_iteratorINS0_17counting_iteratorImlEEZNS1_24adjacent_difference_implIS3_Lb1ELb0EPKaPaN6thrust23THRUST_200600_302600_NS4plusIaEEEE10hipError_tPvRmT2_T3_mT4_P12ihipStream_tbEUlmE_aEESD_NS0_8identityIvEEEESI_SL_SM_mSN_SP_bEUlT_E_NS1_11comp_targetILNS1_3genE0ELNS1_11target_archE4294967295ELNS1_3gpuE0ELNS1_3repE0EEENS1_30default_config_static_selectorELNS0_4arch9wavefront6targetE1EEEvT1_
    .private_segment_fixed_size: 0
    .sgpr_count:     6
    .sgpr_spill_count: 0
    .symbol:         _ZN7rocprim17ROCPRIM_400000_NS6detail17trampoline_kernelINS0_14default_configENS1_25transform_config_selectorIaLb0EEEZNS1_14transform_implILb0ES3_S5_NS0_18transform_iteratorINS0_17counting_iteratorImlEEZNS1_24adjacent_difference_implIS3_Lb1ELb0EPKaPaN6thrust23THRUST_200600_302600_NS4plusIaEEEE10hipError_tPvRmT2_T3_mT4_P12ihipStream_tbEUlmE_aEESD_NS0_8identityIvEEEESI_SL_SM_mSN_SP_bEUlT_E_NS1_11comp_targetILNS1_3genE0ELNS1_11target_archE4294967295ELNS1_3gpuE0ELNS1_3repE0EEENS1_30default_config_static_selectorELNS0_4arch9wavefront6targetE1EEEvT1_.kd
    .uniform_work_group_size: 1
    .uses_dynamic_stack: false
    .vgpr_count:     0
    .vgpr_spill_count: 0
    .wavefront_size: 64
  - .agpr_count:     0
    .args:
      - .offset:         0
        .size:           56
        .value_kind:     by_value
      - .offset:         56
        .size:           4
        .value_kind:     hidden_block_count_x
      - .offset:         60
        .size:           4
        .value_kind:     hidden_block_count_y
      - .offset:         64
        .size:           4
        .value_kind:     hidden_block_count_z
      - .offset:         68
        .size:           2
        .value_kind:     hidden_group_size_x
      - .offset:         70
        .size:           2
        .value_kind:     hidden_group_size_y
      - .offset:         72
        .size:           2
        .value_kind:     hidden_group_size_z
      - .offset:         74
        .size:           2
        .value_kind:     hidden_remainder_x
      - .offset:         76
        .size:           2
        .value_kind:     hidden_remainder_y
      - .offset:         78
        .size:           2
        .value_kind:     hidden_remainder_z
      - .offset:         96
        .size:           8
        .value_kind:     hidden_global_offset_x
      - .offset:         104
        .size:           8
        .value_kind:     hidden_global_offset_y
      - .offset:         112
        .size:           8
        .value_kind:     hidden_global_offset_z
      - .offset:         120
        .size:           2
        .value_kind:     hidden_grid_dims
    .group_segment_fixed_size: 0
    .kernarg_segment_align: 8
    .kernarg_segment_size: 312
    .language:       OpenCL C
    .language_version:
      - 2
      - 0
    .max_flat_workgroup_size: 1024
    .name:           _ZN7rocprim17ROCPRIM_400000_NS6detail17trampoline_kernelINS0_14default_configENS1_25transform_config_selectorIaLb0EEEZNS1_14transform_implILb0ES3_S5_NS0_18transform_iteratorINS0_17counting_iteratorImlEEZNS1_24adjacent_difference_implIS3_Lb1ELb0EPKaPaN6thrust23THRUST_200600_302600_NS4plusIaEEEE10hipError_tPvRmT2_T3_mT4_P12ihipStream_tbEUlmE_aEESD_NS0_8identityIvEEEESI_SL_SM_mSN_SP_bEUlT_E_NS1_11comp_targetILNS1_3genE5ELNS1_11target_archE942ELNS1_3gpuE9ELNS1_3repE0EEENS1_30default_config_static_selectorELNS0_4arch9wavefront6targetE1EEEvT1_
    .private_segment_fixed_size: 0
    .sgpr_count:     33
    .sgpr_spill_count: 0
    .symbol:         _ZN7rocprim17ROCPRIM_400000_NS6detail17trampoline_kernelINS0_14default_configENS1_25transform_config_selectorIaLb0EEEZNS1_14transform_implILb0ES3_S5_NS0_18transform_iteratorINS0_17counting_iteratorImlEEZNS1_24adjacent_difference_implIS3_Lb1ELb0EPKaPaN6thrust23THRUST_200600_302600_NS4plusIaEEEE10hipError_tPvRmT2_T3_mT4_P12ihipStream_tbEUlmE_aEESD_NS0_8identityIvEEEESI_SL_SM_mSN_SP_bEUlT_E_NS1_11comp_targetILNS1_3genE5ELNS1_11target_archE942ELNS1_3gpuE9ELNS1_3repE0EEENS1_30default_config_static_selectorELNS0_4arch9wavefront6targetE1EEEvT1_.kd
    .uniform_work_group_size: 1
    .uses_dynamic_stack: false
    .vgpr_count:     15
    .vgpr_spill_count: 0
    .wavefront_size: 64
  - .agpr_count:     0
    .args:
      - .offset:         0
        .size:           56
        .value_kind:     by_value
    .group_segment_fixed_size: 0
    .kernarg_segment_align: 8
    .kernarg_segment_size: 56
    .language:       OpenCL C
    .language_version:
      - 2
      - 0
    .max_flat_workgroup_size: 64
    .name:           _ZN7rocprim17ROCPRIM_400000_NS6detail17trampoline_kernelINS0_14default_configENS1_25transform_config_selectorIaLb0EEEZNS1_14transform_implILb0ES3_S5_NS0_18transform_iteratorINS0_17counting_iteratorImlEEZNS1_24adjacent_difference_implIS3_Lb1ELb0EPKaPaN6thrust23THRUST_200600_302600_NS4plusIaEEEE10hipError_tPvRmT2_T3_mT4_P12ihipStream_tbEUlmE_aEESD_NS0_8identityIvEEEESI_SL_SM_mSN_SP_bEUlT_E_NS1_11comp_targetILNS1_3genE4ELNS1_11target_archE910ELNS1_3gpuE8ELNS1_3repE0EEENS1_30default_config_static_selectorELNS0_4arch9wavefront6targetE1EEEvT1_
    .private_segment_fixed_size: 0
    .sgpr_count:     6
    .sgpr_spill_count: 0
    .symbol:         _ZN7rocprim17ROCPRIM_400000_NS6detail17trampoline_kernelINS0_14default_configENS1_25transform_config_selectorIaLb0EEEZNS1_14transform_implILb0ES3_S5_NS0_18transform_iteratorINS0_17counting_iteratorImlEEZNS1_24adjacent_difference_implIS3_Lb1ELb0EPKaPaN6thrust23THRUST_200600_302600_NS4plusIaEEEE10hipError_tPvRmT2_T3_mT4_P12ihipStream_tbEUlmE_aEESD_NS0_8identityIvEEEESI_SL_SM_mSN_SP_bEUlT_E_NS1_11comp_targetILNS1_3genE4ELNS1_11target_archE910ELNS1_3gpuE8ELNS1_3repE0EEENS1_30default_config_static_selectorELNS0_4arch9wavefront6targetE1EEEvT1_.kd
    .uniform_work_group_size: 1
    .uses_dynamic_stack: false
    .vgpr_count:     0
    .vgpr_spill_count: 0
    .wavefront_size: 64
  - .agpr_count:     0
    .args:
      - .offset:         0
        .size:           56
        .value_kind:     by_value
    .group_segment_fixed_size: 0
    .kernarg_segment_align: 8
    .kernarg_segment_size: 56
    .language:       OpenCL C
    .language_version:
      - 2
      - 0
    .max_flat_workgroup_size: 128
    .name:           _ZN7rocprim17ROCPRIM_400000_NS6detail17trampoline_kernelINS0_14default_configENS1_25transform_config_selectorIaLb0EEEZNS1_14transform_implILb0ES3_S5_NS0_18transform_iteratorINS0_17counting_iteratorImlEEZNS1_24adjacent_difference_implIS3_Lb1ELb0EPKaPaN6thrust23THRUST_200600_302600_NS4plusIaEEEE10hipError_tPvRmT2_T3_mT4_P12ihipStream_tbEUlmE_aEESD_NS0_8identityIvEEEESI_SL_SM_mSN_SP_bEUlT_E_NS1_11comp_targetILNS1_3genE3ELNS1_11target_archE908ELNS1_3gpuE7ELNS1_3repE0EEENS1_30default_config_static_selectorELNS0_4arch9wavefront6targetE1EEEvT1_
    .private_segment_fixed_size: 0
    .sgpr_count:     6
    .sgpr_spill_count: 0
    .symbol:         _ZN7rocprim17ROCPRIM_400000_NS6detail17trampoline_kernelINS0_14default_configENS1_25transform_config_selectorIaLb0EEEZNS1_14transform_implILb0ES3_S5_NS0_18transform_iteratorINS0_17counting_iteratorImlEEZNS1_24adjacent_difference_implIS3_Lb1ELb0EPKaPaN6thrust23THRUST_200600_302600_NS4plusIaEEEE10hipError_tPvRmT2_T3_mT4_P12ihipStream_tbEUlmE_aEESD_NS0_8identityIvEEEESI_SL_SM_mSN_SP_bEUlT_E_NS1_11comp_targetILNS1_3genE3ELNS1_11target_archE908ELNS1_3gpuE7ELNS1_3repE0EEENS1_30default_config_static_selectorELNS0_4arch9wavefront6targetE1EEEvT1_.kd
    .uniform_work_group_size: 1
    .uses_dynamic_stack: false
    .vgpr_count:     0
    .vgpr_spill_count: 0
    .wavefront_size: 64
  - .agpr_count:     0
    .args:
      - .offset:         0
        .size:           56
        .value_kind:     by_value
    .group_segment_fixed_size: 0
    .kernarg_segment_align: 8
    .kernarg_segment_size: 56
    .language:       OpenCL C
    .language_version:
      - 2
      - 0
    .max_flat_workgroup_size: 64
    .name:           _ZN7rocprim17ROCPRIM_400000_NS6detail17trampoline_kernelINS0_14default_configENS1_25transform_config_selectorIaLb0EEEZNS1_14transform_implILb0ES3_S5_NS0_18transform_iteratorINS0_17counting_iteratorImlEEZNS1_24adjacent_difference_implIS3_Lb1ELb0EPKaPaN6thrust23THRUST_200600_302600_NS4plusIaEEEE10hipError_tPvRmT2_T3_mT4_P12ihipStream_tbEUlmE_aEESD_NS0_8identityIvEEEESI_SL_SM_mSN_SP_bEUlT_E_NS1_11comp_targetILNS1_3genE2ELNS1_11target_archE906ELNS1_3gpuE6ELNS1_3repE0EEENS1_30default_config_static_selectorELNS0_4arch9wavefront6targetE1EEEvT1_
    .private_segment_fixed_size: 0
    .sgpr_count:     6
    .sgpr_spill_count: 0
    .symbol:         _ZN7rocprim17ROCPRIM_400000_NS6detail17trampoline_kernelINS0_14default_configENS1_25transform_config_selectorIaLb0EEEZNS1_14transform_implILb0ES3_S5_NS0_18transform_iteratorINS0_17counting_iteratorImlEEZNS1_24adjacent_difference_implIS3_Lb1ELb0EPKaPaN6thrust23THRUST_200600_302600_NS4plusIaEEEE10hipError_tPvRmT2_T3_mT4_P12ihipStream_tbEUlmE_aEESD_NS0_8identityIvEEEESI_SL_SM_mSN_SP_bEUlT_E_NS1_11comp_targetILNS1_3genE2ELNS1_11target_archE906ELNS1_3gpuE6ELNS1_3repE0EEENS1_30default_config_static_selectorELNS0_4arch9wavefront6targetE1EEEvT1_.kd
    .uniform_work_group_size: 1
    .uses_dynamic_stack: false
    .vgpr_count:     0
    .vgpr_spill_count: 0
    .wavefront_size: 64
  - .agpr_count:     0
    .args:
      - .offset:         0
        .size:           56
        .value_kind:     by_value
    .group_segment_fixed_size: 0
    .kernarg_segment_align: 8
    .kernarg_segment_size: 56
    .language:       OpenCL C
    .language_version:
      - 2
      - 0
    .max_flat_workgroup_size: 256
    .name:           _ZN7rocprim17ROCPRIM_400000_NS6detail17trampoline_kernelINS0_14default_configENS1_25transform_config_selectorIaLb0EEEZNS1_14transform_implILb0ES3_S5_NS0_18transform_iteratorINS0_17counting_iteratorImlEEZNS1_24adjacent_difference_implIS3_Lb1ELb0EPKaPaN6thrust23THRUST_200600_302600_NS4plusIaEEEE10hipError_tPvRmT2_T3_mT4_P12ihipStream_tbEUlmE_aEESD_NS0_8identityIvEEEESI_SL_SM_mSN_SP_bEUlT_E_NS1_11comp_targetILNS1_3genE10ELNS1_11target_archE1201ELNS1_3gpuE5ELNS1_3repE0EEENS1_30default_config_static_selectorELNS0_4arch9wavefront6targetE1EEEvT1_
    .private_segment_fixed_size: 0
    .sgpr_count:     6
    .sgpr_spill_count: 0
    .symbol:         _ZN7rocprim17ROCPRIM_400000_NS6detail17trampoline_kernelINS0_14default_configENS1_25transform_config_selectorIaLb0EEEZNS1_14transform_implILb0ES3_S5_NS0_18transform_iteratorINS0_17counting_iteratorImlEEZNS1_24adjacent_difference_implIS3_Lb1ELb0EPKaPaN6thrust23THRUST_200600_302600_NS4plusIaEEEE10hipError_tPvRmT2_T3_mT4_P12ihipStream_tbEUlmE_aEESD_NS0_8identityIvEEEESI_SL_SM_mSN_SP_bEUlT_E_NS1_11comp_targetILNS1_3genE10ELNS1_11target_archE1201ELNS1_3gpuE5ELNS1_3repE0EEENS1_30default_config_static_selectorELNS0_4arch9wavefront6targetE1EEEvT1_.kd
    .uniform_work_group_size: 1
    .uses_dynamic_stack: false
    .vgpr_count:     0
    .vgpr_spill_count: 0
    .wavefront_size: 64
  - .agpr_count:     0
    .args:
      - .offset:         0
        .size:           56
        .value_kind:     by_value
    .group_segment_fixed_size: 0
    .kernarg_segment_align: 8
    .kernarg_segment_size: 56
    .language:       OpenCL C
    .language_version:
      - 2
      - 0
    .max_flat_workgroup_size: 256
    .name:           _ZN7rocprim17ROCPRIM_400000_NS6detail17trampoline_kernelINS0_14default_configENS1_25transform_config_selectorIaLb0EEEZNS1_14transform_implILb0ES3_S5_NS0_18transform_iteratorINS0_17counting_iteratorImlEEZNS1_24adjacent_difference_implIS3_Lb1ELb0EPKaPaN6thrust23THRUST_200600_302600_NS4plusIaEEEE10hipError_tPvRmT2_T3_mT4_P12ihipStream_tbEUlmE_aEESD_NS0_8identityIvEEEESI_SL_SM_mSN_SP_bEUlT_E_NS1_11comp_targetILNS1_3genE10ELNS1_11target_archE1200ELNS1_3gpuE4ELNS1_3repE0EEENS1_30default_config_static_selectorELNS0_4arch9wavefront6targetE1EEEvT1_
    .private_segment_fixed_size: 0
    .sgpr_count:     6
    .sgpr_spill_count: 0
    .symbol:         _ZN7rocprim17ROCPRIM_400000_NS6detail17trampoline_kernelINS0_14default_configENS1_25transform_config_selectorIaLb0EEEZNS1_14transform_implILb0ES3_S5_NS0_18transform_iteratorINS0_17counting_iteratorImlEEZNS1_24adjacent_difference_implIS3_Lb1ELb0EPKaPaN6thrust23THRUST_200600_302600_NS4plusIaEEEE10hipError_tPvRmT2_T3_mT4_P12ihipStream_tbEUlmE_aEESD_NS0_8identityIvEEEESI_SL_SM_mSN_SP_bEUlT_E_NS1_11comp_targetILNS1_3genE10ELNS1_11target_archE1200ELNS1_3gpuE4ELNS1_3repE0EEENS1_30default_config_static_selectorELNS0_4arch9wavefront6targetE1EEEvT1_.kd
    .uniform_work_group_size: 1
    .uses_dynamic_stack: false
    .vgpr_count:     0
    .vgpr_spill_count: 0
    .wavefront_size: 64
  - .agpr_count:     0
    .args:
      - .offset:         0
        .size:           56
        .value_kind:     by_value
    .group_segment_fixed_size: 0
    .kernarg_segment_align: 8
    .kernarg_segment_size: 56
    .language:       OpenCL C
    .language_version:
      - 2
      - 0
    .max_flat_workgroup_size: 1024
    .name:           _ZN7rocprim17ROCPRIM_400000_NS6detail17trampoline_kernelINS0_14default_configENS1_25transform_config_selectorIaLb0EEEZNS1_14transform_implILb0ES3_S5_NS0_18transform_iteratorINS0_17counting_iteratorImlEEZNS1_24adjacent_difference_implIS3_Lb1ELb0EPKaPaN6thrust23THRUST_200600_302600_NS4plusIaEEEE10hipError_tPvRmT2_T3_mT4_P12ihipStream_tbEUlmE_aEESD_NS0_8identityIvEEEESI_SL_SM_mSN_SP_bEUlT_E_NS1_11comp_targetILNS1_3genE9ELNS1_11target_archE1100ELNS1_3gpuE3ELNS1_3repE0EEENS1_30default_config_static_selectorELNS0_4arch9wavefront6targetE1EEEvT1_
    .private_segment_fixed_size: 0
    .sgpr_count:     6
    .sgpr_spill_count: 0
    .symbol:         _ZN7rocprim17ROCPRIM_400000_NS6detail17trampoline_kernelINS0_14default_configENS1_25transform_config_selectorIaLb0EEEZNS1_14transform_implILb0ES3_S5_NS0_18transform_iteratorINS0_17counting_iteratorImlEEZNS1_24adjacent_difference_implIS3_Lb1ELb0EPKaPaN6thrust23THRUST_200600_302600_NS4plusIaEEEE10hipError_tPvRmT2_T3_mT4_P12ihipStream_tbEUlmE_aEESD_NS0_8identityIvEEEESI_SL_SM_mSN_SP_bEUlT_E_NS1_11comp_targetILNS1_3genE9ELNS1_11target_archE1100ELNS1_3gpuE3ELNS1_3repE0EEENS1_30default_config_static_selectorELNS0_4arch9wavefront6targetE1EEEvT1_.kd
    .uniform_work_group_size: 1
    .uses_dynamic_stack: false
    .vgpr_count:     0
    .vgpr_spill_count: 0
    .wavefront_size: 64
  - .agpr_count:     0
    .args:
      - .offset:         0
        .size:           56
        .value_kind:     by_value
    .group_segment_fixed_size: 0
    .kernarg_segment_align: 8
    .kernarg_segment_size: 56
    .language:       OpenCL C
    .language_version:
      - 2
      - 0
    .max_flat_workgroup_size: 128
    .name:           _ZN7rocprim17ROCPRIM_400000_NS6detail17trampoline_kernelINS0_14default_configENS1_25transform_config_selectorIaLb0EEEZNS1_14transform_implILb0ES3_S5_NS0_18transform_iteratorINS0_17counting_iteratorImlEEZNS1_24adjacent_difference_implIS3_Lb1ELb0EPKaPaN6thrust23THRUST_200600_302600_NS4plusIaEEEE10hipError_tPvRmT2_T3_mT4_P12ihipStream_tbEUlmE_aEESD_NS0_8identityIvEEEESI_SL_SM_mSN_SP_bEUlT_E_NS1_11comp_targetILNS1_3genE8ELNS1_11target_archE1030ELNS1_3gpuE2ELNS1_3repE0EEENS1_30default_config_static_selectorELNS0_4arch9wavefront6targetE1EEEvT1_
    .private_segment_fixed_size: 0
    .sgpr_count:     6
    .sgpr_spill_count: 0
    .symbol:         _ZN7rocprim17ROCPRIM_400000_NS6detail17trampoline_kernelINS0_14default_configENS1_25transform_config_selectorIaLb0EEEZNS1_14transform_implILb0ES3_S5_NS0_18transform_iteratorINS0_17counting_iteratorImlEEZNS1_24adjacent_difference_implIS3_Lb1ELb0EPKaPaN6thrust23THRUST_200600_302600_NS4plusIaEEEE10hipError_tPvRmT2_T3_mT4_P12ihipStream_tbEUlmE_aEESD_NS0_8identityIvEEEESI_SL_SM_mSN_SP_bEUlT_E_NS1_11comp_targetILNS1_3genE8ELNS1_11target_archE1030ELNS1_3gpuE2ELNS1_3repE0EEENS1_30default_config_static_selectorELNS0_4arch9wavefront6targetE1EEEvT1_.kd
    .uniform_work_group_size: 1
    .uses_dynamic_stack: false
    .vgpr_count:     0
    .vgpr_spill_count: 0
    .wavefront_size: 64
  - .agpr_count:     0
    .args:
      - .offset:         0
        .size:           56
        .value_kind:     by_value
    .group_segment_fixed_size: 0
    .kernarg_segment_align: 8
    .kernarg_segment_size: 56
    .language:       OpenCL C
    .language_version:
      - 2
      - 0
    .max_flat_workgroup_size: 64
    .name:           _ZN7rocprim17ROCPRIM_400000_NS6detail17trampoline_kernelINS0_14default_configENS1_35adjacent_difference_config_selectorILb1EaEEZNS1_24adjacent_difference_implIS3_Lb1ELb0EPKaPaN6thrust23THRUST_200600_302600_NS4plusIaEEEE10hipError_tPvRmT2_T3_mT4_P12ihipStream_tbEUlT_E_NS1_11comp_targetILNS1_3genE0ELNS1_11target_archE4294967295ELNS1_3gpuE0ELNS1_3repE0EEENS1_30default_config_static_selectorELNS0_4arch9wavefront6targetE1EEEvT1_
    .private_segment_fixed_size: 0
    .sgpr_count:     6
    .sgpr_spill_count: 0
    .symbol:         _ZN7rocprim17ROCPRIM_400000_NS6detail17trampoline_kernelINS0_14default_configENS1_35adjacent_difference_config_selectorILb1EaEEZNS1_24adjacent_difference_implIS3_Lb1ELb0EPKaPaN6thrust23THRUST_200600_302600_NS4plusIaEEEE10hipError_tPvRmT2_T3_mT4_P12ihipStream_tbEUlT_E_NS1_11comp_targetILNS1_3genE0ELNS1_11target_archE4294967295ELNS1_3gpuE0ELNS1_3repE0EEENS1_30default_config_static_selectorELNS0_4arch9wavefront6targetE1EEEvT1_.kd
    .uniform_work_group_size: 1
    .uses_dynamic_stack: false
    .vgpr_count:     0
    .vgpr_spill_count: 0
    .wavefront_size: 64
  - .agpr_count:     0
    .args:
      - .offset:         0
        .size:           56
        .value_kind:     by_value
    .group_segment_fixed_size: 0
    .kernarg_segment_align: 8
    .kernarg_segment_size: 56
    .language:       OpenCL C
    .language_version:
      - 2
      - 0
    .max_flat_workgroup_size: 128
    .name:           _ZN7rocprim17ROCPRIM_400000_NS6detail17trampoline_kernelINS0_14default_configENS1_35adjacent_difference_config_selectorILb1EaEEZNS1_24adjacent_difference_implIS3_Lb1ELb0EPKaPaN6thrust23THRUST_200600_302600_NS4plusIaEEEE10hipError_tPvRmT2_T3_mT4_P12ihipStream_tbEUlT_E_NS1_11comp_targetILNS1_3genE10ELNS1_11target_archE1201ELNS1_3gpuE5ELNS1_3repE0EEENS1_30default_config_static_selectorELNS0_4arch9wavefront6targetE1EEEvT1_
    .private_segment_fixed_size: 0
    .sgpr_count:     6
    .sgpr_spill_count: 0
    .symbol:         _ZN7rocprim17ROCPRIM_400000_NS6detail17trampoline_kernelINS0_14default_configENS1_35adjacent_difference_config_selectorILb1EaEEZNS1_24adjacent_difference_implIS3_Lb1ELb0EPKaPaN6thrust23THRUST_200600_302600_NS4plusIaEEEE10hipError_tPvRmT2_T3_mT4_P12ihipStream_tbEUlT_E_NS1_11comp_targetILNS1_3genE10ELNS1_11target_archE1201ELNS1_3gpuE5ELNS1_3repE0EEENS1_30default_config_static_selectorELNS0_4arch9wavefront6targetE1EEEvT1_.kd
    .uniform_work_group_size: 1
    .uses_dynamic_stack: false
    .vgpr_count:     0
    .vgpr_spill_count: 0
    .wavefront_size: 64
  - .agpr_count:     0
    .args:
      - .offset:         0
        .size:           56
        .value_kind:     by_value
    .group_segment_fixed_size: 2944
    .kernarg_segment_align: 8
    .kernarg_segment_size: 56
    .language:       OpenCL C
    .language_version:
      - 2
      - 0
    .max_flat_workgroup_size: 128
    .name:           _ZN7rocprim17ROCPRIM_400000_NS6detail17trampoline_kernelINS0_14default_configENS1_35adjacent_difference_config_selectorILb1EaEEZNS1_24adjacent_difference_implIS3_Lb1ELb0EPKaPaN6thrust23THRUST_200600_302600_NS4plusIaEEEE10hipError_tPvRmT2_T3_mT4_P12ihipStream_tbEUlT_E_NS1_11comp_targetILNS1_3genE5ELNS1_11target_archE942ELNS1_3gpuE9ELNS1_3repE0EEENS1_30default_config_static_selectorELNS0_4arch9wavefront6targetE1EEEvT1_
    .private_segment_fixed_size: 0
    .sgpr_count:     62
    .sgpr_spill_count: 0
    .symbol:         _ZN7rocprim17ROCPRIM_400000_NS6detail17trampoline_kernelINS0_14default_configENS1_35adjacent_difference_config_selectorILb1EaEEZNS1_24adjacent_difference_implIS3_Lb1ELb0EPKaPaN6thrust23THRUST_200600_302600_NS4plusIaEEEE10hipError_tPvRmT2_T3_mT4_P12ihipStream_tbEUlT_E_NS1_11comp_targetILNS1_3genE5ELNS1_11target_archE942ELNS1_3gpuE9ELNS1_3repE0EEENS1_30default_config_static_selectorELNS0_4arch9wavefront6targetE1EEEvT1_.kd
    .uniform_work_group_size: 1
    .uses_dynamic_stack: false
    .vgpr_count:     50
    .vgpr_spill_count: 0
    .wavefront_size: 64
  - .agpr_count:     0
    .args:
      - .offset:         0
        .size:           56
        .value_kind:     by_value
    .group_segment_fixed_size: 0
    .kernarg_segment_align: 8
    .kernarg_segment_size: 56
    .language:       OpenCL C
    .language_version:
      - 2
      - 0
    .max_flat_workgroup_size: 128
    .name:           _ZN7rocprim17ROCPRIM_400000_NS6detail17trampoline_kernelINS0_14default_configENS1_35adjacent_difference_config_selectorILb1EaEEZNS1_24adjacent_difference_implIS3_Lb1ELb0EPKaPaN6thrust23THRUST_200600_302600_NS4plusIaEEEE10hipError_tPvRmT2_T3_mT4_P12ihipStream_tbEUlT_E_NS1_11comp_targetILNS1_3genE4ELNS1_11target_archE910ELNS1_3gpuE8ELNS1_3repE0EEENS1_30default_config_static_selectorELNS0_4arch9wavefront6targetE1EEEvT1_
    .private_segment_fixed_size: 0
    .sgpr_count:     6
    .sgpr_spill_count: 0
    .symbol:         _ZN7rocprim17ROCPRIM_400000_NS6detail17trampoline_kernelINS0_14default_configENS1_35adjacent_difference_config_selectorILb1EaEEZNS1_24adjacent_difference_implIS3_Lb1ELb0EPKaPaN6thrust23THRUST_200600_302600_NS4plusIaEEEE10hipError_tPvRmT2_T3_mT4_P12ihipStream_tbEUlT_E_NS1_11comp_targetILNS1_3genE4ELNS1_11target_archE910ELNS1_3gpuE8ELNS1_3repE0EEENS1_30default_config_static_selectorELNS0_4arch9wavefront6targetE1EEEvT1_.kd
    .uniform_work_group_size: 1
    .uses_dynamic_stack: false
    .vgpr_count:     0
    .vgpr_spill_count: 0
    .wavefront_size: 64
  - .agpr_count:     0
    .args:
      - .offset:         0
        .size:           56
        .value_kind:     by_value
    .group_segment_fixed_size: 0
    .kernarg_segment_align: 8
    .kernarg_segment_size: 56
    .language:       OpenCL C
    .language_version:
      - 2
      - 0
    .max_flat_workgroup_size: 64
    .name:           _ZN7rocprim17ROCPRIM_400000_NS6detail17trampoline_kernelINS0_14default_configENS1_35adjacent_difference_config_selectorILb1EaEEZNS1_24adjacent_difference_implIS3_Lb1ELb0EPKaPaN6thrust23THRUST_200600_302600_NS4plusIaEEEE10hipError_tPvRmT2_T3_mT4_P12ihipStream_tbEUlT_E_NS1_11comp_targetILNS1_3genE3ELNS1_11target_archE908ELNS1_3gpuE7ELNS1_3repE0EEENS1_30default_config_static_selectorELNS0_4arch9wavefront6targetE1EEEvT1_
    .private_segment_fixed_size: 0
    .sgpr_count:     6
    .sgpr_spill_count: 0
    .symbol:         _ZN7rocprim17ROCPRIM_400000_NS6detail17trampoline_kernelINS0_14default_configENS1_35adjacent_difference_config_selectorILb1EaEEZNS1_24adjacent_difference_implIS3_Lb1ELb0EPKaPaN6thrust23THRUST_200600_302600_NS4plusIaEEEE10hipError_tPvRmT2_T3_mT4_P12ihipStream_tbEUlT_E_NS1_11comp_targetILNS1_3genE3ELNS1_11target_archE908ELNS1_3gpuE7ELNS1_3repE0EEENS1_30default_config_static_selectorELNS0_4arch9wavefront6targetE1EEEvT1_.kd
    .uniform_work_group_size: 1
    .uses_dynamic_stack: false
    .vgpr_count:     0
    .vgpr_spill_count: 0
    .wavefront_size: 64
  - .agpr_count:     0
    .args:
      - .offset:         0
        .size:           56
        .value_kind:     by_value
    .group_segment_fixed_size: 0
    .kernarg_segment_align: 8
    .kernarg_segment_size: 56
    .language:       OpenCL C
    .language_version:
      - 2
      - 0
    .max_flat_workgroup_size: 64
    .name:           _ZN7rocprim17ROCPRIM_400000_NS6detail17trampoline_kernelINS0_14default_configENS1_35adjacent_difference_config_selectorILb1EaEEZNS1_24adjacent_difference_implIS3_Lb1ELb0EPKaPaN6thrust23THRUST_200600_302600_NS4plusIaEEEE10hipError_tPvRmT2_T3_mT4_P12ihipStream_tbEUlT_E_NS1_11comp_targetILNS1_3genE2ELNS1_11target_archE906ELNS1_3gpuE6ELNS1_3repE0EEENS1_30default_config_static_selectorELNS0_4arch9wavefront6targetE1EEEvT1_
    .private_segment_fixed_size: 0
    .sgpr_count:     6
    .sgpr_spill_count: 0
    .symbol:         _ZN7rocprim17ROCPRIM_400000_NS6detail17trampoline_kernelINS0_14default_configENS1_35adjacent_difference_config_selectorILb1EaEEZNS1_24adjacent_difference_implIS3_Lb1ELb0EPKaPaN6thrust23THRUST_200600_302600_NS4plusIaEEEE10hipError_tPvRmT2_T3_mT4_P12ihipStream_tbEUlT_E_NS1_11comp_targetILNS1_3genE2ELNS1_11target_archE906ELNS1_3gpuE6ELNS1_3repE0EEENS1_30default_config_static_selectorELNS0_4arch9wavefront6targetE1EEEvT1_.kd
    .uniform_work_group_size: 1
    .uses_dynamic_stack: false
    .vgpr_count:     0
    .vgpr_spill_count: 0
    .wavefront_size: 64
  - .agpr_count:     0
    .args:
      - .offset:         0
        .size:           56
        .value_kind:     by_value
    .group_segment_fixed_size: 0
    .kernarg_segment_align: 8
    .kernarg_segment_size: 56
    .language:       OpenCL C
    .language_version:
      - 2
      - 0
    .max_flat_workgroup_size: 512
    .name:           _ZN7rocprim17ROCPRIM_400000_NS6detail17trampoline_kernelINS0_14default_configENS1_35adjacent_difference_config_selectorILb1EaEEZNS1_24adjacent_difference_implIS3_Lb1ELb0EPKaPaN6thrust23THRUST_200600_302600_NS4plusIaEEEE10hipError_tPvRmT2_T3_mT4_P12ihipStream_tbEUlT_E_NS1_11comp_targetILNS1_3genE9ELNS1_11target_archE1100ELNS1_3gpuE3ELNS1_3repE0EEENS1_30default_config_static_selectorELNS0_4arch9wavefront6targetE1EEEvT1_
    .private_segment_fixed_size: 0
    .sgpr_count:     6
    .sgpr_spill_count: 0
    .symbol:         _ZN7rocprim17ROCPRIM_400000_NS6detail17trampoline_kernelINS0_14default_configENS1_35adjacent_difference_config_selectorILb1EaEEZNS1_24adjacent_difference_implIS3_Lb1ELb0EPKaPaN6thrust23THRUST_200600_302600_NS4plusIaEEEE10hipError_tPvRmT2_T3_mT4_P12ihipStream_tbEUlT_E_NS1_11comp_targetILNS1_3genE9ELNS1_11target_archE1100ELNS1_3gpuE3ELNS1_3repE0EEENS1_30default_config_static_selectorELNS0_4arch9wavefront6targetE1EEEvT1_.kd
    .uniform_work_group_size: 1
    .uses_dynamic_stack: false
    .vgpr_count:     0
    .vgpr_spill_count: 0
    .wavefront_size: 64
  - .agpr_count:     0
    .args:
      - .offset:         0
        .size:           56
        .value_kind:     by_value
    .group_segment_fixed_size: 0
    .kernarg_segment_align: 8
    .kernarg_segment_size: 56
    .language:       OpenCL C
    .language_version:
      - 2
      - 0
    .max_flat_workgroup_size: 1024
    .name:           _ZN7rocprim17ROCPRIM_400000_NS6detail17trampoline_kernelINS0_14default_configENS1_35adjacent_difference_config_selectorILb1EaEEZNS1_24adjacent_difference_implIS3_Lb1ELb0EPKaPaN6thrust23THRUST_200600_302600_NS4plusIaEEEE10hipError_tPvRmT2_T3_mT4_P12ihipStream_tbEUlT_E_NS1_11comp_targetILNS1_3genE8ELNS1_11target_archE1030ELNS1_3gpuE2ELNS1_3repE0EEENS1_30default_config_static_selectorELNS0_4arch9wavefront6targetE1EEEvT1_
    .private_segment_fixed_size: 0
    .sgpr_count:     6
    .sgpr_spill_count: 0
    .symbol:         _ZN7rocprim17ROCPRIM_400000_NS6detail17trampoline_kernelINS0_14default_configENS1_35adjacent_difference_config_selectorILb1EaEEZNS1_24adjacent_difference_implIS3_Lb1ELb0EPKaPaN6thrust23THRUST_200600_302600_NS4plusIaEEEE10hipError_tPvRmT2_T3_mT4_P12ihipStream_tbEUlT_E_NS1_11comp_targetILNS1_3genE8ELNS1_11target_archE1030ELNS1_3gpuE2ELNS1_3repE0EEENS1_30default_config_static_selectorELNS0_4arch9wavefront6targetE1EEEvT1_.kd
    .uniform_work_group_size: 1
    .uses_dynamic_stack: false
    .vgpr_count:     0
    .vgpr_spill_count: 0
    .wavefront_size: 64
  - .agpr_count:     0
    .args:
      - .offset:         0
        .size:           56
        .value_kind:     by_value
    .group_segment_fixed_size: 0
    .kernarg_segment_align: 8
    .kernarg_segment_size: 56
    .language:       OpenCL C
    .language_version:
      - 2
      - 0
    .max_flat_workgroup_size: 64
    .name:           _ZN7rocprim17ROCPRIM_400000_NS6detail17trampoline_kernelINS0_14default_configENS1_35adjacent_difference_config_selectorILb0EhEEZNS1_24adjacent_difference_implIS3_Lb0ELb0EPKhPhN6thrust23THRUST_200600_302600_NS4plusIhEEEE10hipError_tPvRmT2_T3_mT4_P12ihipStream_tbEUlT_E_NS1_11comp_targetILNS1_3genE0ELNS1_11target_archE4294967295ELNS1_3gpuE0ELNS1_3repE0EEENS1_30default_config_static_selectorELNS0_4arch9wavefront6targetE1EEEvT1_
    .private_segment_fixed_size: 0
    .sgpr_count:     6
    .sgpr_spill_count: 0
    .symbol:         _ZN7rocprim17ROCPRIM_400000_NS6detail17trampoline_kernelINS0_14default_configENS1_35adjacent_difference_config_selectorILb0EhEEZNS1_24adjacent_difference_implIS3_Lb0ELb0EPKhPhN6thrust23THRUST_200600_302600_NS4plusIhEEEE10hipError_tPvRmT2_T3_mT4_P12ihipStream_tbEUlT_E_NS1_11comp_targetILNS1_3genE0ELNS1_11target_archE4294967295ELNS1_3gpuE0ELNS1_3repE0EEENS1_30default_config_static_selectorELNS0_4arch9wavefront6targetE1EEEvT1_.kd
    .uniform_work_group_size: 1
    .uses_dynamic_stack: false
    .vgpr_count:     0
    .vgpr_spill_count: 0
    .wavefront_size: 64
  - .agpr_count:     0
    .args:
      - .offset:         0
        .size:           56
        .value_kind:     by_value
    .group_segment_fixed_size: 0
    .kernarg_segment_align: 8
    .kernarg_segment_size: 56
    .language:       OpenCL C
    .language_version:
      - 2
      - 0
    .max_flat_workgroup_size: 1024
    .name:           _ZN7rocprim17ROCPRIM_400000_NS6detail17trampoline_kernelINS0_14default_configENS1_35adjacent_difference_config_selectorILb0EhEEZNS1_24adjacent_difference_implIS3_Lb0ELb0EPKhPhN6thrust23THRUST_200600_302600_NS4plusIhEEEE10hipError_tPvRmT2_T3_mT4_P12ihipStream_tbEUlT_E_NS1_11comp_targetILNS1_3genE10ELNS1_11target_archE1201ELNS1_3gpuE5ELNS1_3repE0EEENS1_30default_config_static_selectorELNS0_4arch9wavefront6targetE1EEEvT1_
    .private_segment_fixed_size: 0
    .sgpr_count:     6
    .sgpr_spill_count: 0
    .symbol:         _ZN7rocprim17ROCPRIM_400000_NS6detail17trampoline_kernelINS0_14default_configENS1_35adjacent_difference_config_selectorILb0EhEEZNS1_24adjacent_difference_implIS3_Lb0ELb0EPKhPhN6thrust23THRUST_200600_302600_NS4plusIhEEEE10hipError_tPvRmT2_T3_mT4_P12ihipStream_tbEUlT_E_NS1_11comp_targetILNS1_3genE10ELNS1_11target_archE1201ELNS1_3gpuE5ELNS1_3repE0EEENS1_30default_config_static_selectorELNS0_4arch9wavefront6targetE1EEEvT1_.kd
    .uniform_work_group_size: 1
    .uses_dynamic_stack: false
    .vgpr_count:     0
    .vgpr_spill_count: 0
    .wavefront_size: 64
  - .agpr_count:     0
    .args:
      - .offset:         0
        .size:           56
        .value_kind:     by_value
    .group_segment_fixed_size: 2432
    .kernarg_segment_align: 8
    .kernarg_segment_size: 56
    .language:       OpenCL C
    .language_version:
      - 2
      - 0
    .max_flat_workgroup_size: 128
    .name:           _ZN7rocprim17ROCPRIM_400000_NS6detail17trampoline_kernelINS0_14default_configENS1_35adjacent_difference_config_selectorILb0EhEEZNS1_24adjacent_difference_implIS3_Lb0ELb0EPKhPhN6thrust23THRUST_200600_302600_NS4plusIhEEEE10hipError_tPvRmT2_T3_mT4_P12ihipStream_tbEUlT_E_NS1_11comp_targetILNS1_3genE5ELNS1_11target_archE942ELNS1_3gpuE9ELNS1_3repE0EEENS1_30default_config_static_selectorELNS0_4arch9wavefront6targetE1EEEvT1_
    .private_segment_fixed_size: 0
    .sgpr_count:     54
    .sgpr_spill_count: 0
    .symbol:         _ZN7rocprim17ROCPRIM_400000_NS6detail17trampoline_kernelINS0_14default_configENS1_35adjacent_difference_config_selectorILb0EhEEZNS1_24adjacent_difference_implIS3_Lb0ELb0EPKhPhN6thrust23THRUST_200600_302600_NS4plusIhEEEE10hipError_tPvRmT2_T3_mT4_P12ihipStream_tbEUlT_E_NS1_11comp_targetILNS1_3genE5ELNS1_11target_archE942ELNS1_3gpuE9ELNS1_3repE0EEENS1_30default_config_static_selectorELNS0_4arch9wavefront6targetE1EEEvT1_.kd
    .uniform_work_group_size: 1
    .uses_dynamic_stack: false
    .vgpr_count:     42
    .vgpr_spill_count: 0
    .wavefront_size: 64
  - .agpr_count:     0
    .args:
      - .offset:         0
        .size:           56
        .value_kind:     by_value
    .group_segment_fixed_size: 0
    .kernarg_segment_align: 8
    .kernarg_segment_size: 56
    .language:       OpenCL C
    .language_version:
      - 2
      - 0
    .max_flat_workgroup_size: 64
    .name:           _ZN7rocprim17ROCPRIM_400000_NS6detail17trampoline_kernelINS0_14default_configENS1_35adjacent_difference_config_selectorILb0EhEEZNS1_24adjacent_difference_implIS3_Lb0ELb0EPKhPhN6thrust23THRUST_200600_302600_NS4plusIhEEEE10hipError_tPvRmT2_T3_mT4_P12ihipStream_tbEUlT_E_NS1_11comp_targetILNS1_3genE4ELNS1_11target_archE910ELNS1_3gpuE8ELNS1_3repE0EEENS1_30default_config_static_selectorELNS0_4arch9wavefront6targetE1EEEvT1_
    .private_segment_fixed_size: 0
    .sgpr_count:     6
    .sgpr_spill_count: 0
    .symbol:         _ZN7rocprim17ROCPRIM_400000_NS6detail17trampoline_kernelINS0_14default_configENS1_35adjacent_difference_config_selectorILb0EhEEZNS1_24adjacent_difference_implIS3_Lb0ELb0EPKhPhN6thrust23THRUST_200600_302600_NS4plusIhEEEE10hipError_tPvRmT2_T3_mT4_P12ihipStream_tbEUlT_E_NS1_11comp_targetILNS1_3genE4ELNS1_11target_archE910ELNS1_3gpuE8ELNS1_3repE0EEENS1_30default_config_static_selectorELNS0_4arch9wavefront6targetE1EEEvT1_.kd
    .uniform_work_group_size: 1
    .uses_dynamic_stack: false
    .vgpr_count:     0
    .vgpr_spill_count: 0
    .wavefront_size: 64
  - .agpr_count:     0
    .args:
      - .offset:         0
        .size:           56
        .value_kind:     by_value
    .group_segment_fixed_size: 0
    .kernarg_segment_align: 8
    .kernarg_segment_size: 56
    .language:       OpenCL C
    .language_version:
      - 2
      - 0
    .max_flat_workgroup_size: 64
    .name:           _ZN7rocprim17ROCPRIM_400000_NS6detail17trampoline_kernelINS0_14default_configENS1_35adjacent_difference_config_selectorILb0EhEEZNS1_24adjacent_difference_implIS3_Lb0ELb0EPKhPhN6thrust23THRUST_200600_302600_NS4plusIhEEEE10hipError_tPvRmT2_T3_mT4_P12ihipStream_tbEUlT_E_NS1_11comp_targetILNS1_3genE3ELNS1_11target_archE908ELNS1_3gpuE7ELNS1_3repE0EEENS1_30default_config_static_selectorELNS0_4arch9wavefront6targetE1EEEvT1_
    .private_segment_fixed_size: 0
    .sgpr_count:     6
    .sgpr_spill_count: 0
    .symbol:         _ZN7rocprim17ROCPRIM_400000_NS6detail17trampoline_kernelINS0_14default_configENS1_35adjacent_difference_config_selectorILb0EhEEZNS1_24adjacent_difference_implIS3_Lb0ELb0EPKhPhN6thrust23THRUST_200600_302600_NS4plusIhEEEE10hipError_tPvRmT2_T3_mT4_P12ihipStream_tbEUlT_E_NS1_11comp_targetILNS1_3genE3ELNS1_11target_archE908ELNS1_3gpuE7ELNS1_3repE0EEENS1_30default_config_static_selectorELNS0_4arch9wavefront6targetE1EEEvT1_.kd
    .uniform_work_group_size: 1
    .uses_dynamic_stack: false
    .vgpr_count:     0
    .vgpr_spill_count: 0
    .wavefront_size: 64
  - .agpr_count:     0
    .args:
      - .offset:         0
        .size:           56
        .value_kind:     by_value
    .group_segment_fixed_size: 0
    .kernarg_segment_align: 8
    .kernarg_segment_size: 56
    .language:       OpenCL C
    .language_version:
      - 2
      - 0
    .max_flat_workgroup_size: 64
    .name:           _ZN7rocprim17ROCPRIM_400000_NS6detail17trampoline_kernelINS0_14default_configENS1_35adjacent_difference_config_selectorILb0EhEEZNS1_24adjacent_difference_implIS3_Lb0ELb0EPKhPhN6thrust23THRUST_200600_302600_NS4plusIhEEEE10hipError_tPvRmT2_T3_mT4_P12ihipStream_tbEUlT_E_NS1_11comp_targetILNS1_3genE2ELNS1_11target_archE906ELNS1_3gpuE6ELNS1_3repE0EEENS1_30default_config_static_selectorELNS0_4arch9wavefront6targetE1EEEvT1_
    .private_segment_fixed_size: 0
    .sgpr_count:     6
    .sgpr_spill_count: 0
    .symbol:         _ZN7rocprim17ROCPRIM_400000_NS6detail17trampoline_kernelINS0_14default_configENS1_35adjacent_difference_config_selectorILb0EhEEZNS1_24adjacent_difference_implIS3_Lb0ELb0EPKhPhN6thrust23THRUST_200600_302600_NS4plusIhEEEE10hipError_tPvRmT2_T3_mT4_P12ihipStream_tbEUlT_E_NS1_11comp_targetILNS1_3genE2ELNS1_11target_archE906ELNS1_3gpuE6ELNS1_3repE0EEENS1_30default_config_static_selectorELNS0_4arch9wavefront6targetE1EEEvT1_.kd
    .uniform_work_group_size: 1
    .uses_dynamic_stack: false
    .vgpr_count:     0
    .vgpr_spill_count: 0
    .wavefront_size: 64
  - .agpr_count:     0
    .args:
      - .offset:         0
        .size:           56
        .value_kind:     by_value
    .group_segment_fixed_size: 0
    .kernarg_segment_align: 8
    .kernarg_segment_size: 56
    .language:       OpenCL C
    .language_version:
      - 2
      - 0
    .max_flat_workgroup_size: 64
    .name:           _ZN7rocprim17ROCPRIM_400000_NS6detail17trampoline_kernelINS0_14default_configENS1_35adjacent_difference_config_selectorILb0EhEEZNS1_24adjacent_difference_implIS3_Lb0ELb0EPKhPhN6thrust23THRUST_200600_302600_NS4plusIhEEEE10hipError_tPvRmT2_T3_mT4_P12ihipStream_tbEUlT_E_NS1_11comp_targetILNS1_3genE9ELNS1_11target_archE1100ELNS1_3gpuE3ELNS1_3repE0EEENS1_30default_config_static_selectorELNS0_4arch9wavefront6targetE1EEEvT1_
    .private_segment_fixed_size: 0
    .sgpr_count:     6
    .sgpr_spill_count: 0
    .symbol:         _ZN7rocprim17ROCPRIM_400000_NS6detail17trampoline_kernelINS0_14default_configENS1_35adjacent_difference_config_selectorILb0EhEEZNS1_24adjacent_difference_implIS3_Lb0ELb0EPKhPhN6thrust23THRUST_200600_302600_NS4plusIhEEEE10hipError_tPvRmT2_T3_mT4_P12ihipStream_tbEUlT_E_NS1_11comp_targetILNS1_3genE9ELNS1_11target_archE1100ELNS1_3gpuE3ELNS1_3repE0EEENS1_30default_config_static_selectorELNS0_4arch9wavefront6targetE1EEEvT1_.kd
    .uniform_work_group_size: 1
    .uses_dynamic_stack: false
    .vgpr_count:     0
    .vgpr_spill_count: 0
    .wavefront_size: 64
  - .agpr_count:     0
    .args:
      - .offset:         0
        .size:           56
        .value_kind:     by_value
    .group_segment_fixed_size: 0
    .kernarg_segment_align: 8
    .kernarg_segment_size: 56
    .language:       OpenCL C
    .language_version:
      - 2
      - 0
    .max_flat_workgroup_size: 64
    .name:           _ZN7rocprim17ROCPRIM_400000_NS6detail17trampoline_kernelINS0_14default_configENS1_35adjacent_difference_config_selectorILb0EhEEZNS1_24adjacent_difference_implIS3_Lb0ELb0EPKhPhN6thrust23THRUST_200600_302600_NS4plusIhEEEE10hipError_tPvRmT2_T3_mT4_P12ihipStream_tbEUlT_E_NS1_11comp_targetILNS1_3genE8ELNS1_11target_archE1030ELNS1_3gpuE2ELNS1_3repE0EEENS1_30default_config_static_selectorELNS0_4arch9wavefront6targetE1EEEvT1_
    .private_segment_fixed_size: 0
    .sgpr_count:     6
    .sgpr_spill_count: 0
    .symbol:         _ZN7rocprim17ROCPRIM_400000_NS6detail17trampoline_kernelINS0_14default_configENS1_35adjacent_difference_config_selectorILb0EhEEZNS1_24adjacent_difference_implIS3_Lb0ELb0EPKhPhN6thrust23THRUST_200600_302600_NS4plusIhEEEE10hipError_tPvRmT2_T3_mT4_P12ihipStream_tbEUlT_E_NS1_11comp_targetILNS1_3genE8ELNS1_11target_archE1030ELNS1_3gpuE2ELNS1_3repE0EEENS1_30default_config_static_selectorELNS0_4arch9wavefront6targetE1EEEvT1_.kd
    .uniform_work_group_size: 1
    .uses_dynamic_stack: false
    .vgpr_count:     0
    .vgpr_spill_count: 0
    .wavefront_size: 64
  - .agpr_count:     0
    .args:
      - .offset:         0
        .size:           56
        .value_kind:     by_value
    .group_segment_fixed_size: 0
    .kernarg_segment_align: 8
    .kernarg_segment_size: 56
    .language:       OpenCL C
    .language_version:
      - 2
      - 0
    .max_flat_workgroup_size: 128
    .name:           _ZN7rocprim17ROCPRIM_400000_NS6detail17trampoline_kernelINS0_14default_configENS1_25transform_config_selectorIhLb0EEEZNS1_14transform_implILb0ES3_S5_NS0_18transform_iteratorINS0_17counting_iteratorImlEEZNS1_24adjacent_difference_implIS3_Lb1ELb0EPKhPhN6thrust23THRUST_200600_302600_NS4plusIhEEEE10hipError_tPvRmT2_T3_mT4_P12ihipStream_tbEUlmE_hEESD_NS0_8identityIvEEEESI_SL_SM_mSN_SP_bEUlT_E_NS1_11comp_targetILNS1_3genE0ELNS1_11target_archE4294967295ELNS1_3gpuE0ELNS1_3repE0EEENS1_30default_config_static_selectorELNS0_4arch9wavefront6targetE1EEEvT1_
    .private_segment_fixed_size: 0
    .sgpr_count:     6
    .sgpr_spill_count: 0
    .symbol:         _ZN7rocprim17ROCPRIM_400000_NS6detail17trampoline_kernelINS0_14default_configENS1_25transform_config_selectorIhLb0EEEZNS1_14transform_implILb0ES3_S5_NS0_18transform_iteratorINS0_17counting_iteratorImlEEZNS1_24adjacent_difference_implIS3_Lb1ELb0EPKhPhN6thrust23THRUST_200600_302600_NS4plusIhEEEE10hipError_tPvRmT2_T3_mT4_P12ihipStream_tbEUlmE_hEESD_NS0_8identityIvEEEESI_SL_SM_mSN_SP_bEUlT_E_NS1_11comp_targetILNS1_3genE0ELNS1_11target_archE4294967295ELNS1_3gpuE0ELNS1_3repE0EEENS1_30default_config_static_selectorELNS0_4arch9wavefront6targetE1EEEvT1_.kd
    .uniform_work_group_size: 1
    .uses_dynamic_stack: false
    .vgpr_count:     0
    .vgpr_spill_count: 0
    .wavefront_size: 64
  - .agpr_count:     0
    .args:
      - .offset:         0
        .size:           56
        .value_kind:     by_value
      - .offset:         56
        .size:           4
        .value_kind:     hidden_block_count_x
      - .offset:         60
        .size:           4
        .value_kind:     hidden_block_count_y
      - .offset:         64
        .size:           4
        .value_kind:     hidden_block_count_z
      - .offset:         68
        .size:           2
        .value_kind:     hidden_group_size_x
      - .offset:         70
        .size:           2
        .value_kind:     hidden_group_size_y
      - .offset:         72
        .size:           2
        .value_kind:     hidden_group_size_z
      - .offset:         74
        .size:           2
        .value_kind:     hidden_remainder_x
      - .offset:         76
        .size:           2
        .value_kind:     hidden_remainder_y
      - .offset:         78
        .size:           2
        .value_kind:     hidden_remainder_z
      - .offset:         96
        .size:           8
        .value_kind:     hidden_global_offset_x
      - .offset:         104
        .size:           8
        .value_kind:     hidden_global_offset_y
      - .offset:         112
        .size:           8
        .value_kind:     hidden_global_offset_z
      - .offset:         120
        .size:           2
        .value_kind:     hidden_grid_dims
    .group_segment_fixed_size: 0
    .kernarg_segment_align: 8
    .kernarg_segment_size: 312
    .language:       OpenCL C
    .language_version:
      - 2
      - 0
    .max_flat_workgroup_size: 1024
    .name:           _ZN7rocprim17ROCPRIM_400000_NS6detail17trampoline_kernelINS0_14default_configENS1_25transform_config_selectorIhLb0EEEZNS1_14transform_implILb0ES3_S5_NS0_18transform_iteratorINS0_17counting_iteratorImlEEZNS1_24adjacent_difference_implIS3_Lb1ELb0EPKhPhN6thrust23THRUST_200600_302600_NS4plusIhEEEE10hipError_tPvRmT2_T3_mT4_P12ihipStream_tbEUlmE_hEESD_NS0_8identityIvEEEESI_SL_SM_mSN_SP_bEUlT_E_NS1_11comp_targetILNS1_3genE5ELNS1_11target_archE942ELNS1_3gpuE9ELNS1_3repE0EEENS1_30default_config_static_selectorELNS0_4arch9wavefront6targetE1EEEvT1_
    .private_segment_fixed_size: 0
    .sgpr_count:     33
    .sgpr_spill_count: 0
    .symbol:         _ZN7rocprim17ROCPRIM_400000_NS6detail17trampoline_kernelINS0_14default_configENS1_25transform_config_selectorIhLb0EEEZNS1_14transform_implILb0ES3_S5_NS0_18transform_iteratorINS0_17counting_iteratorImlEEZNS1_24adjacent_difference_implIS3_Lb1ELb0EPKhPhN6thrust23THRUST_200600_302600_NS4plusIhEEEE10hipError_tPvRmT2_T3_mT4_P12ihipStream_tbEUlmE_hEESD_NS0_8identityIvEEEESI_SL_SM_mSN_SP_bEUlT_E_NS1_11comp_targetILNS1_3genE5ELNS1_11target_archE942ELNS1_3gpuE9ELNS1_3repE0EEENS1_30default_config_static_selectorELNS0_4arch9wavefront6targetE1EEEvT1_.kd
    .uniform_work_group_size: 1
    .uses_dynamic_stack: false
    .vgpr_count:     15
    .vgpr_spill_count: 0
    .wavefront_size: 64
  - .agpr_count:     0
    .args:
      - .offset:         0
        .size:           56
        .value_kind:     by_value
    .group_segment_fixed_size: 0
    .kernarg_segment_align: 8
    .kernarg_segment_size: 56
    .language:       OpenCL C
    .language_version:
      - 2
      - 0
    .max_flat_workgroup_size: 64
    .name:           _ZN7rocprim17ROCPRIM_400000_NS6detail17trampoline_kernelINS0_14default_configENS1_25transform_config_selectorIhLb0EEEZNS1_14transform_implILb0ES3_S5_NS0_18transform_iteratorINS0_17counting_iteratorImlEEZNS1_24adjacent_difference_implIS3_Lb1ELb0EPKhPhN6thrust23THRUST_200600_302600_NS4plusIhEEEE10hipError_tPvRmT2_T3_mT4_P12ihipStream_tbEUlmE_hEESD_NS0_8identityIvEEEESI_SL_SM_mSN_SP_bEUlT_E_NS1_11comp_targetILNS1_3genE4ELNS1_11target_archE910ELNS1_3gpuE8ELNS1_3repE0EEENS1_30default_config_static_selectorELNS0_4arch9wavefront6targetE1EEEvT1_
    .private_segment_fixed_size: 0
    .sgpr_count:     6
    .sgpr_spill_count: 0
    .symbol:         _ZN7rocprim17ROCPRIM_400000_NS6detail17trampoline_kernelINS0_14default_configENS1_25transform_config_selectorIhLb0EEEZNS1_14transform_implILb0ES3_S5_NS0_18transform_iteratorINS0_17counting_iteratorImlEEZNS1_24adjacent_difference_implIS3_Lb1ELb0EPKhPhN6thrust23THRUST_200600_302600_NS4plusIhEEEE10hipError_tPvRmT2_T3_mT4_P12ihipStream_tbEUlmE_hEESD_NS0_8identityIvEEEESI_SL_SM_mSN_SP_bEUlT_E_NS1_11comp_targetILNS1_3genE4ELNS1_11target_archE910ELNS1_3gpuE8ELNS1_3repE0EEENS1_30default_config_static_selectorELNS0_4arch9wavefront6targetE1EEEvT1_.kd
    .uniform_work_group_size: 1
    .uses_dynamic_stack: false
    .vgpr_count:     0
    .vgpr_spill_count: 0
    .wavefront_size: 64
  - .agpr_count:     0
    .args:
      - .offset:         0
        .size:           56
        .value_kind:     by_value
    .group_segment_fixed_size: 0
    .kernarg_segment_align: 8
    .kernarg_segment_size: 56
    .language:       OpenCL C
    .language_version:
      - 2
      - 0
    .max_flat_workgroup_size: 128
    .name:           _ZN7rocprim17ROCPRIM_400000_NS6detail17trampoline_kernelINS0_14default_configENS1_25transform_config_selectorIhLb0EEEZNS1_14transform_implILb0ES3_S5_NS0_18transform_iteratorINS0_17counting_iteratorImlEEZNS1_24adjacent_difference_implIS3_Lb1ELb0EPKhPhN6thrust23THRUST_200600_302600_NS4plusIhEEEE10hipError_tPvRmT2_T3_mT4_P12ihipStream_tbEUlmE_hEESD_NS0_8identityIvEEEESI_SL_SM_mSN_SP_bEUlT_E_NS1_11comp_targetILNS1_3genE3ELNS1_11target_archE908ELNS1_3gpuE7ELNS1_3repE0EEENS1_30default_config_static_selectorELNS0_4arch9wavefront6targetE1EEEvT1_
    .private_segment_fixed_size: 0
    .sgpr_count:     6
    .sgpr_spill_count: 0
    .symbol:         _ZN7rocprim17ROCPRIM_400000_NS6detail17trampoline_kernelINS0_14default_configENS1_25transform_config_selectorIhLb0EEEZNS1_14transform_implILb0ES3_S5_NS0_18transform_iteratorINS0_17counting_iteratorImlEEZNS1_24adjacent_difference_implIS3_Lb1ELb0EPKhPhN6thrust23THRUST_200600_302600_NS4plusIhEEEE10hipError_tPvRmT2_T3_mT4_P12ihipStream_tbEUlmE_hEESD_NS0_8identityIvEEEESI_SL_SM_mSN_SP_bEUlT_E_NS1_11comp_targetILNS1_3genE3ELNS1_11target_archE908ELNS1_3gpuE7ELNS1_3repE0EEENS1_30default_config_static_selectorELNS0_4arch9wavefront6targetE1EEEvT1_.kd
    .uniform_work_group_size: 1
    .uses_dynamic_stack: false
    .vgpr_count:     0
    .vgpr_spill_count: 0
    .wavefront_size: 64
  - .agpr_count:     0
    .args:
      - .offset:         0
        .size:           56
        .value_kind:     by_value
    .group_segment_fixed_size: 0
    .kernarg_segment_align: 8
    .kernarg_segment_size: 56
    .language:       OpenCL C
    .language_version:
      - 2
      - 0
    .max_flat_workgroup_size: 64
    .name:           _ZN7rocprim17ROCPRIM_400000_NS6detail17trampoline_kernelINS0_14default_configENS1_25transform_config_selectorIhLb0EEEZNS1_14transform_implILb0ES3_S5_NS0_18transform_iteratorINS0_17counting_iteratorImlEEZNS1_24adjacent_difference_implIS3_Lb1ELb0EPKhPhN6thrust23THRUST_200600_302600_NS4plusIhEEEE10hipError_tPvRmT2_T3_mT4_P12ihipStream_tbEUlmE_hEESD_NS0_8identityIvEEEESI_SL_SM_mSN_SP_bEUlT_E_NS1_11comp_targetILNS1_3genE2ELNS1_11target_archE906ELNS1_3gpuE6ELNS1_3repE0EEENS1_30default_config_static_selectorELNS0_4arch9wavefront6targetE1EEEvT1_
    .private_segment_fixed_size: 0
    .sgpr_count:     6
    .sgpr_spill_count: 0
    .symbol:         _ZN7rocprim17ROCPRIM_400000_NS6detail17trampoline_kernelINS0_14default_configENS1_25transform_config_selectorIhLb0EEEZNS1_14transform_implILb0ES3_S5_NS0_18transform_iteratorINS0_17counting_iteratorImlEEZNS1_24adjacent_difference_implIS3_Lb1ELb0EPKhPhN6thrust23THRUST_200600_302600_NS4plusIhEEEE10hipError_tPvRmT2_T3_mT4_P12ihipStream_tbEUlmE_hEESD_NS0_8identityIvEEEESI_SL_SM_mSN_SP_bEUlT_E_NS1_11comp_targetILNS1_3genE2ELNS1_11target_archE906ELNS1_3gpuE6ELNS1_3repE0EEENS1_30default_config_static_selectorELNS0_4arch9wavefront6targetE1EEEvT1_.kd
    .uniform_work_group_size: 1
    .uses_dynamic_stack: false
    .vgpr_count:     0
    .vgpr_spill_count: 0
    .wavefront_size: 64
  - .agpr_count:     0
    .args:
      - .offset:         0
        .size:           56
        .value_kind:     by_value
    .group_segment_fixed_size: 0
    .kernarg_segment_align: 8
    .kernarg_segment_size: 56
    .language:       OpenCL C
    .language_version:
      - 2
      - 0
    .max_flat_workgroup_size: 256
    .name:           _ZN7rocprim17ROCPRIM_400000_NS6detail17trampoline_kernelINS0_14default_configENS1_25transform_config_selectorIhLb0EEEZNS1_14transform_implILb0ES3_S5_NS0_18transform_iteratorINS0_17counting_iteratorImlEEZNS1_24adjacent_difference_implIS3_Lb1ELb0EPKhPhN6thrust23THRUST_200600_302600_NS4plusIhEEEE10hipError_tPvRmT2_T3_mT4_P12ihipStream_tbEUlmE_hEESD_NS0_8identityIvEEEESI_SL_SM_mSN_SP_bEUlT_E_NS1_11comp_targetILNS1_3genE10ELNS1_11target_archE1201ELNS1_3gpuE5ELNS1_3repE0EEENS1_30default_config_static_selectorELNS0_4arch9wavefront6targetE1EEEvT1_
    .private_segment_fixed_size: 0
    .sgpr_count:     6
    .sgpr_spill_count: 0
    .symbol:         _ZN7rocprim17ROCPRIM_400000_NS6detail17trampoline_kernelINS0_14default_configENS1_25transform_config_selectorIhLb0EEEZNS1_14transform_implILb0ES3_S5_NS0_18transform_iteratorINS0_17counting_iteratorImlEEZNS1_24adjacent_difference_implIS3_Lb1ELb0EPKhPhN6thrust23THRUST_200600_302600_NS4plusIhEEEE10hipError_tPvRmT2_T3_mT4_P12ihipStream_tbEUlmE_hEESD_NS0_8identityIvEEEESI_SL_SM_mSN_SP_bEUlT_E_NS1_11comp_targetILNS1_3genE10ELNS1_11target_archE1201ELNS1_3gpuE5ELNS1_3repE0EEENS1_30default_config_static_selectorELNS0_4arch9wavefront6targetE1EEEvT1_.kd
    .uniform_work_group_size: 1
    .uses_dynamic_stack: false
    .vgpr_count:     0
    .vgpr_spill_count: 0
    .wavefront_size: 64
  - .agpr_count:     0
    .args:
      - .offset:         0
        .size:           56
        .value_kind:     by_value
    .group_segment_fixed_size: 0
    .kernarg_segment_align: 8
    .kernarg_segment_size: 56
    .language:       OpenCL C
    .language_version:
      - 2
      - 0
    .max_flat_workgroup_size: 256
    .name:           _ZN7rocprim17ROCPRIM_400000_NS6detail17trampoline_kernelINS0_14default_configENS1_25transform_config_selectorIhLb0EEEZNS1_14transform_implILb0ES3_S5_NS0_18transform_iteratorINS0_17counting_iteratorImlEEZNS1_24adjacent_difference_implIS3_Lb1ELb0EPKhPhN6thrust23THRUST_200600_302600_NS4plusIhEEEE10hipError_tPvRmT2_T3_mT4_P12ihipStream_tbEUlmE_hEESD_NS0_8identityIvEEEESI_SL_SM_mSN_SP_bEUlT_E_NS1_11comp_targetILNS1_3genE10ELNS1_11target_archE1200ELNS1_3gpuE4ELNS1_3repE0EEENS1_30default_config_static_selectorELNS0_4arch9wavefront6targetE1EEEvT1_
    .private_segment_fixed_size: 0
    .sgpr_count:     6
    .sgpr_spill_count: 0
    .symbol:         _ZN7rocprim17ROCPRIM_400000_NS6detail17trampoline_kernelINS0_14default_configENS1_25transform_config_selectorIhLb0EEEZNS1_14transform_implILb0ES3_S5_NS0_18transform_iteratorINS0_17counting_iteratorImlEEZNS1_24adjacent_difference_implIS3_Lb1ELb0EPKhPhN6thrust23THRUST_200600_302600_NS4plusIhEEEE10hipError_tPvRmT2_T3_mT4_P12ihipStream_tbEUlmE_hEESD_NS0_8identityIvEEEESI_SL_SM_mSN_SP_bEUlT_E_NS1_11comp_targetILNS1_3genE10ELNS1_11target_archE1200ELNS1_3gpuE4ELNS1_3repE0EEENS1_30default_config_static_selectorELNS0_4arch9wavefront6targetE1EEEvT1_.kd
    .uniform_work_group_size: 1
    .uses_dynamic_stack: false
    .vgpr_count:     0
    .vgpr_spill_count: 0
    .wavefront_size: 64
  - .agpr_count:     0
    .args:
      - .offset:         0
        .size:           56
        .value_kind:     by_value
    .group_segment_fixed_size: 0
    .kernarg_segment_align: 8
    .kernarg_segment_size: 56
    .language:       OpenCL C
    .language_version:
      - 2
      - 0
    .max_flat_workgroup_size: 1024
    .name:           _ZN7rocprim17ROCPRIM_400000_NS6detail17trampoline_kernelINS0_14default_configENS1_25transform_config_selectorIhLb0EEEZNS1_14transform_implILb0ES3_S5_NS0_18transform_iteratorINS0_17counting_iteratorImlEEZNS1_24adjacent_difference_implIS3_Lb1ELb0EPKhPhN6thrust23THRUST_200600_302600_NS4plusIhEEEE10hipError_tPvRmT2_T3_mT4_P12ihipStream_tbEUlmE_hEESD_NS0_8identityIvEEEESI_SL_SM_mSN_SP_bEUlT_E_NS1_11comp_targetILNS1_3genE9ELNS1_11target_archE1100ELNS1_3gpuE3ELNS1_3repE0EEENS1_30default_config_static_selectorELNS0_4arch9wavefront6targetE1EEEvT1_
    .private_segment_fixed_size: 0
    .sgpr_count:     6
    .sgpr_spill_count: 0
    .symbol:         _ZN7rocprim17ROCPRIM_400000_NS6detail17trampoline_kernelINS0_14default_configENS1_25transform_config_selectorIhLb0EEEZNS1_14transform_implILb0ES3_S5_NS0_18transform_iteratorINS0_17counting_iteratorImlEEZNS1_24adjacent_difference_implIS3_Lb1ELb0EPKhPhN6thrust23THRUST_200600_302600_NS4plusIhEEEE10hipError_tPvRmT2_T3_mT4_P12ihipStream_tbEUlmE_hEESD_NS0_8identityIvEEEESI_SL_SM_mSN_SP_bEUlT_E_NS1_11comp_targetILNS1_3genE9ELNS1_11target_archE1100ELNS1_3gpuE3ELNS1_3repE0EEENS1_30default_config_static_selectorELNS0_4arch9wavefront6targetE1EEEvT1_.kd
    .uniform_work_group_size: 1
    .uses_dynamic_stack: false
    .vgpr_count:     0
    .vgpr_spill_count: 0
    .wavefront_size: 64
  - .agpr_count:     0
    .args:
      - .offset:         0
        .size:           56
        .value_kind:     by_value
    .group_segment_fixed_size: 0
    .kernarg_segment_align: 8
    .kernarg_segment_size: 56
    .language:       OpenCL C
    .language_version:
      - 2
      - 0
    .max_flat_workgroup_size: 128
    .name:           _ZN7rocprim17ROCPRIM_400000_NS6detail17trampoline_kernelINS0_14default_configENS1_25transform_config_selectorIhLb0EEEZNS1_14transform_implILb0ES3_S5_NS0_18transform_iteratorINS0_17counting_iteratorImlEEZNS1_24adjacent_difference_implIS3_Lb1ELb0EPKhPhN6thrust23THRUST_200600_302600_NS4plusIhEEEE10hipError_tPvRmT2_T3_mT4_P12ihipStream_tbEUlmE_hEESD_NS0_8identityIvEEEESI_SL_SM_mSN_SP_bEUlT_E_NS1_11comp_targetILNS1_3genE8ELNS1_11target_archE1030ELNS1_3gpuE2ELNS1_3repE0EEENS1_30default_config_static_selectorELNS0_4arch9wavefront6targetE1EEEvT1_
    .private_segment_fixed_size: 0
    .sgpr_count:     6
    .sgpr_spill_count: 0
    .symbol:         _ZN7rocprim17ROCPRIM_400000_NS6detail17trampoline_kernelINS0_14default_configENS1_25transform_config_selectorIhLb0EEEZNS1_14transform_implILb0ES3_S5_NS0_18transform_iteratorINS0_17counting_iteratorImlEEZNS1_24adjacent_difference_implIS3_Lb1ELb0EPKhPhN6thrust23THRUST_200600_302600_NS4plusIhEEEE10hipError_tPvRmT2_T3_mT4_P12ihipStream_tbEUlmE_hEESD_NS0_8identityIvEEEESI_SL_SM_mSN_SP_bEUlT_E_NS1_11comp_targetILNS1_3genE8ELNS1_11target_archE1030ELNS1_3gpuE2ELNS1_3repE0EEENS1_30default_config_static_selectorELNS0_4arch9wavefront6targetE1EEEvT1_.kd
    .uniform_work_group_size: 1
    .uses_dynamic_stack: false
    .vgpr_count:     0
    .vgpr_spill_count: 0
    .wavefront_size: 64
  - .agpr_count:     0
    .args:
      - .offset:         0
        .size:           56
        .value_kind:     by_value
    .group_segment_fixed_size: 0
    .kernarg_segment_align: 8
    .kernarg_segment_size: 56
    .language:       OpenCL C
    .language_version:
      - 2
      - 0
    .max_flat_workgroup_size: 64
    .name:           _ZN7rocprim17ROCPRIM_400000_NS6detail17trampoline_kernelINS0_14default_configENS1_35adjacent_difference_config_selectorILb1EhEEZNS1_24adjacent_difference_implIS3_Lb1ELb0EPKhPhN6thrust23THRUST_200600_302600_NS4plusIhEEEE10hipError_tPvRmT2_T3_mT4_P12ihipStream_tbEUlT_E_NS1_11comp_targetILNS1_3genE0ELNS1_11target_archE4294967295ELNS1_3gpuE0ELNS1_3repE0EEENS1_30default_config_static_selectorELNS0_4arch9wavefront6targetE1EEEvT1_
    .private_segment_fixed_size: 0
    .sgpr_count:     6
    .sgpr_spill_count: 0
    .symbol:         _ZN7rocprim17ROCPRIM_400000_NS6detail17trampoline_kernelINS0_14default_configENS1_35adjacent_difference_config_selectorILb1EhEEZNS1_24adjacent_difference_implIS3_Lb1ELb0EPKhPhN6thrust23THRUST_200600_302600_NS4plusIhEEEE10hipError_tPvRmT2_T3_mT4_P12ihipStream_tbEUlT_E_NS1_11comp_targetILNS1_3genE0ELNS1_11target_archE4294967295ELNS1_3gpuE0ELNS1_3repE0EEENS1_30default_config_static_selectorELNS0_4arch9wavefront6targetE1EEEvT1_.kd
    .uniform_work_group_size: 1
    .uses_dynamic_stack: false
    .vgpr_count:     0
    .vgpr_spill_count: 0
    .wavefront_size: 64
  - .agpr_count:     0
    .args:
      - .offset:         0
        .size:           56
        .value_kind:     by_value
    .group_segment_fixed_size: 0
    .kernarg_segment_align: 8
    .kernarg_segment_size: 56
    .language:       OpenCL C
    .language_version:
      - 2
      - 0
    .max_flat_workgroup_size: 128
    .name:           _ZN7rocprim17ROCPRIM_400000_NS6detail17trampoline_kernelINS0_14default_configENS1_35adjacent_difference_config_selectorILb1EhEEZNS1_24adjacent_difference_implIS3_Lb1ELb0EPKhPhN6thrust23THRUST_200600_302600_NS4plusIhEEEE10hipError_tPvRmT2_T3_mT4_P12ihipStream_tbEUlT_E_NS1_11comp_targetILNS1_3genE10ELNS1_11target_archE1201ELNS1_3gpuE5ELNS1_3repE0EEENS1_30default_config_static_selectorELNS0_4arch9wavefront6targetE1EEEvT1_
    .private_segment_fixed_size: 0
    .sgpr_count:     6
    .sgpr_spill_count: 0
    .symbol:         _ZN7rocprim17ROCPRIM_400000_NS6detail17trampoline_kernelINS0_14default_configENS1_35adjacent_difference_config_selectorILb1EhEEZNS1_24adjacent_difference_implIS3_Lb1ELb0EPKhPhN6thrust23THRUST_200600_302600_NS4plusIhEEEE10hipError_tPvRmT2_T3_mT4_P12ihipStream_tbEUlT_E_NS1_11comp_targetILNS1_3genE10ELNS1_11target_archE1201ELNS1_3gpuE5ELNS1_3repE0EEENS1_30default_config_static_selectorELNS0_4arch9wavefront6targetE1EEEvT1_.kd
    .uniform_work_group_size: 1
    .uses_dynamic_stack: false
    .vgpr_count:     0
    .vgpr_spill_count: 0
    .wavefront_size: 64
  - .agpr_count:     0
    .args:
      - .offset:         0
        .size:           56
        .value_kind:     by_value
    .group_segment_fixed_size: 2944
    .kernarg_segment_align: 8
    .kernarg_segment_size: 56
    .language:       OpenCL C
    .language_version:
      - 2
      - 0
    .max_flat_workgroup_size: 128
    .name:           _ZN7rocprim17ROCPRIM_400000_NS6detail17trampoline_kernelINS0_14default_configENS1_35adjacent_difference_config_selectorILb1EhEEZNS1_24adjacent_difference_implIS3_Lb1ELb0EPKhPhN6thrust23THRUST_200600_302600_NS4plusIhEEEE10hipError_tPvRmT2_T3_mT4_P12ihipStream_tbEUlT_E_NS1_11comp_targetILNS1_3genE5ELNS1_11target_archE942ELNS1_3gpuE9ELNS1_3repE0EEENS1_30default_config_static_selectorELNS0_4arch9wavefront6targetE1EEEvT1_
    .private_segment_fixed_size: 0
    .sgpr_count:     62
    .sgpr_spill_count: 0
    .symbol:         _ZN7rocprim17ROCPRIM_400000_NS6detail17trampoline_kernelINS0_14default_configENS1_35adjacent_difference_config_selectorILb1EhEEZNS1_24adjacent_difference_implIS3_Lb1ELb0EPKhPhN6thrust23THRUST_200600_302600_NS4plusIhEEEE10hipError_tPvRmT2_T3_mT4_P12ihipStream_tbEUlT_E_NS1_11comp_targetILNS1_3genE5ELNS1_11target_archE942ELNS1_3gpuE9ELNS1_3repE0EEENS1_30default_config_static_selectorELNS0_4arch9wavefront6targetE1EEEvT1_.kd
    .uniform_work_group_size: 1
    .uses_dynamic_stack: false
    .vgpr_count:     50
    .vgpr_spill_count: 0
    .wavefront_size: 64
  - .agpr_count:     0
    .args:
      - .offset:         0
        .size:           56
        .value_kind:     by_value
    .group_segment_fixed_size: 0
    .kernarg_segment_align: 8
    .kernarg_segment_size: 56
    .language:       OpenCL C
    .language_version:
      - 2
      - 0
    .max_flat_workgroup_size: 128
    .name:           _ZN7rocprim17ROCPRIM_400000_NS6detail17trampoline_kernelINS0_14default_configENS1_35adjacent_difference_config_selectorILb1EhEEZNS1_24adjacent_difference_implIS3_Lb1ELb0EPKhPhN6thrust23THRUST_200600_302600_NS4plusIhEEEE10hipError_tPvRmT2_T3_mT4_P12ihipStream_tbEUlT_E_NS1_11comp_targetILNS1_3genE4ELNS1_11target_archE910ELNS1_3gpuE8ELNS1_3repE0EEENS1_30default_config_static_selectorELNS0_4arch9wavefront6targetE1EEEvT1_
    .private_segment_fixed_size: 0
    .sgpr_count:     6
    .sgpr_spill_count: 0
    .symbol:         _ZN7rocprim17ROCPRIM_400000_NS6detail17trampoline_kernelINS0_14default_configENS1_35adjacent_difference_config_selectorILb1EhEEZNS1_24adjacent_difference_implIS3_Lb1ELb0EPKhPhN6thrust23THRUST_200600_302600_NS4plusIhEEEE10hipError_tPvRmT2_T3_mT4_P12ihipStream_tbEUlT_E_NS1_11comp_targetILNS1_3genE4ELNS1_11target_archE910ELNS1_3gpuE8ELNS1_3repE0EEENS1_30default_config_static_selectorELNS0_4arch9wavefront6targetE1EEEvT1_.kd
    .uniform_work_group_size: 1
    .uses_dynamic_stack: false
    .vgpr_count:     0
    .vgpr_spill_count: 0
    .wavefront_size: 64
  - .agpr_count:     0
    .args:
      - .offset:         0
        .size:           56
        .value_kind:     by_value
    .group_segment_fixed_size: 0
    .kernarg_segment_align: 8
    .kernarg_segment_size: 56
    .language:       OpenCL C
    .language_version:
      - 2
      - 0
    .max_flat_workgroup_size: 64
    .name:           _ZN7rocprim17ROCPRIM_400000_NS6detail17trampoline_kernelINS0_14default_configENS1_35adjacent_difference_config_selectorILb1EhEEZNS1_24adjacent_difference_implIS3_Lb1ELb0EPKhPhN6thrust23THRUST_200600_302600_NS4plusIhEEEE10hipError_tPvRmT2_T3_mT4_P12ihipStream_tbEUlT_E_NS1_11comp_targetILNS1_3genE3ELNS1_11target_archE908ELNS1_3gpuE7ELNS1_3repE0EEENS1_30default_config_static_selectorELNS0_4arch9wavefront6targetE1EEEvT1_
    .private_segment_fixed_size: 0
    .sgpr_count:     6
    .sgpr_spill_count: 0
    .symbol:         _ZN7rocprim17ROCPRIM_400000_NS6detail17trampoline_kernelINS0_14default_configENS1_35adjacent_difference_config_selectorILb1EhEEZNS1_24adjacent_difference_implIS3_Lb1ELb0EPKhPhN6thrust23THRUST_200600_302600_NS4plusIhEEEE10hipError_tPvRmT2_T3_mT4_P12ihipStream_tbEUlT_E_NS1_11comp_targetILNS1_3genE3ELNS1_11target_archE908ELNS1_3gpuE7ELNS1_3repE0EEENS1_30default_config_static_selectorELNS0_4arch9wavefront6targetE1EEEvT1_.kd
    .uniform_work_group_size: 1
    .uses_dynamic_stack: false
    .vgpr_count:     0
    .vgpr_spill_count: 0
    .wavefront_size: 64
  - .agpr_count:     0
    .args:
      - .offset:         0
        .size:           56
        .value_kind:     by_value
    .group_segment_fixed_size: 0
    .kernarg_segment_align: 8
    .kernarg_segment_size: 56
    .language:       OpenCL C
    .language_version:
      - 2
      - 0
    .max_flat_workgroup_size: 64
    .name:           _ZN7rocprim17ROCPRIM_400000_NS6detail17trampoline_kernelINS0_14default_configENS1_35adjacent_difference_config_selectorILb1EhEEZNS1_24adjacent_difference_implIS3_Lb1ELb0EPKhPhN6thrust23THRUST_200600_302600_NS4plusIhEEEE10hipError_tPvRmT2_T3_mT4_P12ihipStream_tbEUlT_E_NS1_11comp_targetILNS1_3genE2ELNS1_11target_archE906ELNS1_3gpuE6ELNS1_3repE0EEENS1_30default_config_static_selectorELNS0_4arch9wavefront6targetE1EEEvT1_
    .private_segment_fixed_size: 0
    .sgpr_count:     6
    .sgpr_spill_count: 0
    .symbol:         _ZN7rocprim17ROCPRIM_400000_NS6detail17trampoline_kernelINS0_14default_configENS1_35adjacent_difference_config_selectorILb1EhEEZNS1_24adjacent_difference_implIS3_Lb1ELb0EPKhPhN6thrust23THRUST_200600_302600_NS4plusIhEEEE10hipError_tPvRmT2_T3_mT4_P12ihipStream_tbEUlT_E_NS1_11comp_targetILNS1_3genE2ELNS1_11target_archE906ELNS1_3gpuE6ELNS1_3repE0EEENS1_30default_config_static_selectorELNS0_4arch9wavefront6targetE1EEEvT1_.kd
    .uniform_work_group_size: 1
    .uses_dynamic_stack: false
    .vgpr_count:     0
    .vgpr_spill_count: 0
    .wavefront_size: 64
  - .agpr_count:     0
    .args:
      - .offset:         0
        .size:           56
        .value_kind:     by_value
    .group_segment_fixed_size: 0
    .kernarg_segment_align: 8
    .kernarg_segment_size: 56
    .language:       OpenCL C
    .language_version:
      - 2
      - 0
    .max_flat_workgroup_size: 512
    .name:           _ZN7rocprim17ROCPRIM_400000_NS6detail17trampoline_kernelINS0_14default_configENS1_35adjacent_difference_config_selectorILb1EhEEZNS1_24adjacent_difference_implIS3_Lb1ELb0EPKhPhN6thrust23THRUST_200600_302600_NS4plusIhEEEE10hipError_tPvRmT2_T3_mT4_P12ihipStream_tbEUlT_E_NS1_11comp_targetILNS1_3genE9ELNS1_11target_archE1100ELNS1_3gpuE3ELNS1_3repE0EEENS1_30default_config_static_selectorELNS0_4arch9wavefront6targetE1EEEvT1_
    .private_segment_fixed_size: 0
    .sgpr_count:     6
    .sgpr_spill_count: 0
    .symbol:         _ZN7rocprim17ROCPRIM_400000_NS6detail17trampoline_kernelINS0_14default_configENS1_35adjacent_difference_config_selectorILb1EhEEZNS1_24adjacent_difference_implIS3_Lb1ELb0EPKhPhN6thrust23THRUST_200600_302600_NS4plusIhEEEE10hipError_tPvRmT2_T3_mT4_P12ihipStream_tbEUlT_E_NS1_11comp_targetILNS1_3genE9ELNS1_11target_archE1100ELNS1_3gpuE3ELNS1_3repE0EEENS1_30default_config_static_selectorELNS0_4arch9wavefront6targetE1EEEvT1_.kd
    .uniform_work_group_size: 1
    .uses_dynamic_stack: false
    .vgpr_count:     0
    .vgpr_spill_count: 0
    .wavefront_size: 64
  - .agpr_count:     0
    .args:
      - .offset:         0
        .size:           56
        .value_kind:     by_value
    .group_segment_fixed_size: 0
    .kernarg_segment_align: 8
    .kernarg_segment_size: 56
    .language:       OpenCL C
    .language_version:
      - 2
      - 0
    .max_flat_workgroup_size: 1024
    .name:           _ZN7rocprim17ROCPRIM_400000_NS6detail17trampoline_kernelINS0_14default_configENS1_35adjacent_difference_config_selectorILb1EhEEZNS1_24adjacent_difference_implIS3_Lb1ELb0EPKhPhN6thrust23THRUST_200600_302600_NS4plusIhEEEE10hipError_tPvRmT2_T3_mT4_P12ihipStream_tbEUlT_E_NS1_11comp_targetILNS1_3genE8ELNS1_11target_archE1030ELNS1_3gpuE2ELNS1_3repE0EEENS1_30default_config_static_selectorELNS0_4arch9wavefront6targetE1EEEvT1_
    .private_segment_fixed_size: 0
    .sgpr_count:     6
    .sgpr_spill_count: 0
    .symbol:         _ZN7rocprim17ROCPRIM_400000_NS6detail17trampoline_kernelINS0_14default_configENS1_35adjacent_difference_config_selectorILb1EhEEZNS1_24adjacent_difference_implIS3_Lb1ELb0EPKhPhN6thrust23THRUST_200600_302600_NS4plusIhEEEE10hipError_tPvRmT2_T3_mT4_P12ihipStream_tbEUlT_E_NS1_11comp_targetILNS1_3genE8ELNS1_11target_archE1030ELNS1_3gpuE2ELNS1_3repE0EEENS1_30default_config_static_selectorELNS0_4arch9wavefront6targetE1EEEvT1_.kd
    .uniform_work_group_size: 1
    .uses_dynamic_stack: false
    .vgpr_count:     0
    .vgpr_spill_count: 0
    .wavefront_size: 64
  - .agpr_count:     0
    .args:
      - .offset:         0
        .size:           56
        .value_kind:     by_value
    .group_segment_fixed_size: 0
    .kernarg_segment_align: 8
    .kernarg_segment_size: 56
    .language:       OpenCL C
    .language_version:
      - 2
      - 0
    .max_flat_workgroup_size: 64
    .name:           _ZN7rocprim17ROCPRIM_400000_NS6detail17trampoline_kernelINS0_14default_configENS1_35adjacent_difference_config_selectorILb0EsEEZNS1_24adjacent_difference_implIS3_Lb0ELb0EPKsPsN6thrust23THRUST_200600_302600_NS4plusIsEEEE10hipError_tPvRmT2_T3_mT4_P12ihipStream_tbEUlT_E_NS1_11comp_targetILNS1_3genE0ELNS1_11target_archE4294967295ELNS1_3gpuE0ELNS1_3repE0EEENS1_30default_config_static_selectorELNS0_4arch9wavefront6targetE1EEEvT1_
    .private_segment_fixed_size: 0
    .sgpr_count:     6
    .sgpr_spill_count: 0
    .symbol:         _ZN7rocprim17ROCPRIM_400000_NS6detail17trampoline_kernelINS0_14default_configENS1_35adjacent_difference_config_selectorILb0EsEEZNS1_24adjacent_difference_implIS3_Lb0ELb0EPKsPsN6thrust23THRUST_200600_302600_NS4plusIsEEEE10hipError_tPvRmT2_T3_mT4_P12ihipStream_tbEUlT_E_NS1_11comp_targetILNS1_3genE0ELNS1_11target_archE4294967295ELNS1_3gpuE0ELNS1_3repE0EEENS1_30default_config_static_selectorELNS0_4arch9wavefront6targetE1EEEvT1_.kd
    .uniform_work_group_size: 1
    .uses_dynamic_stack: false
    .vgpr_count:     0
    .vgpr_spill_count: 0
    .wavefront_size: 64
  - .agpr_count:     0
    .args:
      - .offset:         0
        .size:           56
        .value_kind:     by_value
    .group_segment_fixed_size: 0
    .kernarg_segment_align: 8
    .kernarg_segment_size: 56
    .language:       OpenCL C
    .language_version:
      - 2
      - 0
    .max_flat_workgroup_size: 128
    .name:           _ZN7rocprim17ROCPRIM_400000_NS6detail17trampoline_kernelINS0_14default_configENS1_35adjacent_difference_config_selectorILb0EsEEZNS1_24adjacent_difference_implIS3_Lb0ELb0EPKsPsN6thrust23THRUST_200600_302600_NS4plusIsEEEE10hipError_tPvRmT2_T3_mT4_P12ihipStream_tbEUlT_E_NS1_11comp_targetILNS1_3genE10ELNS1_11target_archE1201ELNS1_3gpuE5ELNS1_3repE0EEENS1_30default_config_static_selectorELNS0_4arch9wavefront6targetE1EEEvT1_
    .private_segment_fixed_size: 0
    .sgpr_count:     6
    .sgpr_spill_count: 0
    .symbol:         _ZN7rocprim17ROCPRIM_400000_NS6detail17trampoline_kernelINS0_14default_configENS1_35adjacent_difference_config_selectorILb0EsEEZNS1_24adjacent_difference_implIS3_Lb0ELb0EPKsPsN6thrust23THRUST_200600_302600_NS4plusIsEEEE10hipError_tPvRmT2_T3_mT4_P12ihipStream_tbEUlT_E_NS1_11comp_targetILNS1_3genE10ELNS1_11target_archE1201ELNS1_3gpuE5ELNS1_3repE0EEENS1_30default_config_static_selectorELNS0_4arch9wavefront6targetE1EEEvT1_.kd
    .uniform_work_group_size: 1
    .uses_dynamic_stack: false
    .vgpr_count:     0
    .vgpr_spill_count: 0
    .wavefront_size: 64
  - .agpr_count:     0
    .args:
      - .offset:         0
        .size:           56
        .value_kind:     by_value
    .group_segment_fixed_size: 8704
    .kernarg_segment_align: 8
    .kernarg_segment_size: 56
    .language:       OpenCL C
    .language_version:
      - 2
      - 0
    .max_flat_workgroup_size: 256
    .name:           _ZN7rocprim17ROCPRIM_400000_NS6detail17trampoline_kernelINS0_14default_configENS1_35adjacent_difference_config_selectorILb0EsEEZNS1_24adjacent_difference_implIS3_Lb0ELb0EPKsPsN6thrust23THRUST_200600_302600_NS4plusIsEEEE10hipError_tPvRmT2_T3_mT4_P12ihipStream_tbEUlT_E_NS1_11comp_targetILNS1_3genE5ELNS1_11target_archE942ELNS1_3gpuE9ELNS1_3repE0EEENS1_30default_config_static_selectorELNS0_4arch9wavefront6targetE1EEEvT1_
    .private_segment_fixed_size: 0
    .sgpr_count:     29
    .sgpr_spill_count: 0
    .symbol:         _ZN7rocprim17ROCPRIM_400000_NS6detail17trampoline_kernelINS0_14default_configENS1_35adjacent_difference_config_selectorILb0EsEEZNS1_24adjacent_difference_implIS3_Lb0ELb0EPKsPsN6thrust23THRUST_200600_302600_NS4plusIsEEEE10hipError_tPvRmT2_T3_mT4_P12ihipStream_tbEUlT_E_NS1_11comp_targetILNS1_3genE5ELNS1_11target_archE942ELNS1_3gpuE9ELNS1_3repE0EEENS1_30default_config_static_selectorELNS0_4arch9wavefront6targetE1EEEvT1_.kd
    .uniform_work_group_size: 1
    .uses_dynamic_stack: false
    .vgpr_count:     32
    .vgpr_spill_count: 0
    .wavefront_size: 64
  - .agpr_count:     0
    .args:
      - .offset:         0
        .size:           56
        .value_kind:     by_value
    .group_segment_fixed_size: 0
    .kernarg_segment_align: 8
    .kernarg_segment_size: 56
    .language:       OpenCL C
    .language_version:
      - 2
      - 0
    .max_flat_workgroup_size: 64
    .name:           _ZN7rocprim17ROCPRIM_400000_NS6detail17trampoline_kernelINS0_14default_configENS1_35adjacent_difference_config_selectorILb0EsEEZNS1_24adjacent_difference_implIS3_Lb0ELb0EPKsPsN6thrust23THRUST_200600_302600_NS4plusIsEEEE10hipError_tPvRmT2_T3_mT4_P12ihipStream_tbEUlT_E_NS1_11comp_targetILNS1_3genE4ELNS1_11target_archE910ELNS1_3gpuE8ELNS1_3repE0EEENS1_30default_config_static_selectorELNS0_4arch9wavefront6targetE1EEEvT1_
    .private_segment_fixed_size: 0
    .sgpr_count:     6
    .sgpr_spill_count: 0
    .symbol:         _ZN7rocprim17ROCPRIM_400000_NS6detail17trampoline_kernelINS0_14default_configENS1_35adjacent_difference_config_selectorILb0EsEEZNS1_24adjacent_difference_implIS3_Lb0ELb0EPKsPsN6thrust23THRUST_200600_302600_NS4plusIsEEEE10hipError_tPvRmT2_T3_mT4_P12ihipStream_tbEUlT_E_NS1_11comp_targetILNS1_3genE4ELNS1_11target_archE910ELNS1_3gpuE8ELNS1_3repE0EEENS1_30default_config_static_selectorELNS0_4arch9wavefront6targetE1EEEvT1_.kd
    .uniform_work_group_size: 1
    .uses_dynamic_stack: false
    .vgpr_count:     0
    .vgpr_spill_count: 0
    .wavefront_size: 64
  - .agpr_count:     0
    .args:
      - .offset:         0
        .size:           56
        .value_kind:     by_value
    .group_segment_fixed_size: 0
    .kernarg_segment_align: 8
    .kernarg_segment_size: 56
    .language:       OpenCL C
    .language_version:
      - 2
      - 0
    .max_flat_workgroup_size: 64
    .name:           _ZN7rocprim17ROCPRIM_400000_NS6detail17trampoline_kernelINS0_14default_configENS1_35adjacent_difference_config_selectorILb0EsEEZNS1_24adjacent_difference_implIS3_Lb0ELb0EPKsPsN6thrust23THRUST_200600_302600_NS4plusIsEEEE10hipError_tPvRmT2_T3_mT4_P12ihipStream_tbEUlT_E_NS1_11comp_targetILNS1_3genE3ELNS1_11target_archE908ELNS1_3gpuE7ELNS1_3repE0EEENS1_30default_config_static_selectorELNS0_4arch9wavefront6targetE1EEEvT1_
    .private_segment_fixed_size: 0
    .sgpr_count:     6
    .sgpr_spill_count: 0
    .symbol:         _ZN7rocprim17ROCPRIM_400000_NS6detail17trampoline_kernelINS0_14default_configENS1_35adjacent_difference_config_selectorILb0EsEEZNS1_24adjacent_difference_implIS3_Lb0ELb0EPKsPsN6thrust23THRUST_200600_302600_NS4plusIsEEEE10hipError_tPvRmT2_T3_mT4_P12ihipStream_tbEUlT_E_NS1_11comp_targetILNS1_3genE3ELNS1_11target_archE908ELNS1_3gpuE7ELNS1_3repE0EEENS1_30default_config_static_selectorELNS0_4arch9wavefront6targetE1EEEvT1_.kd
    .uniform_work_group_size: 1
    .uses_dynamic_stack: false
    .vgpr_count:     0
    .vgpr_spill_count: 0
    .wavefront_size: 64
  - .agpr_count:     0
    .args:
      - .offset:         0
        .size:           56
        .value_kind:     by_value
    .group_segment_fixed_size: 0
    .kernarg_segment_align: 8
    .kernarg_segment_size: 56
    .language:       OpenCL C
    .language_version:
      - 2
      - 0
    .max_flat_workgroup_size: 64
    .name:           _ZN7rocprim17ROCPRIM_400000_NS6detail17trampoline_kernelINS0_14default_configENS1_35adjacent_difference_config_selectorILb0EsEEZNS1_24adjacent_difference_implIS3_Lb0ELb0EPKsPsN6thrust23THRUST_200600_302600_NS4plusIsEEEE10hipError_tPvRmT2_T3_mT4_P12ihipStream_tbEUlT_E_NS1_11comp_targetILNS1_3genE2ELNS1_11target_archE906ELNS1_3gpuE6ELNS1_3repE0EEENS1_30default_config_static_selectorELNS0_4arch9wavefront6targetE1EEEvT1_
    .private_segment_fixed_size: 0
    .sgpr_count:     6
    .sgpr_spill_count: 0
    .symbol:         _ZN7rocprim17ROCPRIM_400000_NS6detail17trampoline_kernelINS0_14default_configENS1_35adjacent_difference_config_selectorILb0EsEEZNS1_24adjacent_difference_implIS3_Lb0ELb0EPKsPsN6thrust23THRUST_200600_302600_NS4plusIsEEEE10hipError_tPvRmT2_T3_mT4_P12ihipStream_tbEUlT_E_NS1_11comp_targetILNS1_3genE2ELNS1_11target_archE906ELNS1_3gpuE6ELNS1_3repE0EEENS1_30default_config_static_selectorELNS0_4arch9wavefront6targetE1EEEvT1_.kd
    .uniform_work_group_size: 1
    .uses_dynamic_stack: false
    .vgpr_count:     0
    .vgpr_spill_count: 0
    .wavefront_size: 64
  - .agpr_count:     0
    .args:
      - .offset:         0
        .size:           56
        .value_kind:     by_value
    .group_segment_fixed_size: 0
    .kernarg_segment_align: 8
    .kernarg_segment_size: 56
    .language:       OpenCL C
    .language_version:
      - 2
      - 0
    .max_flat_workgroup_size: 64
    .name:           _ZN7rocprim17ROCPRIM_400000_NS6detail17trampoline_kernelINS0_14default_configENS1_35adjacent_difference_config_selectorILb0EsEEZNS1_24adjacent_difference_implIS3_Lb0ELb0EPKsPsN6thrust23THRUST_200600_302600_NS4plusIsEEEE10hipError_tPvRmT2_T3_mT4_P12ihipStream_tbEUlT_E_NS1_11comp_targetILNS1_3genE9ELNS1_11target_archE1100ELNS1_3gpuE3ELNS1_3repE0EEENS1_30default_config_static_selectorELNS0_4arch9wavefront6targetE1EEEvT1_
    .private_segment_fixed_size: 0
    .sgpr_count:     6
    .sgpr_spill_count: 0
    .symbol:         _ZN7rocprim17ROCPRIM_400000_NS6detail17trampoline_kernelINS0_14default_configENS1_35adjacent_difference_config_selectorILb0EsEEZNS1_24adjacent_difference_implIS3_Lb0ELb0EPKsPsN6thrust23THRUST_200600_302600_NS4plusIsEEEE10hipError_tPvRmT2_T3_mT4_P12ihipStream_tbEUlT_E_NS1_11comp_targetILNS1_3genE9ELNS1_11target_archE1100ELNS1_3gpuE3ELNS1_3repE0EEENS1_30default_config_static_selectorELNS0_4arch9wavefront6targetE1EEEvT1_.kd
    .uniform_work_group_size: 1
    .uses_dynamic_stack: false
    .vgpr_count:     0
    .vgpr_spill_count: 0
    .wavefront_size: 64
  - .agpr_count:     0
    .args:
      - .offset:         0
        .size:           56
        .value_kind:     by_value
    .group_segment_fixed_size: 0
    .kernarg_segment_align: 8
    .kernarg_segment_size: 56
    .language:       OpenCL C
    .language_version:
      - 2
      - 0
    .max_flat_workgroup_size: 1024
    .name:           _ZN7rocprim17ROCPRIM_400000_NS6detail17trampoline_kernelINS0_14default_configENS1_35adjacent_difference_config_selectorILb0EsEEZNS1_24adjacent_difference_implIS3_Lb0ELb0EPKsPsN6thrust23THRUST_200600_302600_NS4plusIsEEEE10hipError_tPvRmT2_T3_mT4_P12ihipStream_tbEUlT_E_NS1_11comp_targetILNS1_3genE8ELNS1_11target_archE1030ELNS1_3gpuE2ELNS1_3repE0EEENS1_30default_config_static_selectorELNS0_4arch9wavefront6targetE1EEEvT1_
    .private_segment_fixed_size: 0
    .sgpr_count:     6
    .sgpr_spill_count: 0
    .symbol:         _ZN7rocprim17ROCPRIM_400000_NS6detail17trampoline_kernelINS0_14default_configENS1_35adjacent_difference_config_selectorILb0EsEEZNS1_24adjacent_difference_implIS3_Lb0ELb0EPKsPsN6thrust23THRUST_200600_302600_NS4plusIsEEEE10hipError_tPvRmT2_T3_mT4_P12ihipStream_tbEUlT_E_NS1_11comp_targetILNS1_3genE8ELNS1_11target_archE1030ELNS1_3gpuE2ELNS1_3repE0EEENS1_30default_config_static_selectorELNS0_4arch9wavefront6targetE1EEEvT1_.kd
    .uniform_work_group_size: 1
    .uses_dynamic_stack: false
    .vgpr_count:     0
    .vgpr_spill_count: 0
    .wavefront_size: 64
  - .agpr_count:     0
    .args:
      - .offset:         0
        .size:           56
        .value_kind:     by_value
    .group_segment_fixed_size: 0
    .kernarg_segment_align: 8
    .kernarg_segment_size: 56
    .language:       OpenCL C
    .language_version:
      - 2
      - 0
    .max_flat_workgroup_size: 128
    .name:           _ZN7rocprim17ROCPRIM_400000_NS6detail17trampoline_kernelINS0_14default_configENS1_25transform_config_selectorIsLb0EEEZNS1_14transform_implILb0ES3_S5_NS0_18transform_iteratorINS0_17counting_iteratorImlEEZNS1_24adjacent_difference_implIS3_Lb1ELb0EPKsPsN6thrust23THRUST_200600_302600_NS4plusIsEEEE10hipError_tPvRmT2_T3_mT4_P12ihipStream_tbEUlmE_sEESD_NS0_8identityIvEEEESI_SL_SM_mSN_SP_bEUlT_E_NS1_11comp_targetILNS1_3genE0ELNS1_11target_archE4294967295ELNS1_3gpuE0ELNS1_3repE0EEENS1_30default_config_static_selectorELNS0_4arch9wavefront6targetE1EEEvT1_
    .private_segment_fixed_size: 0
    .sgpr_count:     6
    .sgpr_spill_count: 0
    .symbol:         _ZN7rocprim17ROCPRIM_400000_NS6detail17trampoline_kernelINS0_14default_configENS1_25transform_config_selectorIsLb0EEEZNS1_14transform_implILb0ES3_S5_NS0_18transform_iteratorINS0_17counting_iteratorImlEEZNS1_24adjacent_difference_implIS3_Lb1ELb0EPKsPsN6thrust23THRUST_200600_302600_NS4plusIsEEEE10hipError_tPvRmT2_T3_mT4_P12ihipStream_tbEUlmE_sEESD_NS0_8identityIvEEEESI_SL_SM_mSN_SP_bEUlT_E_NS1_11comp_targetILNS1_3genE0ELNS1_11target_archE4294967295ELNS1_3gpuE0ELNS1_3repE0EEENS1_30default_config_static_selectorELNS0_4arch9wavefront6targetE1EEEvT1_.kd
    .uniform_work_group_size: 1
    .uses_dynamic_stack: false
    .vgpr_count:     0
    .vgpr_spill_count: 0
    .wavefront_size: 64
  - .agpr_count:     0
    .args:
      - .offset:         0
        .size:           56
        .value_kind:     by_value
      - .offset:         56
        .size:           4
        .value_kind:     hidden_block_count_x
      - .offset:         60
        .size:           4
        .value_kind:     hidden_block_count_y
      - .offset:         64
        .size:           4
        .value_kind:     hidden_block_count_z
      - .offset:         68
        .size:           2
        .value_kind:     hidden_group_size_x
      - .offset:         70
        .size:           2
        .value_kind:     hidden_group_size_y
      - .offset:         72
        .size:           2
        .value_kind:     hidden_group_size_z
      - .offset:         74
        .size:           2
        .value_kind:     hidden_remainder_x
      - .offset:         76
        .size:           2
        .value_kind:     hidden_remainder_y
      - .offset:         78
        .size:           2
        .value_kind:     hidden_remainder_z
      - .offset:         96
        .size:           8
        .value_kind:     hidden_global_offset_x
      - .offset:         104
        .size:           8
        .value_kind:     hidden_global_offset_y
      - .offset:         112
        .size:           8
        .value_kind:     hidden_global_offset_z
      - .offset:         120
        .size:           2
        .value_kind:     hidden_grid_dims
    .group_segment_fixed_size: 0
    .kernarg_segment_align: 8
    .kernarg_segment_size: 312
    .language:       OpenCL C
    .language_version:
      - 2
      - 0
    .max_flat_workgroup_size: 256
    .name:           _ZN7rocprim17ROCPRIM_400000_NS6detail17trampoline_kernelINS0_14default_configENS1_25transform_config_selectorIsLb0EEEZNS1_14transform_implILb0ES3_S5_NS0_18transform_iteratorINS0_17counting_iteratorImlEEZNS1_24adjacent_difference_implIS3_Lb1ELb0EPKsPsN6thrust23THRUST_200600_302600_NS4plusIsEEEE10hipError_tPvRmT2_T3_mT4_P12ihipStream_tbEUlmE_sEESD_NS0_8identityIvEEEESI_SL_SM_mSN_SP_bEUlT_E_NS1_11comp_targetILNS1_3genE5ELNS1_11target_archE942ELNS1_3gpuE9ELNS1_3repE0EEENS1_30default_config_static_selectorELNS0_4arch9wavefront6targetE1EEEvT1_
    .private_segment_fixed_size: 0
    .sgpr_count:     34
    .sgpr_spill_count: 0
    .symbol:         _ZN7rocprim17ROCPRIM_400000_NS6detail17trampoline_kernelINS0_14default_configENS1_25transform_config_selectorIsLb0EEEZNS1_14transform_implILb0ES3_S5_NS0_18transform_iteratorINS0_17counting_iteratorImlEEZNS1_24adjacent_difference_implIS3_Lb1ELb0EPKsPsN6thrust23THRUST_200600_302600_NS4plusIsEEEE10hipError_tPvRmT2_T3_mT4_P12ihipStream_tbEUlmE_sEESD_NS0_8identityIvEEEESI_SL_SM_mSN_SP_bEUlT_E_NS1_11comp_targetILNS1_3genE5ELNS1_11target_archE942ELNS1_3gpuE9ELNS1_3repE0EEENS1_30default_config_static_selectorELNS0_4arch9wavefront6targetE1EEEvT1_.kd
    .uniform_work_group_size: 1
    .uses_dynamic_stack: false
    .vgpr_count:     19
    .vgpr_spill_count: 0
    .wavefront_size: 64
  - .agpr_count:     0
    .args:
      - .offset:         0
        .size:           56
        .value_kind:     by_value
    .group_segment_fixed_size: 0
    .kernarg_segment_align: 8
    .kernarg_segment_size: 56
    .language:       OpenCL C
    .language_version:
      - 2
      - 0
    .max_flat_workgroup_size: 64
    .name:           _ZN7rocprim17ROCPRIM_400000_NS6detail17trampoline_kernelINS0_14default_configENS1_25transform_config_selectorIsLb0EEEZNS1_14transform_implILb0ES3_S5_NS0_18transform_iteratorINS0_17counting_iteratorImlEEZNS1_24adjacent_difference_implIS3_Lb1ELb0EPKsPsN6thrust23THRUST_200600_302600_NS4plusIsEEEE10hipError_tPvRmT2_T3_mT4_P12ihipStream_tbEUlmE_sEESD_NS0_8identityIvEEEESI_SL_SM_mSN_SP_bEUlT_E_NS1_11comp_targetILNS1_3genE4ELNS1_11target_archE910ELNS1_3gpuE8ELNS1_3repE0EEENS1_30default_config_static_selectorELNS0_4arch9wavefront6targetE1EEEvT1_
    .private_segment_fixed_size: 0
    .sgpr_count:     6
    .sgpr_spill_count: 0
    .symbol:         _ZN7rocprim17ROCPRIM_400000_NS6detail17trampoline_kernelINS0_14default_configENS1_25transform_config_selectorIsLb0EEEZNS1_14transform_implILb0ES3_S5_NS0_18transform_iteratorINS0_17counting_iteratorImlEEZNS1_24adjacent_difference_implIS3_Lb1ELb0EPKsPsN6thrust23THRUST_200600_302600_NS4plusIsEEEE10hipError_tPvRmT2_T3_mT4_P12ihipStream_tbEUlmE_sEESD_NS0_8identityIvEEEESI_SL_SM_mSN_SP_bEUlT_E_NS1_11comp_targetILNS1_3genE4ELNS1_11target_archE910ELNS1_3gpuE8ELNS1_3repE0EEENS1_30default_config_static_selectorELNS0_4arch9wavefront6targetE1EEEvT1_.kd
    .uniform_work_group_size: 1
    .uses_dynamic_stack: false
    .vgpr_count:     0
    .vgpr_spill_count: 0
    .wavefront_size: 64
  - .agpr_count:     0
    .args:
      - .offset:         0
        .size:           56
        .value_kind:     by_value
    .group_segment_fixed_size: 0
    .kernarg_segment_align: 8
    .kernarg_segment_size: 56
    .language:       OpenCL C
    .language_version:
      - 2
      - 0
    .max_flat_workgroup_size: 128
    .name:           _ZN7rocprim17ROCPRIM_400000_NS6detail17trampoline_kernelINS0_14default_configENS1_25transform_config_selectorIsLb0EEEZNS1_14transform_implILb0ES3_S5_NS0_18transform_iteratorINS0_17counting_iteratorImlEEZNS1_24adjacent_difference_implIS3_Lb1ELb0EPKsPsN6thrust23THRUST_200600_302600_NS4plusIsEEEE10hipError_tPvRmT2_T3_mT4_P12ihipStream_tbEUlmE_sEESD_NS0_8identityIvEEEESI_SL_SM_mSN_SP_bEUlT_E_NS1_11comp_targetILNS1_3genE3ELNS1_11target_archE908ELNS1_3gpuE7ELNS1_3repE0EEENS1_30default_config_static_selectorELNS0_4arch9wavefront6targetE1EEEvT1_
    .private_segment_fixed_size: 0
    .sgpr_count:     6
    .sgpr_spill_count: 0
    .symbol:         _ZN7rocprim17ROCPRIM_400000_NS6detail17trampoline_kernelINS0_14default_configENS1_25transform_config_selectorIsLb0EEEZNS1_14transform_implILb0ES3_S5_NS0_18transform_iteratorINS0_17counting_iteratorImlEEZNS1_24adjacent_difference_implIS3_Lb1ELb0EPKsPsN6thrust23THRUST_200600_302600_NS4plusIsEEEE10hipError_tPvRmT2_T3_mT4_P12ihipStream_tbEUlmE_sEESD_NS0_8identityIvEEEESI_SL_SM_mSN_SP_bEUlT_E_NS1_11comp_targetILNS1_3genE3ELNS1_11target_archE908ELNS1_3gpuE7ELNS1_3repE0EEENS1_30default_config_static_selectorELNS0_4arch9wavefront6targetE1EEEvT1_.kd
    .uniform_work_group_size: 1
    .uses_dynamic_stack: false
    .vgpr_count:     0
    .vgpr_spill_count: 0
    .wavefront_size: 64
  - .agpr_count:     0
    .args:
      - .offset:         0
        .size:           56
        .value_kind:     by_value
    .group_segment_fixed_size: 0
    .kernarg_segment_align: 8
    .kernarg_segment_size: 56
    .language:       OpenCL C
    .language_version:
      - 2
      - 0
    .max_flat_workgroup_size: 512
    .name:           _ZN7rocprim17ROCPRIM_400000_NS6detail17trampoline_kernelINS0_14default_configENS1_25transform_config_selectorIsLb0EEEZNS1_14transform_implILb0ES3_S5_NS0_18transform_iteratorINS0_17counting_iteratorImlEEZNS1_24adjacent_difference_implIS3_Lb1ELb0EPKsPsN6thrust23THRUST_200600_302600_NS4plusIsEEEE10hipError_tPvRmT2_T3_mT4_P12ihipStream_tbEUlmE_sEESD_NS0_8identityIvEEEESI_SL_SM_mSN_SP_bEUlT_E_NS1_11comp_targetILNS1_3genE2ELNS1_11target_archE906ELNS1_3gpuE6ELNS1_3repE0EEENS1_30default_config_static_selectorELNS0_4arch9wavefront6targetE1EEEvT1_
    .private_segment_fixed_size: 0
    .sgpr_count:     6
    .sgpr_spill_count: 0
    .symbol:         _ZN7rocprim17ROCPRIM_400000_NS6detail17trampoline_kernelINS0_14default_configENS1_25transform_config_selectorIsLb0EEEZNS1_14transform_implILb0ES3_S5_NS0_18transform_iteratorINS0_17counting_iteratorImlEEZNS1_24adjacent_difference_implIS3_Lb1ELb0EPKsPsN6thrust23THRUST_200600_302600_NS4plusIsEEEE10hipError_tPvRmT2_T3_mT4_P12ihipStream_tbEUlmE_sEESD_NS0_8identityIvEEEESI_SL_SM_mSN_SP_bEUlT_E_NS1_11comp_targetILNS1_3genE2ELNS1_11target_archE906ELNS1_3gpuE6ELNS1_3repE0EEENS1_30default_config_static_selectorELNS0_4arch9wavefront6targetE1EEEvT1_.kd
    .uniform_work_group_size: 1
    .uses_dynamic_stack: false
    .vgpr_count:     0
    .vgpr_spill_count: 0
    .wavefront_size: 64
  - .agpr_count:     0
    .args:
      - .offset:         0
        .size:           56
        .value_kind:     by_value
    .group_segment_fixed_size: 0
    .kernarg_segment_align: 8
    .kernarg_segment_size: 56
    .language:       OpenCL C
    .language_version:
      - 2
      - 0
    .max_flat_workgroup_size: 1024
    .name:           _ZN7rocprim17ROCPRIM_400000_NS6detail17trampoline_kernelINS0_14default_configENS1_25transform_config_selectorIsLb0EEEZNS1_14transform_implILb0ES3_S5_NS0_18transform_iteratorINS0_17counting_iteratorImlEEZNS1_24adjacent_difference_implIS3_Lb1ELb0EPKsPsN6thrust23THRUST_200600_302600_NS4plusIsEEEE10hipError_tPvRmT2_T3_mT4_P12ihipStream_tbEUlmE_sEESD_NS0_8identityIvEEEESI_SL_SM_mSN_SP_bEUlT_E_NS1_11comp_targetILNS1_3genE10ELNS1_11target_archE1201ELNS1_3gpuE5ELNS1_3repE0EEENS1_30default_config_static_selectorELNS0_4arch9wavefront6targetE1EEEvT1_
    .private_segment_fixed_size: 0
    .sgpr_count:     6
    .sgpr_spill_count: 0
    .symbol:         _ZN7rocprim17ROCPRIM_400000_NS6detail17trampoline_kernelINS0_14default_configENS1_25transform_config_selectorIsLb0EEEZNS1_14transform_implILb0ES3_S5_NS0_18transform_iteratorINS0_17counting_iteratorImlEEZNS1_24adjacent_difference_implIS3_Lb1ELb0EPKsPsN6thrust23THRUST_200600_302600_NS4plusIsEEEE10hipError_tPvRmT2_T3_mT4_P12ihipStream_tbEUlmE_sEESD_NS0_8identityIvEEEESI_SL_SM_mSN_SP_bEUlT_E_NS1_11comp_targetILNS1_3genE10ELNS1_11target_archE1201ELNS1_3gpuE5ELNS1_3repE0EEENS1_30default_config_static_selectorELNS0_4arch9wavefront6targetE1EEEvT1_.kd
    .uniform_work_group_size: 1
    .uses_dynamic_stack: false
    .vgpr_count:     0
    .vgpr_spill_count: 0
    .wavefront_size: 64
  - .agpr_count:     0
    .args:
      - .offset:         0
        .size:           56
        .value_kind:     by_value
    .group_segment_fixed_size: 0
    .kernarg_segment_align: 8
    .kernarg_segment_size: 56
    .language:       OpenCL C
    .language_version:
      - 2
      - 0
    .max_flat_workgroup_size: 512
    .name:           _ZN7rocprim17ROCPRIM_400000_NS6detail17trampoline_kernelINS0_14default_configENS1_25transform_config_selectorIsLb0EEEZNS1_14transform_implILb0ES3_S5_NS0_18transform_iteratorINS0_17counting_iteratorImlEEZNS1_24adjacent_difference_implIS3_Lb1ELb0EPKsPsN6thrust23THRUST_200600_302600_NS4plusIsEEEE10hipError_tPvRmT2_T3_mT4_P12ihipStream_tbEUlmE_sEESD_NS0_8identityIvEEEESI_SL_SM_mSN_SP_bEUlT_E_NS1_11comp_targetILNS1_3genE10ELNS1_11target_archE1200ELNS1_3gpuE4ELNS1_3repE0EEENS1_30default_config_static_selectorELNS0_4arch9wavefront6targetE1EEEvT1_
    .private_segment_fixed_size: 0
    .sgpr_count:     6
    .sgpr_spill_count: 0
    .symbol:         _ZN7rocprim17ROCPRIM_400000_NS6detail17trampoline_kernelINS0_14default_configENS1_25transform_config_selectorIsLb0EEEZNS1_14transform_implILb0ES3_S5_NS0_18transform_iteratorINS0_17counting_iteratorImlEEZNS1_24adjacent_difference_implIS3_Lb1ELb0EPKsPsN6thrust23THRUST_200600_302600_NS4plusIsEEEE10hipError_tPvRmT2_T3_mT4_P12ihipStream_tbEUlmE_sEESD_NS0_8identityIvEEEESI_SL_SM_mSN_SP_bEUlT_E_NS1_11comp_targetILNS1_3genE10ELNS1_11target_archE1200ELNS1_3gpuE4ELNS1_3repE0EEENS1_30default_config_static_selectorELNS0_4arch9wavefront6targetE1EEEvT1_.kd
    .uniform_work_group_size: 1
    .uses_dynamic_stack: false
    .vgpr_count:     0
    .vgpr_spill_count: 0
    .wavefront_size: 64
  - .agpr_count:     0
    .args:
      - .offset:         0
        .size:           56
        .value_kind:     by_value
    .group_segment_fixed_size: 0
    .kernarg_segment_align: 8
    .kernarg_segment_size: 56
    .language:       OpenCL C
    .language_version:
      - 2
      - 0
    .max_flat_workgroup_size: 1024
    .name:           _ZN7rocprim17ROCPRIM_400000_NS6detail17trampoline_kernelINS0_14default_configENS1_25transform_config_selectorIsLb0EEEZNS1_14transform_implILb0ES3_S5_NS0_18transform_iteratorINS0_17counting_iteratorImlEEZNS1_24adjacent_difference_implIS3_Lb1ELb0EPKsPsN6thrust23THRUST_200600_302600_NS4plusIsEEEE10hipError_tPvRmT2_T3_mT4_P12ihipStream_tbEUlmE_sEESD_NS0_8identityIvEEEESI_SL_SM_mSN_SP_bEUlT_E_NS1_11comp_targetILNS1_3genE9ELNS1_11target_archE1100ELNS1_3gpuE3ELNS1_3repE0EEENS1_30default_config_static_selectorELNS0_4arch9wavefront6targetE1EEEvT1_
    .private_segment_fixed_size: 0
    .sgpr_count:     6
    .sgpr_spill_count: 0
    .symbol:         _ZN7rocprim17ROCPRIM_400000_NS6detail17trampoline_kernelINS0_14default_configENS1_25transform_config_selectorIsLb0EEEZNS1_14transform_implILb0ES3_S5_NS0_18transform_iteratorINS0_17counting_iteratorImlEEZNS1_24adjacent_difference_implIS3_Lb1ELb0EPKsPsN6thrust23THRUST_200600_302600_NS4plusIsEEEE10hipError_tPvRmT2_T3_mT4_P12ihipStream_tbEUlmE_sEESD_NS0_8identityIvEEEESI_SL_SM_mSN_SP_bEUlT_E_NS1_11comp_targetILNS1_3genE9ELNS1_11target_archE1100ELNS1_3gpuE3ELNS1_3repE0EEENS1_30default_config_static_selectorELNS0_4arch9wavefront6targetE1EEEvT1_.kd
    .uniform_work_group_size: 1
    .uses_dynamic_stack: false
    .vgpr_count:     0
    .vgpr_spill_count: 0
    .wavefront_size: 64
  - .agpr_count:     0
    .args:
      - .offset:         0
        .size:           56
        .value_kind:     by_value
    .group_segment_fixed_size: 0
    .kernarg_segment_align: 8
    .kernarg_segment_size: 56
    .language:       OpenCL C
    .language_version:
      - 2
      - 0
    .max_flat_workgroup_size: 1024
    .name:           _ZN7rocprim17ROCPRIM_400000_NS6detail17trampoline_kernelINS0_14default_configENS1_25transform_config_selectorIsLb0EEEZNS1_14transform_implILb0ES3_S5_NS0_18transform_iteratorINS0_17counting_iteratorImlEEZNS1_24adjacent_difference_implIS3_Lb1ELb0EPKsPsN6thrust23THRUST_200600_302600_NS4plusIsEEEE10hipError_tPvRmT2_T3_mT4_P12ihipStream_tbEUlmE_sEESD_NS0_8identityIvEEEESI_SL_SM_mSN_SP_bEUlT_E_NS1_11comp_targetILNS1_3genE8ELNS1_11target_archE1030ELNS1_3gpuE2ELNS1_3repE0EEENS1_30default_config_static_selectorELNS0_4arch9wavefront6targetE1EEEvT1_
    .private_segment_fixed_size: 0
    .sgpr_count:     6
    .sgpr_spill_count: 0
    .symbol:         _ZN7rocprim17ROCPRIM_400000_NS6detail17trampoline_kernelINS0_14default_configENS1_25transform_config_selectorIsLb0EEEZNS1_14transform_implILb0ES3_S5_NS0_18transform_iteratorINS0_17counting_iteratorImlEEZNS1_24adjacent_difference_implIS3_Lb1ELb0EPKsPsN6thrust23THRUST_200600_302600_NS4plusIsEEEE10hipError_tPvRmT2_T3_mT4_P12ihipStream_tbEUlmE_sEESD_NS0_8identityIvEEEESI_SL_SM_mSN_SP_bEUlT_E_NS1_11comp_targetILNS1_3genE8ELNS1_11target_archE1030ELNS1_3gpuE2ELNS1_3repE0EEENS1_30default_config_static_selectorELNS0_4arch9wavefront6targetE1EEEvT1_.kd
    .uniform_work_group_size: 1
    .uses_dynamic_stack: false
    .vgpr_count:     0
    .vgpr_spill_count: 0
    .wavefront_size: 64
  - .agpr_count:     0
    .args:
      - .offset:         0
        .size:           56
        .value_kind:     by_value
    .group_segment_fixed_size: 0
    .kernarg_segment_align: 8
    .kernarg_segment_size: 56
    .language:       OpenCL C
    .language_version:
      - 2
      - 0
    .max_flat_workgroup_size: 32
    .name:           _ZN7rocprim17ROCPRIM_400000_NS6detail17trampoline_kernelINS0_14default_configENS1_35adjacent_difference_config_selectorILb1EsEEZNS1_24adjacent_difference_implIS3_Lb1ELb0EPKsPsN6thrust23THRUST_200600_302600_NS4plusIsEEEE10hipError_tPvRmT2_T3_mT4_P12ihipStream_tbEUlT_E_NS1_11comp_targetILNS1_3genE0ELNS1_11target_archE4294967295ELNS1_3gpuE0ELNS1_3repE0EEENS1_30default_config_static_selectorELNS0_4arch9wavefront6targetE1EEEvT1_
    .private_segment_fixed_size: 0
    .sgpr_count:     6
    .sgpr_spill_count: 0
    .symbol:         _ZN7rocprim17ROCPRIM_400000_NS6detail17trampoline_kernelINS0_14default_configENS1_35adjacent_difference_config_selectorILb1EsEEZNS1_24adjacent_difference_implIS3_Lb1ELb0EPKsPsN6thrust23THRUST_200600_302600_NS4plusIsEEEE10hipError_tPvRmT2_T3_mT4_P12ihipStream_tbEUlT_E_NS1_11comp_targetILNS1_3genE0ELNS1_11target_archE4294967295ELNS1_3gpuE0ELNS1_3repE0EEENS1_30default_config_static_selectorELNS0_4arch9wavefront6targetE1EEEvT1_.kd
    .uniform_work_group_size: 1
    .uses_dynamic_stack: false
    .vgpr_count:     0
    .vgpr_spill_count: 0
    .wavefront_size: 64
  - .agpr_count:     0
    .args:
      - .offset:         0
        .size:           56
        .value_kind:     by_value
    .group_segment_fixed_size: 0
    .kernarg_segment_align: 8
    .kernarg_segment_size: 56
    .language:       OpenCL C
    .language_version:
      - 2
      - 0
    .max_flat_workgroup_size: 512
    .name:           _ZN7rocprim17ROCPRIM_400000_NS6detail17trampoline_kernelINS0_14default_configENS1_35adjacent_difference_config_selectorILb1EsEEZNS1_24adjacent_difference_implIS3_Lb1ELb0EPKsPsN6thrust23THRUST_200600_302600_NS4plusIsEEEE10hipError_tPvRmT2_T3_mT4_P12ihipStream_tbEUlT_E_NS1_11comp_targetILNS1_3genE10ELNS1_11target_archE1201ELNS1_3gpuE5ELNS1_3repE0EEENS1_30default_config_static_selectorELNS0_4arch9wavefront6targetE1EEEvT1_
    .private_segment_fixed_size: 0
    .sgpr_count:     6
    .sgpr_spill_count: 0
    .symbol:         _ZN7rocprim17ROCPRIM_400000_NS6detail17trampoline_kernelINS0_14default_configENS1_35adjacent_difference_config_selectorILb1EsEEZNS1_24adjacent_difference_implIS3_Lb1ELb0EPKsPsN6thrust23THRUST_200600_302600_NS4plusIsEEEE10hipError_tPvRmT2_T3_mT4_P12ihipStream_tbEUlT_E_NS1_11comp_targetILNS1_3genE10ELNS1_11target_archE1201ELNS1_3gpuE5ELNS1_3repE0EEENS1_30default_config_static_selectorELNS0_4arch9wavefront6targetE1EEEvT1_.kd
    .uniform_work_group_size: 1
    .uses_dynamic_stack: false
    .vgpr_count:     0
    .vgpr_spill_count: 0
    .wavefront_size: 64
  - .agpr_count:     0
    .args:
      - .offset:         0
        .size:           56
        .value_kind:     by_value
    .group_segment_fixed_size: 3968
    .kernarg_segment_align: 8
    .kernarg_segment_size: 56
    .language:       OpenCL C
    .language_version:
      - 2
      - 0
    .max_flat_workgroup_size: 64
    .name:           _ZN7rocprim17ROCPRIM_400000_NS6detail17trampoline_kernelINS0_14default_configENS1_35adjacent_difference_config_selectorILb1EsEEZNS1_24adjacent_difference_implIS3_Lb1ELb0EPKsPsN6thrust23THRUST_200600_302600_NS4plusIsEEEE10hipError_tPvRmT2_T3_mT4_P12ihipStream_tbEUlT_E_NS1_11comp_targetILNS1_3genE5ELNS1_11target_archE942ELNS1_3gpuE9ELNS1_3repE0EEENS1_30default_config_static_selectorELNS0_4arch9wavefront6targetE1EEEvT1_
    .private_segment_fixed_size: 0
    .sgpr_count:     35
    .sgpr_spill_count: 0
    .symbol:         _ZN7rocprim17ROCPRIM_400000_NS6detail17trampoline_kernelINS0_14default_configENS1_35adjacent_difference_config_selectorILb1EsEEZNS1_24adjacent_difference_implIS3_Lb1ELb0EPKsPsN6thrust23THRUST_200600_302600_NS4plusIsEEEE10hipError_tPvRmT2_T3_mT4_P12ihipStream_tbEUlT_E_NS1_11comp_targetILNS1_3genE5ELNS1_11target_archE942ELNS1_3gpuE9ELNS1_3repE0EEENS1_30default_config_static_selectorELNS0_4arch9wavefront6targetE1EEEvT1_.kd
    .uniform_work_group_size: 1
    .uses_dynamic_stack: false
    .vgpr_count:     53
    .vgpr_spill_count: 0
    .wavefront_size: 64
  - .agpr_count:     0
    .args:
      - .offset:         0
        .size:           56
        .value_kind:     by_value
    .group_segment_fixed_size: 0
    .kernarg_segment_align: 8
    .kernarg_segment_size: 56
    .language:       OpenCL C
    .language_version:
      - 2
      - 0
    .max_flat_workgroup_size: 64
    .name:           _ZN7rocprim17ROCPRIM_400000_NS6detail17trampoline_kernelINS0_14default_configENS1_35adjacent_difference_config_selectorILb1EsEEZNS1_24adjacent_difference_implIS3_Lb1ELb0EPKsPsN6thrust23THRUST_200600_302600_NS4plusIsEEEE10hipError_tPvRmT2_T3_mT4_P12ihipStream_tbEUlT_E_NS1_11comp_targetILNS1_3genE4ELNS1_11target_archE910ELNS1_3gpuE8ELNS1_3repE0EEENS1_30default_config_static_selectorELNS0_4arch9wavefront6targetE1EEEvT1_
    .private_segment_fixed_size: 0
    .sgpr_count:     6
    .sgpr_spill_count: 0
    .symbol:         _ZN7rocprim17ROCPRIM_400000_NS6detail17trampoline_kernelINS0_14default_configENS1_35adjacent_difference_config_selectorILb1EsEEZNS1_24adjacent_difference_implIS3_Lb1ELb0EPKsPsN6thrust23THRUST_200600_302600_NS4plusIsEEEE10hipError_tPvRmT2_T3_mT4_P12ihipStream_tbEUlT_E_NS1_11comp_targetILNS1_3genE4ELNS1_11target_archE910ELNS1_3gpuE8ELNS1_3repE0EEENS1_30default_config_static_selectorELNS0_4arch9wavefront6targetE1EEEvT1_.kd
    .uniform_work_group_size: 1
    .uses_dynamic_stack: false
    .vgpr_count:     0
    .vgpr_spill_count: 0
    .wavefront_size: 64
  - .agpr_count:     0
    .args:
      - .offset:         0
        .size:           56
        .value_kind:     by_value
    .group_segment_fixed_size: 0
    .kernarg_segment_align: 8
    .kernarg_segment_size: 56
    .language:       OpenCL C
    .language_version:
      - 2
      - 0
    .max_flat_workgroup_size: 32
    .name:           _ZN7rocprim17ROCPRIM_400000_NS6detail17trampoline_kernelINS0_14default_configENS1_35adjacent_difference_config_selectorILb1EsEEZNS1_24adjacent_difference_implIS3_Lb1ELb0EPKsPsN6thrust23THRUST_200600_302600_NS4plusIsEEEE10hipError_tPvRmT2_T3_mT4_P12ihipStream_tbEUlT_E_NS1_11comp_targetILNS1_3genE3ELNS1_11target_archE908ELNS1_3gpuE7ELNS1_3repE0EEENS1_30default_config_static_selectorELNS0_4arch9wavefront6targetE1EEEvT1_
    .private_segment_fixed_size: 0
    .sgpr_count:     6
    .sgpr_spill_count: 0
    .symbol:         _ZN7rocprim17ROCPRIM_400000_NS6detail17trampoline_kernelINS0_14default_configENS1_35adjacent_difference_config_selectorILb1EsEEZNS1_24adjacent_difference_implIS3_Lb1ELb0EPKsPsN6thrust23THRUST_200600_302600_NS4plusIsEEEE10hipError_tPvRmT2_T3_mT4_P12ihipStream_tbEUlT_E_NS1_11comp_targetILNS1_3genE3ELNS1_11target_archE908ELNS1_3gpuE7ELNS1_3repE0EEENS1_30default_config_static_selectorELNS0_4arch9wavefront6targetE1EEEvT1_.kd
    .uniform_work_group_size: 1
    .uses_dynamic_stack: false
    .vgpr_count:     0
    .vgpr_spill_count: 0
    .wavefront_size: 64
  - .agpr_count:     0
    .args:
      - .offset:         0
        .size:           56
        .value_kind:     by_value
    .group_segment_fixed_size: 0
    .kernarg_segment_align: 8
    .kernarg_segment_size: 56
    .language:       OpenCL C
    .language_version:
      - 2
      - 0
    .max_flat_workgroup_size: 64
    .name:           _ZN7rocprim17ROCPRIM_400000_NS6detail17trampoline_kernelINS0_14default_configENS1_35adjacent_difference_config_selectorILb1EsEEZNS1_24adjacent_difference_implIS3_Lb1ELb0EPKsPsN6thrust23THRUST_200600_302600_NS4plusIsEEEE10hipError_tPvRmT2_T3_mT4_P12ihipStream_tbEUlT_E_NS1_11comp_targetILNS1_3genE2ELNS1_11target_archE906ELNS1_3gpuE6ELNS1_3repE0EEENS1_30default_config_static_selectorELNS0_4arch9wavefront6targetE1EEEvT1_
    .private_segment_fixed_size: 0
    .sgpr_count:     6
    .sgpr_spill_count: 0
    .symbol:         _ZN7rocprim17ROCPRIM_400000_NS6detail17trampoline_kernelINS0_14default_configENS1_35adjacent_difference_config_selectorILb1EsEEZNS1_24adjacent_difference_implIS3_Lb1ELb0EPKsPsN6thrust23THRUST_200600_302600_NS4plusIsEEEE10hipError_tPvRmT2_T3_mT4_P12ihipStream_tbEUlT_E_NS1_11comp_targetILNS1_3genE2ELNS1_11target_archE906ELNS1_3gpuE6ELNS1_3repE0EEENS1_30default_config_static_selectorELNS0_4arch9wavefront6targetE1EEEvT1_.kd
    .uniform_work_group_size: 1
    .uses_dynamic_stack: false
    .vgpr_count:     0
    .vgpr_spill_count: 0
    .wavefront_size: 64
  - .agpr_count:     0
    .args:
      - .offset:         0
        .size:           56
        .value_kind:     by_value
    .group_segment_fixed_size: 0
    .kernarg_segment_align: 8
    .kernarg_segment_size: 56
    .language:       OpenCL C
    .language_version:
      - 2
      - 0
    .max_flat_workgroup_size: 128
    .name:           _ZN7rocprim17ROCPRIM_400000_NS6detail17trampoline_kernelINS0_14default_configENS1_35adjacent_difference_config_selectorILb1EsEEZNS1_24adjacent_difference_implIS3_Lb1ELb0EPKsPsN6thrust23THRUST_200600_302600_NS4plusIsEEEE10hipError_tPvRmT2_T3_mT4_P12ihipStream_tbEUlT_E_NS1_11comp_targetILNS1_3genE9ELNS1_11target_archE1100ELNS1_3gpuE3ELNS1_3repE0EEENS1_30default_config_static_selectorELNS0_4arch9wavefront6targetE1EEEvT1_
    .private_segment_fixed_size: 0
    .sgpr_count:     6
    .sgpr_spill_count: 0
    .symbol:         _ZN7rocprim17ROCPRIM_400000_NS6detail17trampoline_kernelINS0_14default_configENS1_35adjacent_difference_config_selectorILb1EsEEZNS1_24adjacent_difference_implIS3_Lb1ELb0EPKsPsN6thrust23THRUST_200600_302600_NS4plusIsEEEE10hipError_tPvRmT2_T3_mT4_P12ihipStream_tbEUlT_E_NS1_11comp_targetILNS1_3genE9ELNS1_11target_archE1100ELNS1_3gpuE3ELNS1_3repE0EEENS1_30default_config_static_selectorELNS0_4arch9wavefront6targetE1EEEvT1_.kd
    .uniform_work_group_size: 1
    .uses_dynamic_stack: false
    .vgpr_count:     0
    .vgpr_spill_count: 0
    .wavefront_size: 64
  - .agpr_count:     0
    .args:
      - .offset:         0
        .size:           56
        .value_kind:     by_value
    .group_segment_fixed_size: 0
    .kernarg_segment_align: 8
    .kernarg_segment_size: 56
    .language:       OpenCL C
    .language_version:
      - 2
      - 0
    .max_flat_workgroup_size: 512
    .name:           _ZN7rocprim17ROCPRIM_400000_NS6detail17trampoline_kernelINS0_14default_configENS1_35adjacent_difference_config_selectorILb1EsEEZNS1_24adjacent_difference_implIS3_Lb1ELb0EPKsPsN6thrust23THRUST_200600_302600_NS4plusIsEEEE10hipError_tPvRmT2_T3_mT4_P12ihipStream_tbEUlT_E_NS1_11comp_targetILNS1_3genE8ELNS1_11target_archE1030ELNS1_3gpuE2ELNS1_3repE0EEENS1_30default_config_static_selectorELNS0_4arch9wavefront6targetE1EEEvT1_
    .private_segment_fixed_size: 0
    .sgpr_count:     6
    .sgpr_spill_count: 0
    .symbol:         _ZN7rocprim17ROCPRIM_400000_NS6detail17trampoline_kernelINS0_14default_configENS1_35adjacent_difference_config_selectorILb1EsEEZNS1_24adjacent_difference_implIS3_Lb1ELb0EPKsPsN6thrust23THRUST_200600_302600_NS4plusIsEEEE10hipError_tPvRmT2_T3_mT4_P12ihipStream_tbEUlT_E_NS1_11comp_targetILNS1_3genE8ELNS1_11target_archE1030ELNS1_3gpuE2ELNS1_3repE0EEENS1_30default_config_static_selectorELNS0_4arch9wavefront6targetE1EEEvT1_.kd
    .uniform_work_group_size: 1
    .uses_dynamic_stack: false
    .vgpr_count:     0
    .vgpr_spill_count: 0
    .wavefront_size: 64
  - .agpr_count:     0
    .args:
      - .offset:         0
        .size:           56
        .value_kind:     by_value
    .group_segment_fixed_size: 0
    .kernarg_segment_align: 8
    .kernarg_segment_size: 56
    .language:       OpenCL C
    .language_version:
      - 2
      - 0
    .max_flat_workgroup_size: 64
    .name:           _ZN7rocprim17ROCPRIM_400000_NS6detail17trampoline_kernelINS0_14default_configENS1_35adjacent_difference_config_selectorILb0EtEEZNS1_24adjacent_difference_implIS3_Lb0ELb0EPKtPtN6thrust23THRUST_200600_302600_NS4plusItEEEE10hipError_tPvRmT2_T3_mT4_P12ihipStream_tbEUlT_E_NS1_11comp_targetILNS1_3genE0ELNS1_11target_archE4294967295ELNS1_3gpuE0ELNS1_3repE0EEENS1_30default_config_static_selectorELNS0_4arch9wavefront6targetE1EEEvT1_
    .private_segment_fixed_size: 0
    .sgpr_count:     6
    .sgpr_spill_count: 0
    .symbol:         _ZN7rocprim17ROCPRIM_400000_NS6detail17trampoline_kernelINS0_14default_configENS1_35adjacent_difference_config_selectorILb0EtEEZNS1_24adjacent_difference_implIS3_Lb0ELb0EPKtPtN6thrust23THRUST_200600_302600_NS4plusItEEEE10hipError_tPvRmT2_T3_mT4_P12ihipStream_tbEUlT_E_NS1_11comp_targetILNS1_3genE0ELNS1_11target_archE4294967295ELNS1_3gpuE0ELNS1_3repE0EEENS1_30default_config_static_selectorELNS0_4arch9wavefront6targetE1EEEvT1_.kd
    .uniform_work_group_size: 1
    .uses_dynamic_stack: false
    .vgpr_count:     0
    .vgpr_spill_count: 0
    .wavefront_size: 64
  - .agpr_count:     0
    .args:
      - .offset:         0
        .size:           56
        .value_kind:     by_value
    .group_segment_fixed_size: 0
    .kernarg_segment_align: 8
    .kernarg_segment_size: 56
    .language:       OpenCL C
    .language_version:
      - 2
      - 0
    .max_flat_workgroup_size: 128
    .name:           _ZN7rocprim17ROCPRIM_400000_NS6detail17trampoline_kernelINS0_14default_configENS1_35adjacent_difference_config_selectorILb0EtEEZNS1_24adjacent_difference_implIS3_Lb0ELb0EPKtPtN6thrust23THRUST_200600_302600_NS4plusItEEEE10hipError_tPvRmT2_T3_mT4_P12ihipStream_tbEUlT_E_NS1_11comp_targetILNS1_3genE10ELNS1_11target_archE1201ELNS1_3gpuE5ELNS1_3repE0EEENS1_30default_config_static_selectorELNS0_4arch9wavefront6targetE1EEEvT1_
    .private_segment_fixed_size: 0
    .sgpr_count:     6
    .sgpr_spill_count: 0
    .symbol:         _ZN7rocprim17ROCPRIM_400000_NS6detail17trampoline_kernelINS0_14default_configENS1_35adjacent_difference_config_selectorILb0EtEEZNS1_24adjacent_difference_implIS3_Lb0ELb0EPKtPtN6thrust23THRUST_200600_302600_NS4plusItEEEE10hipError_tPvRmT2_T3_mT4_P12ihipStream_tbEUlT_E_NS1_11comp_targetILNS1_3genE10ELNS1_11target_archE1201ELNS1_3gpuE5ELNS1_3repE0EEENS1_30default_config_static_selectorELNS0_4arch9wavefront6targetE1EEEvT1_.kd
    .uniform_work_group_size: 1
    .uses_dynamic_stack: false
    .vgpr_count:     0
    .vgpr_spill_count: 0
    .wavefront_size: 64
  - .agpr_count:     0
    .args:
      - .offset:         0
        .size:           56
        .value_kind:     by_value
    .group_segment_fixed_size: 8704
    .kernarg_segment_align: 8
    .kernarg_segment_size: 56
    .language:       OpenCL C
    .language_version:
      - 2
      - 0
    .max_flat_workgroup_size: 256
    .name:           _ZN7rocprim17ROCPRIM_400000_NS6detail17trampoline_kernelINS0_14default_configENS1_35adjacent_difference_config_selectorILb0EtEEZNS1_24adjacent_difference_implIS3_Lb0ELb0EPKtPtN6thrust23THRUST_200600_302600_NS4plusItEEEE10hipError_tPvRmT2_T3_mT4_P12ihipStream_tbEUlT_E_NS1_11comp_targetILNS1_3genE5ELNS1_11target_archE942ELNS1_3gpuE9ELNS1_3repE0EEENS1_30default_config_static_selectorELNS0_4arch9wavefront6targetE1EEEvT1_
    .private_segment_fixed_size: 0
    .sgpr_count:     29
    .sgpr_spill_count: 0
    .symbol:         _ZN7rocprim17ROCPRIM_400000_NS6detail17trampoline_kernelINS0_14default_configENS1_35adjacent_difference_config_selectorILb0EtEEZNS1_24adjacent_difference_implIS3_Lb0ELb0EPKtPtN6thrust23THRUST_200600_302600_NS4plusItEEEE10hipError_tPvRmT2_T3_mT4_P12ihipStream_tbEUlT_E_NS1_11comp_targetILNS1_3genE5ELNS1_11target_archE942ELNS1_3gpuE9ELNS1_3repE0EEENS1_30default_config_static_selectorELNS0_4arch9wavefront6targetE1EEEvT1_.kd
    .uniform_work_group_size: 1
    .uses_dynamic_stack: false
    .vgpr_count:     32
    .vgpr_spill_count: 0
    .wavefront_size: 64
  - .agpr_count:     0
    .args:
      - .offset:         0
        .size:           56
        .value_kind:     by_value
    .group_segment_fixed_size: 0
    .kernarg_segment_align: 8
    .kernarg_segment_size: 56
    .language:       OpenCL C
    .language_version:
      - 2
      - 0
    .max_flat_workgroup_size: 64
    .name:           _ZN7rocprim17ROCPRIM_400000_NS6detail17trampoline_kernelINS0_14default_configENS1_35adjacent_difference_config_selectorILb0EtEEZNS1_24adjacent_difference_implIS3_Lb0ELb0EPKtPtN6thrust23THRUST_200600_302600_NS4plusItEEEE10hipError_tPvRmT2_T3_mT4_P12ihipStream_tbEUlT_E_NS1_11comp_targetILNS1_3genE4ELNS1_11target_archE910ELNS1_3gpuE8ELNS1_3repE0EEENS1_30default_config_static_selectorELNS0_4arch9wavefront6targetE1EEEvT1_
    .private_segment_fixed_size: 0
    .sgpr_count:     6
    .sgpr_spill_count: 0
    .symbol:         _ZN7rocprim17ROCPRIM_400000_NS6detail17trampoline_kernelINS0_14default_configENS1_35adjacent_difference_config_selectorILb0EtEEZNS1_24adjacent_difference_implIS3_Lb0ELb0EPKtPtN6thrust23THRUST_200600_302600_NS4plusItEEEE10hipError_tPvRmT2_T3_mT4_P12ihipStream_tbEUlT_E_NS1_11comp_targetILNS1_3genE4ELNS1_11target_archE910ELNS1_3gpuE8ELNS1_3repE0EEENS1_30default_config_static_selectorELNS0_4arch9wavefront6targetE1EEEvT1_.kd
    .uniform_work_group_size: 1
    .uses_dynamic_stack: false
    .vgpr_count:     0
    .vgpr_spill_count: 0
    .wavefront_size: 64
  - .agpr_count:     0
    .args:
      - .offset:         0
        .size:           56
        .value_kind:     by_value
    .group_segment_fixed_size: 0
    .kernarg_segment_align: 8
    .kernarg_segment_size: 56
    .language:       OpenCL C
    .language_version:
      - 2
      - 0
    .max_flat_workgroup_size: 64
    .name:           _ZN7rocprim17ROCPRIM_400000_NS6detail17trampoline_kernelINS0_14default_configENS1_35adjacent_difference_config_selectorILb0EtEEZNS1_24adjacent_difference_implIS3_Lb0ELb0EPKtPtN6thrust23THRUST_200600_302600_NS4plusItEEEE10hipError_tPvRmT2_T3_mT4_P12ihipStream_tbEUlT_E_NS1_11comp_targetILNS1_3genE3ELNS1_11target_archE908ELNS1_3gpuE7ELNS1_3repE0EEENS1_30default_config_static_selectorELNS0_4arch9wavefront6targetE1EEEvT1_
    .private_segment_fixed_size: 0
    .sgpr_count:     6
    .sgpr_spill_count: 0
    .symbol:         _ZN7rocprim17ROCPRIM_400000_NS6detail17trampoline_kernelINS0_14default_configENS1_35adjacent_difference_config_selectorILb0EtEEZNS1_24adjacent_difference_implIS3_Lb0ELb0EPKtPtN6thrust23THRUST_200600_302600_NS4plusItEEEE10hipError_tPvRmT2_T3_mT4_P12ihipStream_tbEUlT_E_NS1_11comp_targetILNS1_3genE3ELNS1_11target_archE908ELNS1_3gpuE7ELNS1_3repE0EEENS1_30default_config_static_selectorELNS0_4arch9wavefront6targetE1EEEvT1_.kd
    .uniform_work_group_size: 1
    .uses_dynamic_stack: false
    .vgpr_count:     0
    .vgpr_spill_count: 0
    .wavefront_size: 64
  - .agpr_count:     0
    .args:
      - .offset:         0
        .size:           56
        .value_kind:     by_value
    .group_segment_fixed_size: 0
    .kernarg_segment_align: 8
    .kernarg_segment_size: 56
    .language:       OpenCL C
    .language_version:
      - 2
      - 0
    .max_flat_workgroup_size: 64
    .name:           _ZN7rocprim17ROCPRIM_400000_NS6detail17trampoline_kernelINS0_14default_configENS1_35adjacent_difference_config_selectorILb0EtEEZNS1_24adjacent_difference_implIS3_Lb0ELb0EPKtPtN6thrust23THRUST_200600_302600_NS4plusItEEEE10hipError_tPvRmT2_T3_mT4_P12ihipStream_tbEUlT_E_NS1_11comp_targetILNS1_3genE2ELNS1_11target_archE906ELNS1_3gpuE6ELNS1_3repE0EEENS1_30default_config_static_selectorELNS0_4arch9wavefront6targetE1EEEvT1_
    .private_segment_fixed_size: 0
    .sgpr_count:     6
    .sgpr_spill_count: 0
    .symbol:         _ZN7rocprim17ROCPRIM_400000_NS6detail17trampoline_kernelINS0_14default_configENS1_35adjacent_difference_config_selectorILb0EtEEZNS1_24adjacent_difference_implIS3_Lb0ELb0EPKtPtN6thrust23THRUST_200600_302600_NS4plusItEEEE10hipError_tPvRmT2_T3_mT4_P12ihipStream_tbEUlT_E_NS1_11comp_targetILNS1_3genE2ELNS1_11target_archE906ELNS1_3gpuE6ELNS1_3repE0EEENS1_30default_config_static_selectorELNS0_4arch9wavefront6targetE1EEEvT1_.kd
    .uniform_work_group_size: 1
    .uses_dynamic_stack: false
    .vgpr_count:     0
    .vgpr_spill_count: 0
    .wavefront_size: 64
  - .agpr_count:     0
    .args:
      - .offset:         0
        .size:           56
        .value_kind:     by_value
    .group_segment_fixed_size: 0
    .kernarg_segment_align: 8
    .kernarg_segment_size: 56
    .language:       OpenCL C
    .language_version:
      - 2
      - 0
    .max_flat_workgroup_size: 64
    .name:           _ZN7rocprim17ROCPRIM_400000_NS6detail17trampoline_kernelINS0_14default_configENS1_35adjacent_difference_config_selectorILb0EtEEZNS1_24adjacent_difference_implIS3_Lb0ELb0EPKtPtN6thrust23THRUST_200600_302600_NS4plusItEEEE10hipError_tPvRmT2_T3_mT4_P12ihipStream_tbEUlT_E_NS1_11comp_targetILNS1_3genE9ELNS1_11target_archE1100ELNS1_3gpuE3ELNS1_3repE0EEENS1_30default_config_static_selectorELNS0_4arch9wavefront6targetE1EEEvT1_
    .private_segment_fixed_size: 0
    .sgpr_count:     6
    .sgpr_spill_count: 0
    .symbol:         _ZN7rocprim17ROCPRIM_400000_NS6detail17trampoline_kernelINS0_14default_configENS1_35adjacent_difference_config_selectorILb0EtEEZNS1_24adjacent_difference_implIS3_Lb0ELb0EPKtPtN6thrust23THRUST_200600_302600_NS4plusItEEEE10hipError_tPvRmT2_T3_mT4_P12ihipStream_tbEUlT_E_NS1_11comp_targetILNS1_3genE9ELNS1_11target_archE1100ELNS1_3gpuE3ELNS1_3repE0EEENS1_30default_config_static_selectorELNS0_4arch9wavefront6targetE1EEEvT1_.kd
    .uniform_work_group_size: 1
    .uses_dynamic_stack: false
    .vgpr_count:     0
    .vgpr_spill_count: 0
    .wavefront_size: 64
  - .agpr_count:     0
    .args:
      - .offset:         0
        .size:           56
        .value_kind:     by_value
    .group_segment_fixed_size: 0
    .kernarg_segment_align: 8
    .kernarg_segment_size: 56
    .language:       OpenCL C
    .language_version:
      - 2
      - 0
    .max_flat_workgroup_size: 1024
    .name:           _ZN7rocprim17ROCPRIM_400000_NS6detail17trampoline_kernelINS0_14default_configENS1_35adjacent_difference_config_selectorILb0EtEEZNS1_24adjacent_difference_implIS3_Lb0ELb0EPKtPtN6thrust23THRUST_200600_302600_NS4plusItEEEE10hipError_tPvRmT2_T3_mT4_P12ihipStream_tbEUlT_E_NS1_11comp_targetILNS1_3genE8ELNS1_11target_archE1030ELNS1_3gpuE2ELNS1_3repE0EEENS1_30default_config_static_selectorELNS0_4arch9wavefront6targetE1EEEvT1_
    .private_segment_fixed_size: 0
    .sgpr_count:     6
    .sgpr_spill_count: 0
    .symbol:         _ZN7rocprim17ROCPRIM_400000_NS6detail17trampoline_kernelINS0_14default_configENS1_35adjacent_difference_config_selectorILb0EtEEZNS1_24adjacent_difference_implIS3_Lb0ELb0EPKtPtN6thrust23THRUST_200600_302600_NS4plusItEEEE10hipError_tPvRmT2_T3_mT4_P12ihipStream_tbEUlT_E_NS1_11comp_targetILNS1_3genE8ELNS1_11target_archE1030ELNS1_3gpuE2ELNS1_3repE0EEENS1_30default_config_static_selectorELNS0_4arch9wavefront6targetE1EEEvT1_.kd
    .uniform_work_group_size: 1
    .uses_dynamic_stack: false
    .vgpr_count:     0
    .vgpr_spill_count: 0
    .wavefront_size: 64
  - .agpr_count:     0
    .args:
      - .offset:         0
        .size:           56
        .value_kind:     by_value
    .group_segment_fixed_size: 0
    .kernarg_segment_align: 8
    .kernarg_segment_size: 56
    .language:       OpenCL C
    .language_version:
      - 2
      - 0
    .max_flat_workgroup_size: 128
    .name:           _ZN7rocprim17ROCPRIM_400000_NS6detail17trampoline_kernelINS0_14default_configENS1_25transform_config_selectorItLb0EEEZNS1_14transform_implILb0ES3_S5_NS0_18transform_iteratorINS0_17counting_iteratorImlEEZNS1_24adjacent_difference_implIS3_Lb1ELb0EPKtPtN6thrust23THRUST_200600_302600_NS4plusItEEEE10hipError_tPvRmT2_T3_mT4_P12ihipStream_tbEUlmE_tEESD_NS0_8identityIvEEEESI_SL_SM_mSN_SP_bEUlT_E_NS1_11comp_targetILNS1_3genE0ELNS1_11target_archE4294967295ELNS1_3gpuE0ELNS1_3repE0EEENS1_30default_config_static_selectorELNS0_4arch9wavefront6targetE1EEEvT1_
    .private_segment_fixed_size: 0
    .sgpr_count:     6
    .sgpr_spill_count: 0
    .symbol:         _ZN7rocprim17ROCPRIM_400000_NS6detail17trampoline_kernelINS0_14default_configENS1_25transform_config_selectorItLb0EEEZNS1_14transform_implILb0ES3_S5_NS0_18transform_iteratorINS0_17counting_iteratorImlEEZNS1_24adjacent_difference_implIS3_Lb1ELb0EPKtPtN6thrust23THRUST_200600_302600_NS4plusItEEEE10hipError_tPvRmT2_T3_mT4_P12ihipStream_tbEUlmE_tEESD_NS0_8identityIvEEEESI_SL_SM_mSN_SP_bEUlT_E_NS1_11comp_targetILNS1_3genE0ELNS1_11target_archE4294967295ELNS1_3gpuE0ELNS1_3repE0EEENS1_30default_config_static_selectorELNS0_4arch9wavefront6targetE1EEEvT1_.kd
    .uniform_work_group_size: 1
    .uses_dynamic_stack: false
    .vgpr_count:     0
    .vgpr_spill_count: 0
    .wavefront_size: 64
  - .agpr_count:     0
    .args:
      - .offset:         0
        .size:           56
        .value_kind:     by_value
      - .offset:         56
        .size:           4
        .value_kind:     hidden_block_count_x
      - .offset:         60
        .size:           4
        .value_kind:     hidden_block_count_y
      - .offset:         64
        .size:           4
        .value_kind:     hidden_block_count_z
      - .offset:         68
        .size:           2
        .value_kind:     hidden_group_size_x
      - .offset:         70
        .size:           2
        .value_kind:     hidden_group_size_y
      - .offset:         72
        .size:           2
        .value_kind:     hidden_group_size_z
      - .offset:         74
        .size:           2
        .value_kind:     hidden_remainder_x
      - .offset:         76
        .size:           2
        .value_kind:     hidden_remainder_y
      - .offset:         78
        .size:           2
        .value_kind:     hidden_remainder_z
      - .offset:         96
        .size:           8
        .value_kind:     hidden_global_offset_x
      - .offset:         104
        .size:           8
        .value_kind:     hidden_global_offset_y
      - .offset:         112
        .size:           8
        .value_kind:     hidden_global_offset_z
      - .offset:         120
        .size:           2
        .value_kind:     hidden_grid_dims
    .group_segment_fixed_size: 0
    .kernarg_segment_align: 8
    .kernarg_segment_size: 312
    .language:       OpenCL C
    .language_version:
      - 2
      - 0
    .max_flat_workgroup_size: 256
    .name:           _ZN7rocprim17ROCPRIM_400000_NS6detail17trampoline_kernelINS0_14default_configENS1_25transform_config_selectorItLb0EEEZNS1_14transform_implILb0ES3_S5_NS0_18transform_iteratorINS0_17counting_iteratorImlEEZNS1_24adjacent_difference_implIS3_Lb1ELb0EPKtPtN6thrust23THRUST_200600_302600_NS4plusItEEEE10hipError_tPvRmT2_T3_mT4_P12ihipStream_tbEUlmE_tEESD_NS0_8identityIvEEEESI_SL_SM_mSN_SP_bEUlT_E_NS1_11comp_targetILNS1_3genE5ELNS1_11target_archE942ELNS1_3gpuE9ELNS1_3repE0EEENS1_30default_config_static_selectorELNS0_4arch9wavefront6targetE1EEEvT1_
    .private_segment_fixed_size: 0
    .sgpr_count:     34
    .sgpr_spill_count: 0
    .symbol:         _ZN7rocprim17ROCPRIM_400000_NS6detail17trampoline_kernelINS0_14default_configENS1_25transform_config_selectorItLb0EEEZNS1_14transform_implILb0ES3_S5_NS0_18transform_iteratorINS0_17counting_iteratorImlEEZNS1_24adjacent_difference_implIS3_Lb1ELb0EPKtPtN6thrust23THRUST_200600_302600_NS4plusItEEEE10hipError_tPvRmT2_T3_mT4_P12ihipStream_tbEUlmE_tEESD_NS0_8identityIvEEEESI_SL_SM_mSN_SP_bEUlT_E_NS1_11comp_targetILNS1_3genE5ELNS1_11target_archE942ELNS1_3gpuE9ELNS1_3repE0EEENS1_30default_config_static_selectorELNS0_4arch9wavefront6targetE1EEEvT1_.kd
    .uniform_work_group_size: 1
    .uses_dynamic_stack: false
    .vgpr_count:     19
    .vgpr_spill_count: 0
    .wavefront_size: 64
  - .agpr_count:     0
    .args:
      - .offset:         0
        .size:           56
        .value_kind:     by_value
    .group_segment_fixed_size: 0
    .kernarg_segment_align: 8
    .kernarg_segment_size: 56
    .language:       OpenCL C
    .language_version:
      - 2
      - 0
    .max_flat_workgroup_size: 64
    .name:           _ZN7rocprim17ROCPRIM_400000_NS6detail17trampoline_kernelINS0_14default_configENS1_25transform_config_selectorItLb0EEEZNS1_14transform_implILb0ES3_S5_NS0_18transform_iteratorINS0_17counting_iteratorImlEEZNS1_24adjacent_difference_implIS3_Lb1ELb0EPKtPtN6thrust23THRUST_200600_302600_NS4plusItEEEE10hipError_tPvRmT2_T3_mT4_P12ihipStream_tbEUlmE_tEESD_NS0_8identityIvEEEESI_SL_SM_mSN_SP_bEUlT_E_NS1_11comp_targetILNS1_3genE4ELNS1_11target_archE910ELNS1_3gpuE8ELNS1_3repE0EEENS1_30default_config_static_selectorELNS0_4arch9wavefront6targetE1EEEvT1_
    .private_segment_fixed_size: 0
    .sgpr_count:     6
    .sgpr_spill_count: 0
    .symbol:         _ZN7rocprim17ROCPRIM_400000_NS6detail17trampoline_kernelINS0_14default_configENS1_25transform_config_selectorItLb0EEEZNS1_14transform_implILb0ES3_S5_NS0_18transform_iteratorINS0_17counting_iteratorImlEEZNS1_24adjacent_difference_implIS3_Lb1ELb0EPKtPtN6thrust23THRUST_200600_302600_NS4plusItEEEE10hipError_tPvRmT2_T3_mT4_P12ihipStream_tbEUlmE_tEESD_NS0_8identityIvEEEESI_SL_SM_mSN_SP_bEUlT_E_NS1_11comp_targetILNS1_3genE4ELNS1_11target_archE910ELNS1_3gpuE8ELNS1_3repE0EEENS1_30default_config_static_selectorELNS0_4arch9wavefront6targetE1EEEvT1_.kd
    .uniform_work_group_size: 1
    .uses_dynamic_stack: false
    .vgpr_count:     0
    .vgpr_spill_count: 0
    .wavefront_size: 64
  - .agpr_count:     0
    .args:
      - .offset:         0
        .size:           56
        .value_kind:     by_value
    .group_segment_fixed_size: 0
    .kernarg_segment_align: 8
    .kernarg_segment_size: 56
    .language:       OpenCL C
    .language_version:
      - 2
      - 0
    .max_flat_workgroup_size: 128
    .name:           _ZN7rocprim17ROCPRIM_400000_NS6detail17trampoline_kernelINS0_14default_configENS1_25transform_config_selectorItLb0EEEZNS1_14transform_implILb0ES3_S5_NS0_18transform_iteratorINS0_17counting_iteratorImlEEZNS1_24adjacent_difference_implIS3_Lb1ELb0EPKtPtN6thrust23THRUST_200600_302600_NS4plusItEEEE10hipError_tPvRmT2_T3_mT4_P12ihipStream_tbEUlmE_tEESD_NS0_8identityIvEEEESI_SL_SM_mSN_SP_bEUlT_E_NS1_11comp_targetILNS1_3genE3ELNS1_11target_archE908ELNS1_3gpuE7ELNS1_3repE0EEENS1_30default_config_static_selectorELNS0_4arch9wavefront6targetE1EEEvT1_
    .private_segment_fixed_size: 0
    .sgpr_count:     6
    .sgpr_spill_count: 0
    .symbol:         _ZN7rocprim17ROCPRIM_400000_NS6detail17trampoline_kernelINS0_14default_configENS1_25transform_config_selectorItLb0EEEZNS1_14transform_implILb0ES3_S5_NS0_18transform_iteratorINS0_17counting_iteratorImlEEZNS1_24adjacent_difference_implIS3_Lb1ELb0EPKtPtN6thrust23THRUST_200600_302600_NS4plusItEEEE10hipError_tPvRmT2_T3_mT4_P12ihipStream_tbEUlmE_tEESD_NS0_8identityIvEEEESI_SL_SM_mSN_SP_bEUlT_E_NS1_11comp_targetILNS1_3genE3ELNS1_11target_archE908ELNS1_3gpuE7ELNS1_3repE0EEENS1_30default_config_static_selectorELNS0_4arch9wavefront6targetE1EEEvT1_.kd
    .uniform_work_group_size: 1
    .uses_dynamic_stack: false
    .vgpr_count:     0
    .vgpr_spill_count: 0
    .wavefront_size: 64
  - .agpr_count:     0
    .args:
      - .offset:         0
        .size:           56
        .value_kind:     by_value
    .group_segment_fixed_size: 0
    .kernarg_segment_align: 8
    .kernarg_segment_size: 56
    .language:       OpenCL C
    .language_version:
      - 2
      - 0
    .max_flat_workgroup_size: 512
    .name:           _ZN7rocprim17ROCPRIM_400000_NS6detail17trampoline_kernelINS0_14default_configENS1_25transform_config_selectorItLb0EEEZNS1_14transform_implILb0ES3_S5_NS0_18transform_iteratorINS0_17counting_iteratorImlEEZNS1_24adjacent_difference_implIS3_Lb1ELb0EPKtPtN6thrust23THRUST_200600_302600_NS4plusItEEEE10hipError_tPvRmT2_T3_mT4_P12ihipStream_tbEUlmE_tEESD_NS0_8identityIvEEEESI_SL_SM_mSN_SP_bEUlT_E_NS1_11comp_targetILNS1_3genE2ELNS1_11target_archE906ELNS1_3gpuE6ELNS1_3repE0EEENS1_30default_config_static_selectorELNS0_4arch9wavefront6targetE1EEEvT1_
    .private_segment_fixed_size: 0
    .sgpr_count:     6
    .sgpr_spill_count: 0
    .symbol:         _ZN7rocprim17ROCPRIM_400000_NS6detail17trampoline_kernelINS0_14default_configENS1_25transform_config_selectorItLb0EEEZNS1_14transform_implILb0ES3_S5_NS0_18transform_iteratorINS0_17counting_iteratorImlEEZNS1_24adjacent_difference_implIS3_Lb1ELb0EPKtPtN6thrust23THRUST_200600_302600_NS4plusItEEEE10hipError_tPvRmT2_T3_mT4_P12ihipStream_tbEUlmE_tEESD_NS0_8identityIvEEEESI_SL_SM_mSN_SP_bEUlT_E_NS1_11comp_targetILNS1_3genE2ELNS1_11target_archE906ELNS1_3gpuE6ELNS1_3repE0EEENS1_30default_config_static_selectorELNS0_4arch9wavefront6targetE1EEEvT1_.kd
    .uniform_work_group_size: 1
    .uses_dynamic_stack: false
    .vgpr_count:     0
    .vgpr_spill_count: 0
    .wavefront_size: 64
  - .agpr_count:     0
    .args:
      - .offset:         0
        .size:           56
        .value_kind:     by_value
    .group_segment_fixed_size: 0
    .kernarg_segment_align: 8
    .kernarg_segment_size: 56
    .language:       OpenCL C
    .language_version:
      - 2
      - 0
    .max_flat_workgroup_size: 1024
    .name:           _ZN7rocprim17ROCPRIM_400000_NS6detail17trampoline_kernelINS0_14default_configENS1_25transform_config_selectorItLb0EEEZNS1_14transform_implILb0ES3_S5_NS0_18transform_iteratorINS0_17counting_iteratorImlEEZNS1_24adjacent_difference_implIS3_Lb1ELb0EPKtPtN6thrust23THRUST_200600_302600_NS4plusItEEEE10hipError_tPvRmT2_T3_mT4_P12ihipStream_tbEUlmE_tEESD_NS0_8identityIvEEEESI_SL_SM_mSN_SP_bEUlT_E_NS1_11comp_targetILNS1_3genE10ELNS1_11target_archE1201ELNS1_3gpuE5ELNS1_3repE0EEENS1_30default_config_static_selectorELNS0_4arch9wavefront6targetE1EEEvT1_
    .private_segment_fixed_size: 0
    .sgpr_count:     6
    .sgpr_spill_count: 0
    .symbol:         _ZN7rocprim17ROCPRIM_400000_NS6detail17trampoline_kernelINS0_14default_configENS1_25transform_config_selectorItLb0EEEZNS1_14transform_implILb0ES3_S5_NS0_18transform_iteratorINS0_17counting_iteratorImlEEZNS1_24adjacent_difference_implIS3_Lb1ELb0EPKtPtN6thrust23THRUST_200600_302600_NS4plusItEEEE10hipError_tPvRmT2_T3_mT4_P12ihipStream_tbEUlmE_tEESD_NS0_8identityIvEEEESI_SL_SM_mSN_SP_bEUlT_E_NS1_11comp_targetILNS1_3genE10ELNS1_11target_archE1201ELNS1_3gpuE5ELNS1_3repE0EEENS1_30default_config_static_selectorELNS0_4arch9wavefront6targetE1EEEvT1_.kd
    .uniform_work_group_size: 1
    .uses_dynamic_stack: false
    .vgpr_count:     0
    .vgpr_spill_count: 0
    .wavefront_size: 64
  - .agpr_count:     0
    .args:
      - .offset:         0
        .size:           56
        .value_kind:     by_value
    .group_segment_fixed_size: 0
    .kernarg_segment_align: 8
    .kernarg_segment_size: 56
    .language:       OpenCL C
    .language_version:
      - 2
      - 0
    .max_flat_workgroup_size: 512
    .name:           _ZN7rocprim17ROCPRIM_400000_NS6detail17trampoline_kernelINS0_14default_configENS1_25transform_config_selectorItLb0EEEZNS1_14transform_implILb0ES3_S5_NS0_18transform_iteratorINS0_17counting_iteratorImlEEZNS1_24adjacent_difference_implIS3_Lb1ELb0EPKtPtN6thrust23THRUST_200600_302600_NS4plusItEEEE10hipError_tPvRmT2_T3_mT4_P12ihipStream_tbEUlmE_tEESD_NS0_8identityIvEEEESI_SL_SM_mSN_SP_bEUlT_E_NS1_11comp_targetILNS1_3genE10ELNS1_11target_archE1200ELNS1_3gpuE4ELNS1_3repE0EEENS1_30default_config_static_selectorELNS0_4arch9wavefront6targetE1EEEvT1_
    .private_segment_fixed_size: 0
    .sgpr_count:     6
    .sgpr_spill_count: 0
    .symbol:         _ZN7rocprim17ROCPRIM_400000_NS6detail17trampoline_kernelINS0_14default_configENS1_25transform_config_selectorItLb0EEEZNS1_14transform_implILb0ES3_S5_NS0_18transform_iteratorINS0_17counting_iteratorImlEEZNS1_24adjacent_difference_implIS3_Lb1ELb0EPKtPtN6thrust23THRUST_200600_302600_NS4plusItEEEE10hipError_tPvRmT2_T3_mT4_P12ihipStream_tbEUlmE_tEESD_NS0_8identityIvEEEESI_SL_SM_mSN_SP_bEUlT_E_NS1_11comp_targetILNS1_3genE10ELNS1_11target_archE1200ELNS1_3gpuE4ELNS1_3repE0EEENS1_30default_config_static_selectorELNS0_4arch9wavefront6targetE1EEEvT1_.kd
    .uniform_work_group_size: 1
    .uses_dynamic_stack: false
    .vgpr_count:     0
    .vgpr_spill_count: 0
    .wavefront_size: 64
  - .agpr_count:     0
    .args:
      - .offset:         0
        .size:           56
        .value_kind:     by_value
    .group_segment_fixed_size: 0
    .kernarg_segment_align: 8
    .kernarg_segment_size: 56
    .language:       OpenCL C
    .language_version:
      - 2
      - 0
    .max_flat_workgroup_size: 1024
    .name:           _ZN7rocprim17ROCPRIM_400000_NS6detail17trampoline_kernelINS0_14default_configENS1_25transform_config_selectorItLb0EEEZNS1_14transform_implILb0ES3_S5_NS0_18transform_iteratorINS0_17counting_iteratorImlEEZNS1_24adjacent_difference_implIS3_Lb1ELb0EPKtPtN6thrust23THRUST_200600_302600_NS4plusItEEEE10hipError_tPvRmT2_T3_mT4_P12ihipStream_tbEUlmE_tEESD_NS0_8identityIvEEEESI_SL_SM_mSN_SP_bEUlT_E_NS1_11comp_targetILNS1_3genE9ELNS1_11target_archE1100ELNS1_3gpuE3ELNS1_3repE0EEENS1_30default_config_static_selectorELNS0_4arch9wavefront6targetE1EEEvT1_
    .private_segment_fixed_size: 0
    .sgpr_count:     6
    .sgpr_spill_count: 0
    .symbol:         _ZN7rocprim17ROCPRIM_400000_NS6detail17trampoline_kernelINS0_14default_configENS1_25transform_config_selectorItLb0EEEZNS1_14transform_implILb0ES3_S5_NS0_18transform_iteratorINS0_17counting_iteratorImlEEZNS1_24adjacent_difference_implIS3_Lb1ELb0EPKtPtN6thrust23THRUST_200600_302600_NS4plusItEEEE10hipError_tPvRmT2_T3_mT4_P12ihipStream_tbEUlmE_tEESD_NS0_8identityIvEEEESI_SL_SM_mSN_SP_bEUlT_E_NS1_11comp_targetILNS1_3genE9ELNS1_11target_archE1100ELNS1_3gpuE3ELNS1_3repE0EEENS1_30default_config_static_selectorELNS0_4arch9wavefront6targetE1EEEvT1_.kd
    .uniform_work_group_size: 1
    .uses_dynamic_stack: false
    .vgpr_count:     0
    .vgpr_spill_count: 0
    .wavefront_size: 64
  - .agpr_count:     0
    .args:
      - .offset:         0
        .size:           56
        .value_kind:     by_value
    .group_segment_fixed_size: 0
    .kernarg_segment_align: 8
    .kernarg_segment_size: 56
    .language:       OpenCL C
    .language_version:
      - 2
      - 0
    .max_flat_workgroup_size: 1024
    .name:           _ZN7rocprim17ROCPRIM_400000_NS6detail17trampoline_kernelINS0_14default_configENS1_25transform_config_selectorItLb0EEEZNS1_14transform_implILb0ES3_S5_NS0_18transform_iteratorINS0_17counting_iteratorImlEEZNS1_24adjacent_difference_implIS3_Lb1ELb0EPKtPtN6thrust23THRUST_200600_302600_NS4plusItEEEE10hipError_tPvRmT2_T3_mT4_P12ihipStream_tbEUlmE_tEESD_NS0_8identityIvEEEESI_SL_SM_mSN_SP_bEUlT_E_NS1_11comp_targetILNS1_3genE8ELNS1_11target_archE1030ELNS1_3gpuE2ELNS1_3repE0EEENS1_30default_config_static_selectorELNS0_4arch9wavefront6targetE1EEEvT1_
    .private_segment_fixed_size: 0
    .sgpr_count:     6
    .sgpr_spill_count: 0
    .symbol:         _ZN7rocprim17ROCPRIM_400000_NS6detail17trampoline_kernelINS0_14default_configENS1_25transform_config_selectorItLb0EEEZNS1_14transform_implILb0ES3_S5_NS0_18transform_iteratorINS0_17counting_iteratorImlEEZNS1_24adjacent_difference_implIS3_Lb1ELb0EPKtPtN6thrust23THRUST_200600_302600_NS4plusItEEEE10hipError_tPvRmT2_T3_mT4_P12ihipStream_tbEUlmE_tEESD_NS0_8identityIvEEEESI_SL_SM_mSN_SP_bEUlT_E_NS1_11comp_targetILNS1_3genE8ELNS1_11target_archE1030ELNS1_3gpuE2ELNS1_3repE0EEENS1_30default_config_static_selectorELNS0_4arch9wavefront6targetE1EEEvT1_.kd
    .uniform_work_group_size: 1
    .uses_dynamic_stack: false
    .vgpr_count:     0
    .vgpr_spill_count: 0
    .wavefront_size: 64
  - .agpr_count:     0
    .args:
      - .offset:         0
        .size:           56
        .value_kind:     by_value
    .group_segment_fixed_size: 0
    .kernarg_segment_align: 8
    .kernarg_segment_size: 56
    .language:       OpenCL C
    .language_version:
      - 2
      - 0
    .max_flat_workgroup_size: 32
    .name:           _ZN7rocprim17ROCPRIM_400000_NS6detail17trampoline_kernelINS0_14default_configENS1_35adjacent_difference_config_selectorILb1EtEEZNS1_24adjacent_difference_implIS3_Lb1ELb0EPKtPtN6thrust23THRUST_200600_302600_NS4plusItEEEE10hipError_tPvRmT2_T3_mT4_P12ihipStream_tbEUlT_E_NS1_11comp_targetILNS1_3genE0ELNS1_11target_archE4294967295ELNS1_3gpuE0ELNS1_3repE0EEENS1_30default_config_static_selectorELNS0_4arch9wavefront6targetE1EEEvT1_
    .private_segment_fixed_size: 0
    .sgpr_count:     6
    .sgpr_spill_count: 0
    .symbol:         _ZN7rocprim17ROCPRIM_400000_NS6detail17trampoline_kernelINS0_14default_configENS1_35adjacent_difference_config_selectorILb1EtEEZNS1_24adjacent_difference_implIS3_Lb1ELb0EPKtPtN6thrust23THRUST_200600_302600_NS4plusItEEEE10hipError_tPvRmT2_T3_mT4_P12ihipStream_tbEUlT_E_NS1_11comp_targetILNS1_3genE0ELNS1_11target_archE4294967295ELNS1_3gpuE0ELNS1_3repE0EEENS1_30default_config_static_selectorELNS0_4arch9wavefront6targetE1EEEvT1_.kd
    .uniform_work_group_size: 1
    .uses_dynamic_stack: false
    .vgpr_count:     0
    .vgpr_spill_count: 0
    .wavefront_size: 64
  - .agpr_count:     0
    .args:
      - .offset:         0
        .size:           56
        .value_kind:     by_value
    .group_segment_fixed_size: 0
    .kernarg_segment_align: 8
    .kernarg_segment_size: 56
    .language:       OpenCL C
    .language_version:
      - 2
      - 0
    .max_flat_workgroup_size: 512
    .name:           _ZN7rocprim17ROCPRIM_400000_NS6detail17trampoline_kernelINS0_14default_configENS1_35adjacent_difference_config_selectorILb1EtEEZNS1_24adjacent_difference_implIS3_Lb1ELb0EPKtPtN6thrust23THRUST_200600_302600_NS4plusItEEEE10hipError_tPvRmT2_T3_mT4_P12ihipStream_tbEUlT_E_NS1_11comp_targetILNS1_3genE10ELNS1_11target_archE1201ELNS1_3gpuE5ELNS1_3repE0EEENS1_30default_config_static_selectorELNS0_4arch9wavefront6targetE1EEEvT1_
    .private_segment_fixed_size: 0
    .sgpr_count:     6
    .sgpr_spill_count: 0
    .symbol:         _ZN7rocprim17ROCPRIM_400000_NS6detail17trampoline_kernelINS0_14default_configENS1_35adjacent_difference_config_selectorILb1EtEEZNS1_24adjacent_difference_implIS3_Lb1ELb0EPKtPtN6thrust23THRUST_200600_302600_NS4plusItEEEE10hipError_tPvRmT2_T3_mT4_P12ihipStream_tbEUlT_E_NS1_11comp_targetILNS1_3genE10ELNS1_11target_archE1201ELNS1_3gpuE5ELNS1_3repE0EEENS1_30default_config_static_selectorELNS0_4arch9wavefront6targetE1EEEvT1_.kd
    .uniform_work_group_size: 1
    .uses_dynamic_stack: false
    .vgpr_count:     0
    .vgpr_spill_count: 0
    .wavefront_size: 64
  - .agpr_count:     0
    .args:
      - .offset:         0
        .size:           56
        .value_kind:     by_value
    .group_segment_fixed_size: 3968
    .kernarg_segment_align: 8
    .kernarg_segment_size: 56
    .language:       OpenCL C
    .language_version:
      - 2
      - 0
    .max_flat_workgroup_size: 64
    .name:           _ZN7rocprim17ROCPRIM_400000_NS6detail17trampoline_kernelINS0_14default_configENS1_35adjacent_difference_config_selectorILb1EtEEZNS1_24adjacent_difference_implIS3_Lb1ELb0EPKtPtN6thrust23THRUST_200600_302600_NS4plusItEEEE10hipError_tPvRmT2_T3_mT4_P12ihipStream_tbEUlT_E_NS1_11comp_targetILNS1_3genE5ELNS1_11target_archE942ELNS1_3gpuE9ELNS1_3repE0EEENS1_30default_config_static_selectorELNS0_4arch9wavefront6targetE1EEEvT1_
    .private_segment_fixed_size: 0
    .sgpr_count:     35
    .sgpr_spill_count: 0
    .symbol:         _ZN7rocprim17ROCPRIM_400000_NS6detail17trampoline_kernelINS0_14default_configENS1_35adjacent_difference_config_selectorILb1EtEEZNS1_24adjacent_difference_implIS3_Lb1ELb0EPKtPtN6thrust23THRUST_200600_302600_NS4plusItEEEE10hipError_tPvRmT2_T3_mT4_P12ihipStream_tbEUlT_E_NS1_11comp_targetILNS1_3genE5ELNS1_11target_archE942ELNS1_3gpuE9ELNS1_3repE0EEENS1_30default_config_static_selectorELNS0_4arch9wavefront6targetE1EEEvT1_.kd
    .uniform_work_group_size: 1
    .uses_dynamic_stack: false
    .vgpr_count:     53
    .vgpr_spill_count: 0
    .wavefront_size: 64
  - .agpr_count:     0
    .args:
      - .offset:         0
        .size:           56
        .value_kind:     by_value
    .group_segment_fixed_size: 0
    .kernarg_segment_align: 8
    .kernarg_segment_size: 56
    .language:       OpenCL C
    .language_version:
      - 2
      - 0
    .max_flat_workgroup_size: 64
    .name:           _ZN7rocprim17ROCPRIM_400000_NS6detail17trampoline_kernelINS0_14default_configENS1_35adjacent_difference_config_selectorILb1EtEEZNS1_24adjacent_difference_implIS3_Lb1ELb0EPKtPtN6thrust23THRUST_200600_302600_NS4plusItEEEE10hipError_tPvRmT2_T3_mT4_P12ihipStream_tbEUlT_E_NS1_11comp_targetILNS1_3genE4ELNS1_11target_archE910ELNS1_3gpuE8ELNS1_3repE0EEENS1_30default_config_static_selectorELNS0_4arch9wavefront6targetE1EEEvT1_
    .private_segment_fixed_size: 0
    .sgpr_count:     6
    .sgpr_spill_count: 0
    .symbol:         _ZN7rocprim17ROCPRIM_400000_NS6detail17trampoline_kernelINS0_14default_configENS1_35adjacent_difference_config_selectorILb1EtEEZNS1_24adjacent_difference_implIS3_Lb1ELb0EPKtPtN6thrust23THRUST_200600_302600_NS4plusItEEEE10hipError_tPvRmT2_T3_mT4_P12ihipStream_tbEUlT_E_NS1_11comp_targetILNS1_3genE4ELNS1_11target_archE910ELNS1_3gpuE8ELNS1_3repE0EEENS1_30default_config_static_selectorELNS0_4arch9wavefront6targetE1EEEvT1_.kd
    .uniform_work_group_size: 1
    .uses_dynamic_stack: false
    .vgpr_count:     0
    .vgpr_spill_count: 0
    .wavefront_size: 64
  - .agpr_count:     0
    .args:
      - .offset:         0
        .size:           56
        .value_kind:     by_value
    .group_segment_fixed_size: 0
    .kernarg_segment_align: 8
    .kernarg_segment_size: 56
    .language:       OpenCL C
    .language_version:
      - 2
      - 0
    .max_flat_workgroup_size: 32
    .name:           _ZN7rocprim17ROCPRIM_400000_NS6detail17trampoline_kernelINS0_14default_configENS1_35adjacent_difference_config_selectorILb1EtEEZNS1_24adjacent_difference_implIS3_Lb1ELb0EPKtPtN6thrust23THRUST_200600_302600_NS4plusItEEEE10hipError_tPvRmT2_T3_mT4_P12ihipStream_tbEUlT_E_NS1_11comp_targetILNS1_3genE3ELNS1_11target_archE908ELNS1_3gpuE7ELNS1_3repE0EEENS1_30default_config_static_selectorELNS0_4arch9wavefront6targetE1EEEvT1_
    .private_segment_fixed_size: 0
    .sgpr_count:     6
    .sgpr_spill_count: 0
    .symbol:         _ZN7rocprim17ROCPRIM_400000_NS6detail17trampoline_kernelINS0_14default_configENS1_35adjacent_difference_config_selectorILb1EtEEZNS1_24adjacent_difference_implIS3_Lb1ELb0EPKtPtN6thrust23THRUST_200600_302600_NS4plusItEEEE10hipError_tPvRmT2_T3_mT4_P12ihipStream_tbEUlT_E_NS1_11comp_targetILNS1_3genE3ELNS1_11target_archE908ELNS1_3gpuE7ELNS1_3repE0EEENS1_30default_config_static_selectorELNS0_4arch9wavefront6targetE1EEEvT1_.kd
    .uniform_work_group_size: 1
    .uses_dynamic_stack: false
    .vgpr_count:     0
    .vgpr_spill_count: 0
    .wavefront_size: 64
  - .agpr_count:     0
    .args:
      - .offset:         0
        .size:           56
        .value_kind:     by_value
    .group_segment_fixed_size: 0
    .kernarg_segment_align: 8
    .kernarg_segment_size: 56
    .language:       OpenCL C
    .language_version:
      - 2
      - 0
    .max_flat_workgroup_size: 64
    .name:           _ZN7rocprim17ROCPRIM_400000_NS6detail17trampoline_kernelINS0_14default_configENS1_35adjacent_difference_config_selectorILb1EtEEZNS1_24adjacent_difference_implIS3_Lb1ELb0EPKtPtN6thrust23THRUST_200600_302600_NS4plusItEEEE10hipError_tPvRmT2_T3_mT4_P12ihipStream_tbEUlT_E_NS1_11comp_targetILNS1_3genE2ELNS1_11target_archE906ELNS1_3gpuE6ELNS1_3repE0EEENS1_30default_config_static_selectorELNS0_4arch9wavefront6targetE1EEEvT1_
    .private_segment_fixed_size: 0
    .sgpr_count:     6
    .sgpr_spill_count: 0
    .symbol:         _ZN7rocprim17ROCPRIM_400000_NS6detail17trampoline_kernelINS0_14default_configENS1_35adjacent_difference_config_selectorILb1EtEEZNS1_24adjacent_difference_implIS3_Lb1ELb0EPKtPtN6thrust23THRUST_200600_302600_NS4plusItEEEE10hipError_tPvRmT2_T3_mT4_P12ihipStream_tbEUlT_E_NS1_11comp_targetILNS1_3genE2ELNS1_11target_archE906ELNS1_3gpuE6ELNS1_3repE0EEENS1_30default_config_static_selectorELNS0_4arch9wavefront6targetE1EEEvT1_.kd
    .uniform_work_group_size: 1
    .uses_dynamic_stack: false
    .vgpr_count:     0
    .vgpr_spill_count: 0
    .wavefront_size: 64
  - .agpr_count:     0
    .args:
      - .offset:         0
        .size:           56
        .value_kind:     by_value
    .group_segment_fixed_size: 0
    .kernarg_segment_align: 8
    .kernarg_segment_size: 56
    .language:       OpenCL C
    .language_version:
      - 2
      - 0
    .max_flat_workgroup_size: 128
    .name:           _ZN7rocprim17ROCPRIM_400000_NS6detail17trampoline_kernelINS0_14default_configENS1_35adjacent_difference_config_selectorILb1EtEEZNS1_24adjacent_difference_implIS3_Lb1ELb0EPKtPtN6thrust23THRUST_200600_302600_NS4plusItEEEE10hipError_tPvRmT2_T3_mT4_P12ihipStream_tbEUlT_E_NS1_11comp_targetILNS1_3genE9ELNS1_11target_archE1100ELNS1_3gpuE3ELNS1_3repE0EEENS1_30default_config_static_selectorELNS0_4arch9wavefront6targetE1EEEvT1_
    .private_segment_fixed_size: 0
    .sgpr_count:     6
    .sgpr_spill_count: 0
    .symbol:         _ZN7rocprim17ROCPRIM_400000_NS6detail17trampoline_kernelINS0_14default_configENS1_35adjacent_difference_config_selectorILb1EtEEZNS1_24adjacent_difference_implIS3_Lb1ELb0EPKtPtN6thrust23THRUST_200600_302600_NS4plusItEEEE10hipError_tPvRmT2_T3_mT4_P12ihipStream_tbEUlT_E_NS1_11comp_targetILNS1_3genE9ELNS1_11target_archE1100ELNS1_3gpuE3ELNS1_3repE0EEENS1_30default_config_static_selectorELNS0_4arch9wavefront6targetE1EEEvT1_.kd
    .uniform_work_group_size: 1
    .uses_dynamic_stack: false
    .vgpr_count:     0
    .vgpr_spill_count: 0
    .wavefront_size: 64
  - .agpr_count:     0
    .args:
      - .offset:         0
        .size:           56
        .value_kind:     by_value
    .group_segment_fixed_size: 0
    .kernarg_segment_align: 8
    .kernarg_segment_size: 56
    .language:       OpenCL C
    .language_version:
      - 2
      - 0
    .max_flat_workgroup_size: 512
    .name:           _ZN7rocprim17ROCPRIM_400000_NS6detail17trampoline_kernelINS0_14default_configENS1_35adjacent_difference_config_selectorILb1EtEEZNS1_24adjacent_difference_implIS3_Lb1ELb0EPKtPtN6thrust23THRUST_200600_302600_NS4plusItEEEE10hipError_tPvRmT2_T3_mT4_P12ihipStream_tbEUlT_E_NS1_11comp_targetILNS1_3genE8ELNS1_11target_archE1030ELNS1_3gpuE2ELNS1_3repE0EEENS1_30default_config_static_selectorELNS0_4arch9wavefront6targetE1EEEvT1_
    .private_segment_fixed_size: 0
    .sgpr_count:     6
    .sgpr_spill_count: 0
    .symbol:         _ZN7rocprim17ROCPRIM_400000_NS6detail17trampoline_kernelINS0_14default_configENS1_35adjacent_difference_config_selectorILb1EtEEZNS1_24adjacent_difference_implIS3_Lb1ELb0EPKtPtN6thrust23THRUST_200600_302600_NS4plusItEEEE10hipError_tPvRmT2_T3_mT4_P12ihipStream_tbEUlT_E_NS1_11comp_targetILNS1_3genE8ELNS1_11target_archE1030ELNS1_3gpuE2ELNS1_3repE0EEENS1_30default_config_static_selectorELNS0_4arch9wavefront6targetE1EEEvT1_.kd
    .uniform_work_group_size: 1
    .uses_dynamic_stack: false
    .vgpr_count:     0
    .vgpr_spill_count: 0
    .wavefront_size: 64
  - .agpr_count:     0
    .args:
      - .offset:         0
        .size:           56
        .value_kind:     by_value
    .group_segment_fixed_size: 0
    .kernarg_segment_align: 8
    .kernarg_segment_size: 56
    .language:       OpenCL C
    .language_version:
      - 2
      - 0
    .max_flat_workgroup_size: 128
    .name:           _ZN7rocprim17ROCPRIM_400000_NS6detail17trampoline_kernelINS0_14default_configENS1_35adjacent_difference_config_selectorILb0EiEEZNS1_24adjacent_difference_implIS3_Lb0ELb0EPKiPiN6thrust23THRUST_200600_302600_NS4plusIiEEEE10hipError_tPvRmT2_T3_mT4_P12ihipStream_tbEUlT_E_NS1_11comp_targetILNS1_3genE0ELNS1_11target_archE4294967295ELNS1_3gpuE0ELNS1_3repE0EEENS1_30default_config_static_selectorELNS0_4arch9wavefront6targetE1EEEvT1_
    .private_segment_fixed_size: 0
    .sgpr_count:     6
    .sgpr_spill_count: 0
    .symbol:         _ZN7rocprim17ROCPRIM_400000_NS6detail17trampoline_kernelINS0_14default_configENS1_35adjacent_difference_config_selectorILb0EiEEZNS1_24adjacent_difference_implIS3_Lb0ELb0EPKiPiN6thrust23THRUST_200600_302600_NS4plusIiEEEE10hipError_tPvRmT2_T3_mT4_P12ihipStream_tbEUlT_E_NS1_11comp_targetILNS1_3genE0ELNS1_11target_archE4294967295ELNS1_3gpuE0ELNS1_3repE0EEENS1_30default_config_static_selectorELNS0_4arch9wavefront6targetE1EEEvT1_.kd
    .uniform_work_group_size: 1
    .uses_dynamic_stack: false
    .vgpr_count:     0
    .vgpr_spill_count: 0
    .wavefront_size: 64
  - .agpr_count:     0
    .args:
      - .offset:         0
        .size:           56
        .value_kind:     by_value
    .group_segment_fixed_size: 0
    .kernarg_segment_align: 8
    .kernarg_segment_size: 56
    .language:       OpenCL C
    .language_version:
      - 2
      - 0
    .max_flat_workgroup_size: 128
    .name:           _ZN7rocprim17ROCPRIM_400000_NS6detail17trampoline_kernelINS0_14default_configENS1_35adjacent_difference_config_selectorILb0EiEEZNS1_24adjacent_difference_implIS3_Lb0ELb0EPKiPiN6thrust23THRUST_200600_302600_NS4plusIiEEEE10hipError_tPvRmT2_T3_mT4_P12ihipStream_tbEUlT_E_NS1_11comp_targetILNS1_3genE10ELNS1_11target_archE1201ELNS1_3gpuE5ELNS1_3repE0EEENS1_30default_config_static_selectorELNS0_4arch9wavefront6targetE1EEEvT1_
    .private_segment_fixed_size: 0
    .sgpr_count:     6
    .sgpr_spill_count: 0
    .symbol:         _ZN7rocprim17ROCPRIM_400000_NS6detail17trampoline_kernelINS0_14default_configENS1_35adjacent_difference_config_selectorILb0EiEEZNS1_24adjacent_difference_implIS3_Lb0ELb0EPKiPiN6thrust23THRUST_200600_302600_NS4plusIiEEEE10hipError_tPvRmT2_T3_mT4_P12ihipStream_tbEUlT_E_NS1_11comp_targetILNS1_3genE10ELNS1_11target_archE1201ELNS1_3gpuE5ELNS1_3repE0EEENS1_30default_config_static_selectorELNS0_4arch9wavefront6targetE1EEEvT1_.kd
    .uniform_work_group_size: 1
    .uses_dynamic_stack: false
    .vgpr_count:     0
    .vgpr_spill_count: 0
    .wavefront_size: 64
  - .agpr_count:     0
    .args:
      - .offset:         0
        .size:           56
        .value_kind:     by_value
    .group_segment_fixed_size: 7424
    .kernarg_segment_align: 8
    .kernarg_segment_size: 56
    .language:       OpenCL C
    .language_version:
      - 2
      - 0
    .max_flat_workgroup_size: 64
    .name:           _ZN7rocprim17ROCPRIM_400000_NS6detail17trampoline_kernelINS0_14default_configENS1_35adjacent_difference_config_selectorILb0EiEEZNS1_24adjacent_difference_implIS3_Lb0ELb0EPKiPiN6thrust23THRUST_200600_302600_NS4plusIiEEEE10hipError_tPvRmT2_T3_mT4_P12ihipStream_tbEUlT_E_NS1_11comp_targetILNS1_3genE5ELNS1_11target_archE942ELNS1_3gpuE9ELNS1_3repE0EEENS1_30default_config_static_selectorELNS0_4arch9wavefront6targetE1EEEvT1_
    .private_segment_fixed_size: 0
    .sgpr_count:     29
    .sgpr_spill_count: 0
    .symbol:         _ZN7rocprim17ROCPRIM_400000_NS6detail17trampoline_kernelINS0_14default_configENS1_35adjacent_difference_config_selectorILb0EiEEZNS1_24adjacent_difference_implIS3_Lb0ELb0EPKiPiN6thrust23THRUST_200600_302600_NS4plusIiEEEE10hipError_tPvRmT2_T3_mT4_P12ihipStream_tbEUlT_E_NS1_11comp_targetILNS1_3genE5ELNS1_11target_archE942ELNS1_3gpuE9ELNS1_3repE0EEENS1_30default_config_static_selectorELNS0_4arch9wavefront6targetE1EEEvT1_.kd
    .uniform_work_group_size: 1
    .uses_dynamic_stack: false
    .vgpr_count:     64
    .vgpr_spill_count: 0
    .wavefront_size: 64
  - .agpr_count:     0
    .args:
      - .offset:         0
        .size:           56
        .value_kind:     by_value
    .group_segment_fixed_size: 0
    .kernarg_segment_align: 8
    .kernarg_segment_size: 56
    .language:       OpenCL C
    .language_version:
      - 2
      - 0
    .max_flat_workgroup_size: 512
    .name:           _ZN7rocprim17ROCPRIM_400000_NS6detail17trampoline_kernelINS0_14default_configENS1_35adjacent_difference_config_selectorILb0EiEEZNS1_24adjacent_difference_implIS3_Lb0ELb0EPKiPiN6thrust23THRUST_200600_302600_NS4plusIiEEEE10hipError_tPvRmT2_T3_mT4_P12ihipStream_tbEUlT_E_NS1_11comp_targetILNS1_3genE4ELNS1_11target_archE910ELNS1_3gpuE8ELNS1_3repE0EEENS1_30default_config_static_selectorELNS0_4arch9wavefront6targetE1EEEvT1_
    .private_segment_fixed_size: 0
    .sgpr_count:     6
    .sgpr_spill_count: 0
    .symbol:         _ZN7rocprim17ROCPRIM_400000_NS6detail17trampoline_kernelINS0_14default_configENS1_35adjacent_difference_config_selectorILb0EiEEZNS1_24adjacent_difference_implIS3_Lb0ELb0EPKiPiN6thrust23THRUST_200600_302600_NS4plusIiEEEE10hipError_tPvRmT2_T3_mT4_P12ihipStream_tbEUlT_E_NS1_11comp_targetILNS1_3genE4ELNS1_11target_archE910ELNS1_3gpuE8ELNS1_3repE0EEENS1_30default_config_static_selectorELNS0_4arch9wavefront6targetE1EEEvT1_.kd
    .uniform_work_group_size: 1
    .uses_dynamic_stack: false
    .vgpr_count:     0
    .vgpr_spill_count: 0
    .wavefront_size: 64
  - .agpr_count:     0
    .args:
      - .offset:         0
        .size:           56
        .value_kind:     by_value
    .group_segment_fixed_size: 0
    .kernarg_segment_align: 8
    .kernarg_segment_size: 56
    .language:       OpenCL C
    .language_version:
      - 2
      - 0
    .max_flat_workgroup_size: 128
    .name:           _ZN7rocprim17ROCPRIM_400000_NS6detail17trampoline_kernelINS0_14default_configENS1_35adjacent_difference_config_selectorILb0EiEEZNS1_24adjacent_difference_implIS3_Lb0ELb0EPKiPiN6thrust23THRUST_200600_302600_NS4plusIiEEEE10hipError_tPvRmT2_T3_mT4_P12ihipStream_tbEUlT_E_NS1_11comp_targetILNS1_3genE3ELNS1_11target_archE908ELNS1_3gpuE7ELNS1_3repE0EEENS1_30default_config_static_selectorELNS0_4arch9wavefront6targetE1EEEvT1_
    .private_segment_fixed_size: 0
    .sgpr_count:     6
    .sgpr_spill_count: 0
    .symbol:         _ZN7rocprim17ROCPRIM_400000_NS6detail17trampoline_kernelINS0_14default_configENS1_35adjacent_difference_config_selectorILb0EiEEZNS1_24adjacent_difference_implIS3_Lb0ELb0EPKiPiN6thrust23THRUST_200600_302600_NS4plusIiEEEE10hipError_tPvRmT2_T3_mT4_P12ihipStream_tbEUlT_E_NS1_11comp_targetILNS1_3genE3ELNS1_11target_archE908ELNS1_3gpuE7ELNS1_3repE0EEENS1_30default_config_static_selectorELNS0_4arch9wavefront6targetE1EEEvT1_.kd
    .uniform_work_group_size: 1
    .uses_dynamic_stack: false
    .vgpr_count:     0
    .vgpr_spill_count: 0
    .wavefront_size: 64
  - .agpr_count:     0
    .args:
      - .offset:         0
        .size:           56
        .value_kind:     by_value
    .group_segment_fixed_size: 0
    .kernarg_segment_align: 8
    .kernarg_segment_size: 56
    .language:       OpenCL C
    .language_version:
      - 2
      - 0
    .max_flat_workgroup_size: 1024
    .name:           _ZN7rocprim17ROCPRIM_400000_NS6detail17trampoline_kernelINS0_14default_configENS1_35adjacent_difference_config_selectorILb0EiEEZNS1_24adjacent_difference_implIS3_Lb0ELb0EPKiPiN6thrust23THRUST_200600_302600_NS4plusIiEEEE10hipError_tPvRmT2_T3_mT4_P12ihipStream_tbEUlT_E_NS1_11comp_targetILNS1_3genE2ELNS1_11target_archE906ELNS1_3gpuE6ELNS1_3repE0EEENS1_30default_config_static_selectorELNS0_4arch9wavefront6targetE1EEEvT1_
    .private_segment_fixed_size: 0
    .sgpr_count:     6
    .sgpr_spill_count: 0
    .symbol:         _ZN7rocprim17ROCPRIM_400000_NS6detail17trampoline_kernelINS0_14default_configENS1_35adjacent_difference_config_selectorILb0EiEEZNS1_24adjacent_difference_implIS3_Lb0ELb0EPKiPiN6thrust23THRUST_200600_302600_NS4plusIiEEEE10hipError_tPvRmT2_T3_mT4_P12ihipStream_tbEUlT_E_NS1_11comp_targetILNS1_3genE2ELNS1_11target_archE906ELNS1_3gpuE6ELNS1_3repE0EEENS1_30default_config_static_selectorELNS0_4arch9wavefront6targetE1EEEvT1_.kd
    .uniform_work_group_size: 1
    .uses_dynamic_stack: false
    .vgpr_count:     0
    .vgpr_spill_count: 0
    .wavefront_size: 64
  - .agpr_count:     0
    .args:
      - .offset:         0
        .size:           56
        .value_kind:     by_value
    .group_segment_fixed_size: 0
    .kernarg_segment_align: 8
    .kernarg_segment_size: 56
    .language:       OpenCL C
    .language_version:
      - 2
      - 0
    .max_flat_workgroup_size: 1024
    .name:           _ZN7rocprim17ROCPRIM_400000_NS6detail17trampoline_kernelINS0_14default_configENS1_35adjacent_difference_config_selectorILb0EiEEZNS1_24adjacent_difference_implIS3_Lb0ELb0EPKiPiN6thrust23THRUST_200600_302600_NS4plusIiEEEE10hipError_tPvRmT2_T3_mT4_P12ihipStream_tbEUlT_E_NS1_11comp_targetILNS1_3genE9ELNS1_11target_archE1100ELNS1_3gpuE3ELNS1_3repE0EEENS1_30default_config_static_selectorELNS0_4arch9wavefront6targetE1EEEvT1_
    .private_segment_fixed_size: 0
    .sgpr_count:     6
    .sgpr_spill_count: 0
    .symbol:         _ZN7rocprim17ROCPRIM_400000_NS6detail17trampoline_kernelINS0_14default_configENS1_35adjacent_difference_config_selectorILb0EiEEZNS1_24adjacent_difference_implIS3_Lb0ELb0EPKiPiN6thrust23THRUST_200600_302600_NS4plusIiEEEE10hipError_tPvRmT2_T3_mT4_P12ihipStream_tbEUlT_E_NS1_11comp_targetILNS1_3genE9ELNS1_11target_archE1100ELNS1_3gpuE3ELNS1_3repE0EEENS1_30default_config_static_selectorELNS0_4arch9wavefront6targetE1EEEvT1_.kd
    .uniform_work_group_size: 1
    .uses_dynamic_stack: false
    .vgpr_count:     0
    .vgpr_spill_count: 0
    .wavefront_size: 64
  - .agpr_count:     0
    .args:
      - .offset:         0
        .size:           56
        .value_kind:     by_value
    .group_segment_fixed_size: 0
    .kernarg_segment_align: 8
    .kernarg_segment_size: 56
    .language:       OpenCL C
    .language_version:
      - 2
      - 0
    .max_flat_workgroup_size: 1024
    .name:           _ZN7rocprim17ROCPRIM_400000_NS6detail17trampoline_kernelINS0_14default_configENS1_35adjacent_difference_config_selectorILb0EiEEZNS1_24adjacent_difference_implIS3_Lb0ELb0EPKiPiN6thrust23THRUST_200600_302600_NS4plusIiEEEE10hipError_tPvRmT2_T3_mT4_P12ihipStream_tbEUlT_E_NS1_11comp_targetILNS1_3genE8ELNS1_11target_archE1030ELNS1_3gpuE2ELNS1_3repE0EEENS1_30default_config_static_selectorELNS0_4arch9wavefront6targetE1EEEvT1_
    .private_segment_fixed_size: 0
    .sgpr_count:     6
    .sgpr_spill_count: 0
    .symbol:         _ZN7rocprim17ROCPRIM_400000_NS6detail17trampoline_kernelINS0_14default_configENS1_35adjacent_difference_config_selectorILb0EiEEZNS1_24adjacent_difference_implIS3_Lb0ELb0EPKiPiN6thrust23THRUST_200600_302600_NS4plusIiEEEE10hipError_tPvRmT2_T3_mT4_P12ihipStream_tbEUlT_E_NS1_11comp_targetILNS1_3genE8ELNS1_11target_archE1030ELNS1_3gpuE2ELNS1_3repE0EEENS1_30default_config_static_selectorELNS0_4arch9wavefront6targetE1EEEvT1_.kd
    .uniform_work_group_size: 1
    .uses_dynamic_stack: false
    .vgpr_count:     0
    .vgpr_spill_count: 0
    .wavefront_size: 64
  - .agpr_count:     0
    .args:
      - .offset:         0
        .size:           56
        .value_kind:     by_value
    .group_segment_fixed_size: 0
    .kernarg_segment_align: 8
    .kernarg_segment_size: 56
    .language:       OpenCL C
    .language_version:
      - 2
      - 0
    .max_flat_workgroup_size: 128
    .name:           _ZN7rocprim17ROCPRIM_400000_NS6detail17trampoline_kernelINS0_14default_configENS1_25transform_config_selectorIiLb0EEEZNS1_14transform_implILb0ES3_S5_NS0_18transform_iteratorINS0_17counting_iteratorImlEEZNS1_24adjacent_difference_implIS3_Lb1ELb0EPKiPiN6thrust23THRUST_200600_302600_NS4plusIiEEEE10hipError_tPvRmT2_T3_mT4_P12ihipStream_tbEUlmE_iEESD_NS0_8identityIvEEEESI_SL_SM_mSN_SP_bEUlT_E_NS1_11comp_targetILNS1_3genE0ELNS1_11target_archE4294967295ELNS1_3gpuE0ELNS1_3repE0EEENS1_30default_config_static_selectorELNS0_4arch9wavefront6targetE1EEEvT1_
    .private_segment_fixed_size: 0
    .sgpr_count:     6
    .sgpr_spill_count: 0
    .symbol:         _ZN7rocprim17ROCPRIM_400000_NS6detail17trampoline_kernelINS0_14default_configENS1_25transform_config_selectorIiLb0EEEZNS1_14transform_implILb0ES3_S5_NS0_18transform_iteratorINS0_17counting_iteratorImlEEZNS1_24adjacent_difference_implIS3_Lb1ELb0EPKiPiN6thrust23THRUST_200600_302600_NS4plusIiEEEE10hipError_tPvRmT2_T3_mT4_P12ihipStream_tbEUlmE_iEESD_NS0_8identityIvEEEESI_SL_SM_mSN_SP_bEUlT_E_NS1_11comp_targetILNS1_3genE0ELNS1_11target_archE4294967295ELNS1_3gpuE0ELNS1_3repE0EEENS1_30default_config_static_selectorELNS0_4arch9wavefront6targetE1EEEvT1_.kd
    .uniform_work_group_size: 1
    .uses_dynamic_stack: false
    .vgpr_count:     0
    .vgpr_spill_count: 0
    .wavefront_size: 64
  - .agpr_count:     0
    .args:
      - .offset:         0
        .size:           56
        .value_kind:     by_value
      - .offset:         56
        .size:           4
        .value_kind:     hidden_block_count_x
      - .offset:         60
        .size:           4
        .value_kind:     hidden_block_count_y
      - .offset:         64
        .size:           4
        .value_kind:     hidden_block_count_z
      - .offset:         68
        .size:           2
        .value_kind:     hidden_group_size_x
      - .offset:         70
        .size:           2
        .value_kind:     hidden_group_size_y
      - .offset:         72
        .size:           2
        .value_kind:     hidden_group_size_z
      - .offset:         74
        .size:           2
        .value_kind:     hidden_remainder_x
      - .offset:         76
        .size:           2
        .value_kind:     hidden_remainder_y
      - .offset:         78
        .size:           2
        .value_kind:     hidden_remainder_z
      - .offset:         96
        .size:           8
        .value_kind:     hidden_global_offset_x
      - .offset:         104
        .size:           8
        .value_kind:     hidden_global_offset_y
      - .offset:         112
        .size:           8
        .value_kind:     hidden_global_offset_z
      - .offset:         120
        .size:           2
        .value_kind:     hidden_grid_dims
    .group_segment_fixed_size: 0
    .kernarg_segment_align: 8
    .kernarg_segment_size: 312
    .language:       OpenCL C
    .language_version:
      - 2
      - 0
    .max_flat_workgroup_size: 512
    .name:           _ZN7rocprim17ROCPRIM_400000_NS6detail17trampoline_kernelINS0_14default_configENS1_25transform_config_selectorIiLb0EEEZNS1_14transform_implILb0ES3_S5_NS0_18transform_iteratorINS0_17counting_iteratorImlEEZNS1_24adjacent_difference_implIS3_Lb1ELb0EPKiPiN6thrust23THRUST_200600_302600_NS4plusIiEEEE10hipError_tPvRmT2_T3_mT4_P12ihipStream_tbEUlmE_iEESD_NS0_8identityIvEEEESI_SL_SM_mSN_SP_bEUlT_E_NS1_11comp_targetILNS1_3genE5ELNS1_11target_archE942ELNS1_3gpuE9ELNS1_3repE0EEENS1_30default_config_static_selectorELNS0_4arch9wavefront6targetE1EEEvT1_
    .private_segment_fixed_size: 0
    .sgpr_count:     28
    .sgpr_spill_count: 0
    .symbol:         _ZN7rocprim17ROCPRIM_400000_NS6detail17trampoline_kernelINS0_14default_configENS1_25transform_config_selectorIiLb0EEEZNS1_14transform_implILb0ES3_S5_NS0_18transform_iteratorINS0_17counting_iteratorImlEEZNS1_24adjacent_difference_implIS3_Lb1ELb0EPKiPiN6thrust23THRUST_200600_302600_NS4plusIiEEEE10hipError_tPvRmT2_T3_mT4_P12ihipStream_tbEUlmE_iEESD_NS0_8identityIvEEEESI_SL_SM_mSN_SP_bEUlT_E_NS1_11comp_targetILNS1_3genE5ELNS1_11target_archE942ELNS1_3gpuE9ELNS1_3repE0EEENS1_30default_config_static_selectorELNS0_4arch9wavefront6targetE1EEEvT1_.kd
    .uniform_work_group_size: 1
    .uses_dynamic_stack: false
    .vgpr_count:     13
    .vgpr_spill_count: 0
    .wavefront_size: 64
  - .agpr_count:     0
    .args:
      - .offset:         0
        .size:           56
        .value_kind:     by_value
    .group_segment_fixed_size: 0
    .kernarg_segment_align: 8
    .kernarg_segment_size: 56
    .language:       OpenCL C
    .language_version:
      - 2
      - 0
    .max_flat_workgroup_size: 1024
    .name:           _ZN7rocprim17ROCPRIM_400000_NS6detail17trampoline_kernelINS0_14default_configENS1_25transform_config_selectorIiLb0EEEZNS1_14transform_implILb0ES3_S5_NS0_18transform_iteratorINS0_17counting_iteratorImlEEZNS1_24adjacent_difference_implIS3_Lb1ELb0EPKiPiN6thrust23THRUST_200600_302600_NS4plusIiEEEE10hipError_tPvRmT2_T3_mT4_P12ihipStream_tbEUlmE_iEESD_NS0_8identityIvEEEESI_SL_SM_mSN_SP_bEUlT_E_NS1_11comp_targetILNS1_3genE4ELNS1_11target_archE910ELNS1_3gpuE8ELNS1_3repE0EEENS1_30default_config_static_selectorELNS0_4arch9wavefront6targetE1EEEvT1_
    .private_segment_fixed_size: 0
    .sgpr_count:     6
    .sgpr_spill_count: 0
    .symbol:         _ZN7rocprim17ROCPRIM_400000_NS6detail17trampoline_kernelINS0_14default_configENS1_25transform_config_selectorIiLb0EEEZNS1_14transform_implILb0ES3_S5_NS0_18transform_iteratorINS0_17counting_iteratorImlEEZNS1_24adjacent_difference_implIS3_Lb1ELb0EPKiPiN6thrust23THRUST_200600_302600_NS4plusIiEEEE10hipError_tPvRmT2_T3_mT4_P12ihipStream_tbEUlmE_iEESD_NS0_8identityIvEEEESI_SL_SM_mSN_SP_bEUlT_E_NS1_11comp_targetILNS1_3genE4ELNS1_11target_archE910ELNS1_3gpuE8ELNS1_3repE0EEENS1_30default_config_static_selectorELNS0_4arch9wavefront6targetE1EEEvT1_.kd
    .uniform_work_group_size: 1
    .uses_dynamic_stack: false
    .vgpr_count:     0
    .vgpr_spill_count: 0
    .wavefront_size: 64
  - .agpr_count:     0
    .args:
      - .offset:         0
        .size:           56
        .value_kind:     by_value
    .group_segment_fixed_size: 0
    .kernarg_segment_align: 8
    .kernarg_segment_size: 56
    .language:       OpenCL C
    .language_version:
      - 2
      - 0
    .max_flat_workgroup_size: 128
    .name:           _ZN7rocprim17ROCPRIM_400000_NS6detail17trampoline_kernelINS0_14default_configENS1_25transform_config_selectorIiLb0EEEZNS1_14transform_implILb0ES3_S5_NS0_18transform_iteratorINS0_17counting_iteratorImlEEZNS1_24adjacent_difference_implIS3_Lb1ELb0EPKiPiN6thrust23THRUST_200600_302600_NS4plusIiEEEE10hipError_tPvRmT2_T3_mT4_P12ihipStream_tbEUlmE_iEESD_NS0_8identityIvEEEESI_SL_SM_mSN_SP_bEUlT_E_NS1_11comp_targetILNS1_3genE3ELNS1_11target_archE908ELNS1_3gpuE7ELNS1_3repE0EEENS1_30default_config_static_selectorELNS0_4arch9wavefront6targetE1EEEvT1_
    .private_segment_fixed_size: 0
    .sgpr_count:     6
    .sgpr_spill_count: 0
    .symbol:         _ZN7rocprim17ROCPRIM_400000_NS6detail17trampoline_kernelINS0_14default_configENS1_25transform_config_selectorIiLb0EEEZNS1_14transform_implILb0ES3_S5_NS0_18transform_iteratorINS0_17counting_iteratorImlEEZNS1_24adjacent_difference_implIS3_Lb1ELb0EPKiPiN6thrust23THRUST_200600_302600_NS4plusIiEEEE10hipError_tPvRmT2_T3_mT4_P12ihipStream_tbEUlmE_iEESD_NS0_8identityIvEEEESI_SL_SM_mSN_SP_bEUlT_E_NS1_11comp_targetILNS1_3genE3ELNS1_11target_archE908ELNS1_3gpuE7ELNS1_3repE0EEENS1_30default_config_static_selectorELNS0_4arch9wavefront6targetE1EEEvT1_.kd
    .uniform_work_group_size: 1
    .uses_dynamic_stack: false
    .vgpr_count:     0
    .vgpr_spill_count: 0
    .wavefront_size: 64
  - .agpr_count:     0
    .args:
      - .offset:         0
        .size:           56
        .value_kind:     by_value
    .group_segment_fixed_size: 0
    .kernarg_segment_align: 8
    .kernarg_segment_size: 56
    .language:       OpenCL C
    .language_version:
      - 2
      - 0
    .max_flat_workgroup_size: 1024
    .name:           _ZN7rocprim17ROCPRIM_400000_NS6detail17trampoline_kernelINS0_14default_configENS1_25transform_config_selectorIiLb0EEEZNS1_14transform_implILb0ES3_S5_NS0_18transform_iteratorINS0_17counting_iteratorImlEEZNS1_24adjacent_difference_implIS3_Lb1ELb0EPKiPiN6thrust23THRUST_200600_302600_NS4plusIiEEEE10hipError_tPvRmT2_T3_mT4_P12ihipStream_tbEUlmE_iEESD_NS0_8identityIvEEEESI_SL_SM_mSN_SP_bEUlT_E_NS1_11comp_targetILNS1_3genE2ELNS1_11target_archE906ELNS1_3gpuE6ELNS1_3repE0EEENS1_30default_config_static_selectorELNS0_4arch9wavefront6targetE1EEEvT1_
    .private_segment_fixed_size: 0
    .sgpr_count:     6
    .sgpr_spill_count: 0
    .symbol:         _ZN7rocprim17ROCPRIM_400000_NS6detail17trampoline_kernelINS0_14default_configENS1_25transform_config_selectorIiLb0EEEZNS1_14transform_implILb0ES3_S5_NS0_18transform_iteratorINS0_17counting_iteratorImlEEZNS1_24adjacent_difference_implIS3_Lb1ELb0EPKiPiN6thrust23THRUST_200600_302600_NS4plusIiEEEE10hipError_tPvRmT2_T3_mT4_P12ihipStream_tbEUlmE_iEESD_NS0_8identityIvEEEESI_SL_SM_mSN_SP_bEUlT_E_NS1_11comp_targetILNS1_3genE2ELNS1_11target_archE906ELNS1_3gpuE6ELNS1_3repE0EEENS1_30default_config_static_selectorELNS0_4arch9wavefront6targetE1EEEvT1_.kd
    .uniform_work_group_size: 1
    .uses_dynamic_stack: false
    .vgpr_count:     0
    .vgpr_spill_count: 0
    .wavefront_size: 64
  - .agpr_count:     0
    .args:
      - .offset:         0
        .size:           56
        .value_kind:     by_value
    .group_segment_fixed_size: 0
    .kernarg_segment_align: 8
    .kernarg_segment_size: 56
    .language:       OpenCL C
    .language_version:
      - 2
      - 0
    .max_flat_workgroup_size: 1024
    .name:           _ZN7rocprim17ROCPRIM_400000_NS6detail17trampoline_kernelINS0_14default_configENS1_25transform_config_selectorIiLb0EEEZNS1_14transform_implILb0ES3_S5_NS0_18transform_iteratorINS0_17counting_iteratorImlEEZNS1_24adjacent_difference_implIS3_Lb1ELb0EPKiPiN6thrust23THRUST_200600_302600_NS4plusIiEEEE10hipError_tPvRmT2_T3_mT4_P12ihipStream_tbEUlmE_iEESD_NS0_8identityIvEEEESI_SL_SM_mSN_SP_bEUlT_E_NS1_11comp_targetILNS1_3genE10ELNS1_11target_archE1201ELNS1_3gpuE5ELNS1_3repE0EEENS1_30default_config_static_selectorELNS0_4arch9wavefront6targetE1EEEvT1_
    .private_segment_fixed_size: 0
    .sgpr_count:     6
    .sgpr_spill_count: 0
    .symbol:         _ZN7rocprim17ROCPRIM_400000_NS6detail17trampoline_kernelINS0_14default_configENS1_25transform_config_selectorIiLb0EEEZNS1_14transform_implILb0ES3_S5_NS0_18transform_iteratorINS0_17counting_iteratorImlEEZNS1_24adjacent_difference_implIS3_Lb1ELb0EPKiPiN6thrust23THRUST_200600_302600_NS4plusIiEEEE10hipError_tPvRmT2_T3_mT4_P12ihipStream_tbEUlmE_iEESD_NS0_8identityIvEEEESI_SL_SM_mSN_SP_bEUlT_E_NS1_11comp_targetILNS1_3genE10ELNS1_11target_archE1201ELNS1_3gpuE5ELNS1_3repE0EEENS1_30default_config_static_selectorELNS0_4arch9wavefront6targetE1EEEvT1_.kd
    .uniform_work_group_size: 1
    .uses_dynamic_stack: false
    .vgpr_count:     0
    .vgpr_spill_count: 0
    .wavefront_size: 64
  - .agpr_count:     0
    .args:
      - .offset:         0
        .size:           56
        .value_kind:     by_value
    .group_segment_fixed_size: 0
    .kernarg_segment_align: 8
    .kernarg_segment_size: 56
    .language:       OpenCL C
    .language_version:
      - 2
      - 0
    .max_flat_workgroup_size: 512
    .name:           _ZN7rocprim17ROCPRIM_400000_NS6detail17trampoline_kernelINS0_14default_configENS1_25transform_config_selectorIiLb0EEEZNS1_14transform_implILb0ES3_S5_NS0_18transform_iteratorINS0_17counting_iteratorImlEEZNS1_24adjacent_difference_implIS3_Lb1ELb0EPKiPiN6thrust23THRUST_200600_302600_NS4plusIiEEEE10hipError_tPvRmT2_T3_mT4_P12ihipStream_tbEUlmE_iEESD_NS0_8identityIvEEEESI_SL_SM_mSN_SP_bEUlT_E_NS1_11comp_targetILNS1_3genE10ELNS1_11target_archE1200ELNS1_3gpuE4ELNS1_3repE0EEENS1_30default_config_static_selectorELNS0_4arch9wavefront6targetE1EEEvT1_
    .private_segment_fixed_size: 0
    .sgpr_count:     6
    .sgpr_spill_count: 0
    .symbol:         _ZN7rocprim17ROCPRIM_400000_NS6detail17trampoline_kernelINS0_14default_configENS1_25transform_config_selectorIiLb0EEEZNS1_14transform_implILb0ES3_S5_NS0_18transform_iteratorINS0_17counting_iteratorImlEEZNS1_24adjacent_difference_implIS3_Lb1ELb0EPKiPiN6thrust23THRUST_200600_302600_NS4plusIiEEEE10hipError_tPvRmT2_T3_mT4_P12ihipStream_tbEUlmE_iEESD_NS0_8identityIvEEEESI_SL_SM_mSN_SP_bEUlT_E_NS1_11comp_targetILNS1_3genE10ELNS1_11target_archE1200ELNS1_3gpuE4ELNS1_3repE0EEENS1_30default_config_static_selectorELNS0_4arch9wavefront6targetE1EEEvT1_.kd
    .uniform_work_group_size: 1
    .uses_dynamic_stack: false
    .vgpr_count:     0
    .vgpr_spill_count: 0
    .wavefront_size: 64
  - .agpr_count:     0
    .args:
      - .offset:         0
        .size:           56
        .value_kind:     by_value
    .group_segment_fixed_size: 0
    .kernarg_segment_align: 8
    .kernarg_segment_size: 56
    .language:       OpenCL C
    .language_version:
      - 2
      - 0
    .max_flat_workgroup_size: 64
    .name:           _ZN7rocprim17ROCPRIM_400000_NS6detail17trampoline_kernelINS0_14default_configENS1_25transform_config_selectorIiLb0EEEZNS1_14transform_implILb0ES3_S5_NS0_18transform_iteratorINS0_17counting_iteratorImlEEZNS1_24adjacent_difference_implIS3_Lb1ELb0EPKiPiN6thrust23THRUST_200600_302600_NS4plusIiEEEE10hipError_tPvRmT2_T3_mT4_P12ihipStream_tbEUlmE_iEESD_NS0_8identityIvEEEESI_SL_SM_mSN_SP_bEUlT_E_NS1_11comp_targetILNS1_3genE9ELNS1_11target_archE1100ELNS1_3gpuE3ELNS1_3repE0EEENS1_30default_config_static_selectorELNS0_4arch9wavefront6targetE1EEEvT1_
    .private_segment_fixed_size: 0
    .sgpr_count:     6
    .sgpr_spill_count: 0
    .symbol:         _ZN7rocprim17ROCPRIM_400000_NS6detail17trampoline_kernelINS0_14default_configENS1_25transform_config_selectorIiLb0EEEZNS1_14transform_implILb0ES3_S5_NS0_18transform_iteratorINS0_17counting_iteratorImlEEZNS1_24adjacent_difference_implIS3_Lb1ELb0EPKiPiN6thrust23THRUST_200600_302600_NS4plusIiEEEE10hipError_tPvRmT2_T3_mT4_P12ihipStream_tbEUlmE_iEESD_NS0_8identityIvEEEESI_SL_SM_mSN_SP_bEUlT_E_NS1_11comp_targetILNS1_3genE9ELNS1_11target_archE1100ELNS1_3gpuE3ELNS1_3repE0EEENS1_30default_config_static_selectorELNS0_4arch9wavefront6targetE1EEEvT1_.kd
    .uniform_work_group_size: 1
    .uses_dynamic_stack: false
    .vgpr_count:     0
    .vgpr_spill_count: 0
    .wavefront_size: 64
  - .agpr_count:     0
    .args:
      - .offset:         0
        .size:           56
        .value_kind:     by_value
    .group_segment_fixed_size: 0
    .kernarg_segment_align: 8
    .kernarg_segment_size: 56
    .language:       OpenCL C
    .language_version:
      - 2
      - 0
    .max_flat_workgroup_size: 256
    .name:           _ZN7rocprim17ROCPRIM_400000_NS6detail17trampoline_kernelINS0_14default_configENS1_25transform_config_selectorIiLb0EEEZNS1_14transform_implILb0ES3_S5_NS0_18transform_iteratorINS0_17counting_iteratorImlEEZNS1_24adjacent_difference_implIS3_Lb1ELb0EPKiPiN6thrust23THRUST_200600_302600_NS4plusIiEEEE10hipError_tPvRmT2_T3_mT4_P12ihipStream_tbEUlmE_iEESD_NS0_8identityIvEEEESI_SL_SM_mSN_SP_bEUlT_E_NS1_11comp_targetILNS1_3genE8ELNS1_11target_archE1030ELNS1_3gpuE2ELNS1_3repE0EEENS1_30default_config_static_selectorELNS0_4arch9wavefront6targetE1EEEvT1_
    .private_segment_fixed_size: 0
    .sgpr_count:     6
    .sgpr_spill_count: 0
    .symbol:         _ZN7rocprim17ROCPRIM_400000_NS6detail17trampoline_kernelINS0_14default_configENS1_25transform_config_selectorIiLb0EEEZNS1_14transform_implILb0ES3_S5_NS0_18transform_iteratorINS0_17counting_iteratorImlEEZNS1_24adjacent_difference_implIS3_Lb1ELb0EPKiPiN6thrust23THRUST_200600_302600_NS4plusIiEEEE10hipError_tPvRmT2_T3_mT4_P12ihipStream_tbEUlmE_iEESD_NS0_8identityIvEEEESI_SL_SM_mSN_SP_bEUlT_E_NS1_11comp_targetILNS1_3genE8ELNS1_11target_archE1030ELNS1_3gpuE2ELNS1_3repE0EEENS1_30default_config_static_selectorELNS0_4arch9wavefront6targetE1EEEvT1_.kd
    .uniform_work_group_size: 1
    .uses_dynamic_stack: false
    .vgpr_count:     0
    .vgpr_spill_count: 0
    .wavefront_size: 64
  - .agpr_count:     0
    .args:
      - .offset:         0
        .size:           56
        .value_kind:     by_value
    .group_segment_fixed_size: 0
    .kernarg_segment_align: 8
    .kernarg_segment_size: 56
    .language:       OpenCL C
    .language_version:
      - 2
      - 0
    .max_flat_workgroup_size: 1024
    .name:           _ZN7rocprim17ROCPRIM_400000_NS6detail17trampoline_kernelINS0_14default_configENS1_35adjacent_difference_config_selectorILb1EiEEZNS1_24adjacent_difference_implIS3_Lb1ELb0EPKiPiN6thrust23THRUST_200600_302600_NS4plusIiEEEE10hipError_tPvRmT2_T3_mT4_P12ihipStream_tbEUlT_E_NS1_11comp_targetILNS1_3genE0ELNS1_11target_archE4294967295ELNS1_3gpuE0ELNS1_3repE0EEENS1_30default_config_static_selectorELNS0_4arch9wavefront6targetE1EEEvT1_
    .private_segment_fixed_size: 0
    .sgpr_count:     6
    .sgpr_spill_count: 0
    .symbol:         _ZN7rocprim17ROCPRIM_400000_NS6detail17trampoline_kernelINS0_14default_configENS1_35adjacent_difference_config_selectorILb1EiEEZNS1_24adjacent_difference_implIS3_Lb1ELb0EPKiPiN6thrust23THRUST_200600_302600_NS4plusIiEEEE10hipError_tPvRmT2_T3_mT4_P12ihipStream_tbEUlT_E_NS1_11comp_targetILNS1_3genE0ELNS1_11target_archE4294967295ELNS1_3gpuE0ELNS1_3repE0EEENS1_30default_config_static_selectorELNS0_4arch9wavefront6targetE1EEEvT1_.kd
    .uniform_work_group_size: 1
    .uses_dynamic_stack: false
    .vgpr_count:     0
    .vgpr_spill_count: 0
    .wavefront_size: 64
  - .agpr_count:     0
    .args:
      - .offset:         0
        .size:           56
        .value_kind:     by_value
    .group_segment_fixed_size: 0
    .kernarg_segment_align: 8
    .kernarg_segment_size: 56
    .language:       OpenCL C
    .language_version:
      - 2
      - 0
    .max_flat_workgroup_size: 32
    .name:           _ZN7rocprim17ROCPRIM_400000_NS6detail17trampoline_kernelINS0_14default_configENS1_35adjacent_difference_config_selectorILb1EiEEZNS1_24adjacent_difference_implIS3_Lb1ELb0EPKiPiN6thrust23THRUST_200600_302600_NS4plusIiEEEE10hipError_tPvRmT2_T3_mT4_P12ihipStream_tbEUlT_E_NS1_11comp_targetILNS1_3genE10ELNS1_11target_archE1201ELNS1_3gpuE5ELNS1_3repE0EEENS1_30default_config_static_selectorELNS0_4arch9wavefront6targetE1EEEvT1_
    .private_segment_fixed_size: 0
    .sgpr_count:     6
    .sgpr_spill_count: 0
    .symbol:         _ZN7rocprim17ROCPRIM_400000_NS6detail17trampoline_kernelINS0_14default_configENS1_35adjacent_difference_config_selectorILb1EiEEZNS1_24adjacent_difference_implIS3_Lb1ELb0EPKiPiN6thrust23THRUST_200600_302600_NS4plusIiEEEE10hipError_tPvRmT2_T3_mT4_P12ihipStream_tbEUlT_E_NS1_11comp_targetILNS1_3genE10ELNS1_11target_archE1201ELNS1_3gpuE5ELNS1_3repE0EEENS1_30default_config_static_selectorELNS0_4arch9wavefront6targetE1EEEvT1_.kd
    .uniform_work_group_size: 1
    .uses_dynamic_stack: false
    .vgpr_count:     0
    .vgpr_spill_count: 0
    .wavefront_size: 64
  - .agpr_count:     0
    .args:
      - .offset:         0
        .size:           56
        .value_kind:     by_value
    .group_segment_fixed_size: 10240
    .kernarg_segment_align: 8
    .kernarg_segment_size: 56
    .language:       OpenCL C
    .language_version:
      - 2
      - 0
    .max_flat_workgroup_size: 512
    .name:           _ZN7rocprim17ROCPRIM_400000_NS6detail17trampoline_kernelINS0_14default_configENS1_35adjacent_difference_config_selectorILb1EiEEZNS1_24adjacent_difference_implIS3_Lb1ELb0EPKiPiN6thrust23THRUST_200600_302600_NS4plusIiEEEE10hipError_tPvRmT2_T3_mT4_P12ihipStream_tbEUlT_E_NS1_11comp_targetILNS1_3genE5ELNS1_11target_archE942ELNS1_3gpuE9ELNS1_3repE0EEENS1_30default_config_static_selectorELNS0_4arch9wavefront6targetE1EEEvT1_
    .private_segment_fixed_size: 0
    .sgpr_count:     35
    .sgpr_spill_count: 0
    .symbol:         _ZN7rocprim17ROCPRIM_400000_NS6detail17trampoline_kernelINS0_14default_configENS1_35adjacent_difference_config_selectorILb1EiEEZNS1_24adjacent_difference_implIS3_Lb1ELb0EPKiPiN6thrust23THRUST_200600_302600_NS4plusIiEEEE10hipError_tPvRmT2_T3_mT4_P12ihipStream_tbEUlT_E_NS1_11comp_targetILNS1_3genE5ELNS1_11target_archE942ELNS1_3gpuE9ELNS1_3repE0EEENS1_30default_config_static_selectorELNS0_4arch9wavefront6targetE1EEEvT1_.kd
    .uniform_work_group_size: 1
    .uses_dynamic_stack: false
    .vgpr_count:     26
    .vgpr_spill_count: 0
    .wavefront_size: 64
  - .agpr_count:     0
    .args:
      - .offset:         0
        .size:           56
        .value_kind:     by_value
    .group_segment_fixed_size: 0
    .kernarg_segment_align: 8
    .kernarg_segment_size: 56
    .language:       OpenCL C
    .language_version:
      - 2
      - 0
    .max_flat_workgroup_size: 512
    .name:           _ZN7rocprim17ROCPRIM_400000_NS6detail17trampoline_kernelINS0_14default_configENS1_35adjacent_difference_config_selectorILb1EiEEZNS1_24adjacent_difference_implIS3_Lb1ELb0EPKiPiN6thrust23THRUST_200600_302600_NS4plusIiEEEE10hipError_tPvRmT2_T3_mT4_P12ihipStream_tbEUlT_E_NS1_11comp_targetILNS1_3genE4ELNS1_11target_archE910ELNS1_3gpuE8ELNS1_3repE0EEENS1_30default_config_static_selectorELNS0_4arch9wavefront6targetE1EEEvT1_
    .private_segment_fixed_size: 0
    .sgpr_count:     6
    .sgpr_spill_count: 0
    .symbol:         _ZN7rocprim17ROCPRIM_400000_NS6detail17trampoline_kernelINS0_14default_configENS1_35adjacent_difference_config_selectorILb1EiEEZNS1_24adjacent_difference_implIS3_Lb1ELb0EPKiPiN6thrust23THRUST_200600_302600_NS4plusIiEEEE10hipError_tPvRmT2_T3_mT4_P12ihipStream_tbEUlT_E_NS1_11comp_targetILNS1_3genE4ELNS1_11target_archE910ELNS1_3gpuE8ELNS1_3repE0EEENS1_30default_config_static_selectorELNS0_4arch9wavefront6targetE1EEEvT1_.kd
    .uniform_work_group_size: 1
    .uses_dynamic_stack: false
    .vgpr_count:     0
    .vgpr_spill_count: 0
    .wavefront_size: 64
  - .agpr_count:     0
    .args:
      - .offset:         0
        .size:           56
        .value_kind:     by_value
    .group_segment_fixed_size: 0
    .kernarg_segment_align: 8
    .kernarg_segment_size: 56
    .language:       OpenCL C
    .language_version:
      - 2
      - 0
    .max_flat_workgroup_size: 1024
    .name:           _ZN7rocprim17ROCPRIM_400000_NS6detail17trampoline_kernelINS0_14default_configENS1_35adjacent_difference_config_selectorILb1EiEEZNS1_24adjacent_difference_implIS3_Lb1ELb0EPKiPiN6thrust23THRUST_200600_302600_NS4plusIiEEEE10hipError_tPvRmT2_T3_mT4_P12ihipStream_tbEUlT_E_NS1_11comp_targetILNS1_3genE3ELNS1_11target_archE908ELNS1_3gpuE7ELNS1_3repE0EEENS1_30default_config_static_selectorELNS0_4arch9wavefront6targetE1EEEvT1_
    .private_segment_fixed_size: 0
    .sgpr_count:     6
    .sgpr_spill_count: 0
    .symbol:         _ZN7rocprim17ROCPRIM_400000_NS6detail17trampoline_kernelINS0_14default_configENS1_35adjacent_difference_config_selectorILb1EiEEZNS1_24adjacent_difference_implIS3_Lb1ELb0EPKiPiN6thrust23THRUST_200600_302600_NS4plusIiEEEE10hipError_tPvRmT2_T3_mT4_P12ihipStream_tbEUlT_E_NS1_11comp_targetILNS1_3genE3ELNS1_11target_archE908ELNS1_3gpuE7ELNS1_3repE0EEENS1_30default_config_static_selectorELNS0_4arch9wavefront6targetE1EEEvT1_.kd
    .uniform_work_group_size: 1
    .uses_dynamic_stack: false
    .vgpr_count:     0
    .vgpr_spill_count: 0
    .wavefront_size: 64
  - .agpr_count:     0
    .args:
      - .offset:         0
        .size:           56
        .value_kind:     by_value
    .group_segment_fixed_size: 0
    .kernarg_segment_align: 8
    .kernarg_segment_size: 56
    .language:       OpenCL C
    .language_version:
      - 2
      - 0
    .max_flat_workgroup_size: 256
    .name:           _ZN7rocprim17ROCPRIM_400000_NS6detail17trampoline_kernelINS0_14default_configENS1_35adjacent_difference_config_selectorILb1EiEEZNS1_24adjacent_difference_implIS3_Lb1ELb0EPKiPiN6thrust23THRUST_200600_302600_NS4plusIiEEEE10hipError_tPvRmT2_T3_mT4_P12ihipStream_tbEUlT_E_NS1_11comp_targetILNS1_3genE2ELNS1_11target_archE906ELNS1_3gpuE6ELNS1_3repE0EEENS1_30default_config_static_selectorELNS0_4arch9wavefront6targetE1EEEvT1_
    .private_segment_fixed_size: 0
    .sgpr_count:     6
    .sgpr_spill_count: 0
    .symbol:         _ZN7rocprim17ROCPRIM_400000_NS6detail17trampoline_kernelINS0_14default_configENS1_35adjacent_difference_config_selectorILb1EiEEZNS1_24adjacent_difference_implIS3_Lb1ELb0EPKiPiN6thrust23THRUST_200600_302600_NS4plusIiEEEE10hipError_tPvRmT2_T3_mT4_P12ihipStream_tbEUlT_E_NS1_11comp_targetILNS1_3genE2ELNS1_11target_archE906ELNS1_3gpuE6ELNS1_3repE0EEENS1_30default_config_static_selectorELNS0_4arch9wavefront6targetE1EEEvT1_.kd
    .uniform_work_group_size: 1
    .uses_dynamic_stack: false
    .vgpr_count:     0
    .vgpr_spill_count: 0
    .wavefront_size: 64
  - .agpr_count:     0
    .args:
      - .offset:         0
        .size:           56
        .value_kind:     by_value
    .group_segment_fixed_size: 0
    .kernarg_segment_align: 8
    .kernarg_segment_size: 56
    .language:       OpenCL C
    .language_version:
      - 2
      - 0
    .max_flat_workgroup_size: 128
    .name:           _ZN7rocprim17ROCPRIM_400000_NS6detail17trampoline_kernelINS0_14default_configENS1_35adjacent_difference_config_selectorILb1EiEEZNS1_24adjacent_difference_implIS3_Lb1ELb0EPKiPiN6thrust23THRUST_200600_302600_NS4plusIiEEEE10hipError_tPvRmT2_T3_mT4_P12ihipStream_tbEUlT_E_NS1_11comp_targetILNS1_3genE9ELNS1_11target_archE1100ELNS1_3gpuE3ELNS1_3repE0EEENS1_30default_config_static_selectorELNS0_4arch9wavefront6targetE1EEEvT1_
    .private_segment_fixed_size: 0
    .sgpr_count:     6
    .sgpr_spill_count: 0
    .symbol:         _ZN7rocprim17ROCPRIM_400000_NS6detail17trampoline_kernelINS0_14default_configENS1_35adjacent_difference_config_selectorILb1EiEEZNS1_24adjacent_difference_implIS3_Lb1ELb0EPKiPiN6thrust23THRUST_200600_302600_NS4plusIiEEEE10hipError_tPvRmT2_T3_mT4_P12ihipStream_tbEUlT_E_NS1_11comp_targetILNS1_3genE9ELNS1_11target_archE1100ELNS1_3gpuE3ELNS1_3repE0EEENS1_30default_config_static_selectorELNS0_4arch9wavefront6targetE1EEEvT1_.kd
    .uniform_work_group_size: 1
    .uses_dynamic_stack: false
    .vgpr_count:     0
    .vgpr_spill_count: 0
    .wavefront_size: 64
  - .agpr_count:     0
    .args:
      - .offset:         0
        .size:           56
        .value_kind:     by_value
    .group_segment_fixed_size: 0
    .kernarg_segment_align: 8
    .kernarg_segment_size: 56
    .language:       OpenCL C
    .language_version:
      - 2
      - 0
    .max_flat_workgroup_size: 32
    .name:           _ZN7rocprim17ROCPRIM_400000_NS6detail17trampoline_kernelINS0_14default_configENS1_35adjacent_difference_config_selectorILb1EiEEZNS1_24adjacent_difference_implIS3_Lb1ELb0EPKiPiN6thrust23THRUST_200600_302600_NS4plusIiEEEE10hipError_tPvRmT2_T3_mT4_P12ihipStream_tbEUlT_E_NS1_11comp_targetILNS1_3genE8ELNS1_11target_archE1030ELNS1_3gpuE2ELNS1_3repE0EEENS1_30default_config_static_selectorELNS0_4arch9wavefront6targetE1EEEvT1_
    .private_segment_fixed_size: 0
    .sgpr_count:     6
    .sgpr_spill_count: 0
    .symbol:         _ZN7rocprim17ROCPRIM_400000_NS6detail17trampoline_kernelINS0_14default_configENS1_35adjacent_difference_config_selectorILb1EiEEZNS1_24adjacent_difference_implIS3_Lb1ELb0EPKiPiN6thrust23THRUST_200600_302600_NS4plusIiEEEE10hipError_tPvRmT2_T3_mT4_P12ihipStream_tbEUlT_E_NS1_11comp_targetILNS1_3genE8ELNS1_11target_archE1030ELNS1_3gpuE2ELNS1_3repE0EEENS1_30default_config_static_selectorELNS0_4arch9wavefront6targetE1EEEvT1_.kd
    .uniform_work_group_size: 1
    .uses_dynamic_stack: false
    .vgpr_count:     0
    .vgpr_spill_count: 0
    .wavefront_size: 64
  - .agpr_count:     0
    .args:
      - .offset:         0
        .size:           56
        .value_kind:     by_value
    .group_segment_fixed_size: 0
    .kernarg_segment_align: 8
    .kernarg_segment_size: 56
    .language:       OpenCL C
    .language_version:
      - 2
      - 0
    .max_flat_workgroup_size: 128
    .name:           _ZN7rocprim17ROCPRIM_400000_NS6detail17trampoline_kernelINS0_14default_configENS1_35adjacent_difference_config_selectorILb0EjEEZNS1_24adjacent_difference_implIS3_Lb0ELb0EPKjPjN6thrust23THRUST_200600_302600_NS4plusIjEEEE10hipError_tPvRmT2_T3_mT4_P12ihipStream_tbEUlT_E_NS1_11comp_targetILNS1_3genE0ELNS1_11target_archE4294967295ELNS1_3gpuE0ELNS1_3repE0EEENS1_30default_config_static_selectorELNS0_4arch9wavefront6targetE1EEEvT1_
    .private_segment_fixed_size: 0
    .sgpr_count:     6
    .sgpr_spill_count: 0
    .symbol:         _ZN7rocprim17ROCPRIM_400000_NS6detail17trampoline_kernelINS0_14default_configENS1_35adjacent_difference_config_selectorILb0EjEEZNS1_24adjacent_difference_implIS3_Lb0ELb0EPKjPjN6thrust23THRUST_200600_302600_NS4plusIjEEEE10hipError_tPvRmT2_T3_mT4_P12ihipStream_tbEUlT_E_NS1_11comp_targetILNS1_3genE0ELNS1_11target_archE4294967295ELNS1_3gpuE0ELNS1_3repE0EEENS1_30default_config_static_selectorELNS0_4arch9wavefront6targetE1EEEvT1_.kd
    .uniform_work_group_size: 1
    .uses_dynamic_stack: false
    .vgpr_count:     0
    .vgpr_spill_count: 0
    .wavefront_size: 64
  - .agpr_count:     0
    .args:
      - .offset:         0
        .size:           56
        .value_kind:     by_value
    .group_segment_fixed_size: 0
    .kernarg_segment_align: 8
    .kernarg_segment_size: 56
    .language:       OpenCL C
    .language_version:
      - 2
      - 0
    .max_flat_workgroup_size: 128
    .name:           _ZN7rocprim17ROCPRIM_400000_NS6detail17trampoline_kernelINS0_14default_configENS1_35adjacent_difference_config_selectorILb0EjEEZNS1_24adjacent_difference_implIS3_Lb0ELb0EPKjPjN6thrust23THRUST_200600_302600_NS4plusIjEEEE10hipError_tPvRmT2_T3_mT4_P12ihipStream_tbEUlT_E_NS1_11comp_targetILNS1_3genE10ELNS1_11target_archE1201ELNS1_3gpuE5ELNS1_3repE0EEENS1_30default_config_static_selectorELNS0_4arch9wavefront6targetE1EEEvT1_
    .private_segment_fixed_size: 0
    .sgpr_count:     6
    .sgpr_spill_count: 0
    .symbol:         _ZN7rocprim17ROCPRIM_400000_NS6detail17trampoline_kernelINS0_14default_configENS1_35adjacent_difference_config_selectorILb0EjEEZNS1_24adjacent_difference_implIS3_Lb0ELb0EPKjPjN6thrust23THRUST_200600_302600_NS4plusIjEEEE10hipError_tPvRmT2_T3_mT4_P12ihipStream_tbEUlT_E_NS1_11comp_targetILNS1_3genE10ELNS1_11target_archE1201ELNS1_3gpuE5ELNS1_3repE0EEENS1_30default_config_static_selectorELNS0_4arch9wavefront6targetE1EEEvT1_.kd
    .uniform_work_group_size: 1
    .uses_dynamic_stack: false
    .vgpr_count:     0
    .vgpr_spill_count: 0
    .wavefront_size: 64
  - .agpr_count:     0
    .args:
      - .offset:         0
        .size:           56
        .value_kind:     by_value
    .group_segment_fixed_size: 7424
    .kernarg_segment_align: 8
    .kernarg_segment_size: 56
    .language:       OpenCL C
    .language_version:
      - 2
      - 0
    .max_flat_workgroup_size: 64
    .name:           _ZN7rocprim17ROCPRIM_400000_NS6detail17trampoline_kernelINS0_14default_configENS1_35adjacent_difference_config_selectorILb0EjEEZNS1_24adjacent_difference_implIS3_Lb0ELb0EPKjPjN6thrust23THRUST_200600_302600_NS4plusIjEEEE10hipError_tPvRmT2_T3_mT4_P12ihipStream_tbEUlT_E_NS1_11comp_targetILNS1_3genE5ELNS1_11target_archE942ELNS1_3gpuE9ELNS1_3repE0EEENS1_30default_config_static_selectorELNS0_4arch9wavefront6targetE1EEEvT1_
    .private_segment_fixed_size: 0
    .sgpr_count:     29
    .sgpr_spill_count: 0
    .symbol:         _ZN7rocprim17ROCPRIM_400000_NS6detail17trampoline_kernelINS0_14default_configENS1_35adjacent_difference_config_selectorILb0EjEEZNS1_24adjacent_difference_implIS3_Lb0ELb0EPKjPjN6thrust23THRUST_200600_302600_NS4plusIjEEEE10hipError_tPvRmT2_T3_mT4_P12ihipStream_tbEUlT_E_NS1_11comp_targetILNS1_3genE5ELNS1_11target_archE942ELNS1_3gpuE9ELNS1_3repE0EEENS1_30default_config_static_selectorELNS0_4arch9wavefront6targetE1EEEvT1_.kd
    .uniform_work_group_size: 1
    .uses_dynamic_stack: false
    .vgpr_count:     64
    .vgpr_spill_count: 0
    .wavefront_size: 64
  - .agpr_count:     0
    .args:
      - .offset:         0
        .size:           56
        .value_kind:     by_value
    .group_segment_fixed_size: 0
    .kernarg_segment_align: 8
    .kernarg_segment_size: 56
    .language:       OpenCL C
    .language_version:
      - 2
      - 0
    .max_flat_workgroup_size: 512
    .name:           _ZN7rocprim17ROCPRIM_400000_NS6detail17trampoline_kernelINS0_14default_configENS1_35adjacent_difference_config_selectorILb0EjEEZNS1_24adjacent_difference_implIS3_Lb0ELb0EPKjPjN6thrust23THRUST_200600_302600_NS4plusIjEEEE10hipError_tPvRmT2_T3_mT4_P12ihipStream_tbEUlT_E_NS1_11comp_targetILNS1_3genE4ELNS1_11target_archE910ELNS1_3gpuE8ELNS1_3repE0EEENS1_30default_config_static_selectorELNS0_4arch9wavefront6targetE1EEEvT1_
    .private_segment_fixed_size: 0
    .sgpr_count:     6
    .sgpr_spill_count: 0
    .symbol:         _ZN7rocprim17ROCPRIM_400000_NS6detail17trampoline_kernelINS0_14default_configENS1_35adjacent_difference_config_selectorILb0EjEEZNS1_24adjacent_difference_implIS3_Lb0ELb0EPKjPjN6thrust23THRUST_200600_302600_NS4plusIjEEEE10hipError_tPvRmT2_T3_mT4_P12ihipStream_tbEUlT_E_NS1_11comp_targetILNS1_3genE4ELNS1_11target_archE910ELNS1_3gpuE8ELNS1_3repE0EEENS1_30default_config_static_selectorELNS0_4arch9wavefront6targetE1EEEvT1_.kd
    .uniform_work_group_size: 1
    .uses_dynamic_stack: false
    .vgpr_count:     0
    .vgpr_spill_count: 0
    .wavefront_size: 64
  - .agpr_count:     0
    .args:
      - .offset:         0
        .size:           56
        .value_kind:     by_value
    .group_segment_fixed_size: 0
    .kernarg_segment_align: 8
    .kernarg_segment_size: 56
    .language:       OpenCL C
    .language_version:
      - 2
      - 0
    .max_flat_workgroup_size: 128
    .name:           _ZN7rocprim17ROCPRIM_400000_NS6detail17trampoline_kernelINS0_14default_configENS1_35adjacent_difference_config_selectorILb0EjEEZNS1_24adjacent_difference_implIS3_Lb0ELb0EPKjPjN6thrust23THRUST_200600_302600_NS4plusIjEEEE10hipError_tPvRmT2_T3_mT4_P12ihipStream_tbEUlT_E_NS1_11comp_targetILNS1_3genE3ELNS1_11target_archE908ELNS1_3gpuE7ELNS1_3repE0EEENS1_30default_config_static_selectorELNS0_4arch9wavefront6targetE1EEEvT1_
    .private_segment_fixed_size: 0
    .sgpr_count:     6
    .sgpr_spill_count: 0
    .symbol:         _ZN7rocprim17ROCPRIM_400000_NS6detail17trampoline_kernelINS0_14default_configENS1_35adjacent_difference_config_selectorILb0EjEEZNS1_24adjacent_difference_implIS3_Lb0ELb0EPKjPjN6thrust23THRUST_200600_302600_NS4plusIjEEEE10hipError_tPvRmT2_T3_mT4_P12ihipStream_tbEUlT_E_NS1_11comp_targetILNS1_3genE3ELNS1_11target_archE908ELNS1_3gpuE7ELNS1_3repE0EEENS1_30default_config_static_selectorELNS0_4arch9wavefront6targetE1EEEvT1_.kd
    .uniform_work_group_size: 1
    .uses_dynamic_stack: false
    .vgpr_count:     0
    .vgpr_spill_count: 0
    .wavefront_size: 64
  - .agpr_count:     0
    .args:
      - .offset:         0
        .size:           56
        .value_kind:     by_value
    .group_segment_fixed_size: 0
    .kernarg_segment_align: 8
    .kernarg_segment_size: 56
    .language:       OpenCL C
    .language_version:
      - 2
      - 0
    .max_flat_workgroup_size: 1024
    .name:           _ZN7rocprim17ROCPRIM_400000_NS6detail17trampoline_kernelINS0_14default_configENS1_35adjacent_difference_config_selectorILb0EjEEZNS1_24adjacent_difference_implIS3_Lb0ELb0EPKjPjN6thrust23THRUST_200600_302600_NS4plusIjEEEE10hipError_tPvRmT2_T3_mT4_P12ihipStream_tbEUlT_E_NS1_11comp_targetILNS1_3genE2ELNS1_11target_archE906ELNS1_3gpuE6ELNS1_3repE0EEENS1_30default_config_static_selectorELNS0_4arch9wavefront6targetE1EEEvT1_
    .private_segment_fixed_size: 0
    .sgpr_count:     6
    .sgpr_spill_count: 0
    .symbol:         _ZN7rocprim17ROCPRIM_400000_NS6detail17trampoline_kernelINS0_14default_configENS1_35adjacent_difference_config_selectorILb0EjEEZNS1_24adjacent_difference_implIS3_Lb0ELb0EPKjPjN6thrust23THRUST_200600_302600_NS4plusIjEEEE10hipError_tPvRmT2_T3_mT4_P12ihipStream_tbEUlT_E_NS1_11comp_targetILNS1_3genE2ELNS1_11target_archE906ELNS1_3gpuE6ELNS1_3repE0EEENS1_30default_config_static_selectorELNS0_4arch9wavefront6targetE1EEEvT1_.kd
    .uniform_work_group_size: 1
    .uses_dynamic_stack: false
    .vgpr_count:     0
    .vgpr_spill_count: 0
    .wavefront_size: 64
  - .agpr_count:     0
    .args:
      - .offset:         0
        .size:           56
        .value_kind:     by_value
    .group_segment_fixed_size: 0
    .kernarg_segment_align: 8
    .kernarg_segment_size: 56
    .language:       OpenCL C
    .language_version:
      - 2
      - 0
    .max_flat_workgroup_size: 1024
    .name:           _ZN7rocprim17ROCPRIM_400000_NS6detail17trampoline_kernelINS0_14default_configENS1_35adjacent_difference_config_selectorILb0EjEEZNS1_24adjacent_difference_implIS3_Lb0ELb0EPKjPjN6thrust23THRUST_200600_302600_NS4plusIjEEEE10hipError_tPvRmT2_T3_mT4_P12ihipStream_tbEUlT_E_NS1_11comp_targetILNS1_3genE9ELNS1_11target_archE1100ELNS1_3gpuE3ELNS1_3repE0EEENS1_30default_config_static_selectorELNS0_4arch9wavefront6targetE1EEEvT1_
    .private_segment_fixed_size: 0
    .sgpr_count:     6
    .sgpr_spill_count: 0
    .symbol:         _ZN7rocprim17ROCPRIM_400000_NS6detail17trampoline_kernelINS0_14default_configENS1_35adjacent_difference_config_selectorILb0EjEEZNS1_24adjacent_difference_implIS3_Lb0ELb0EPKjPjN6thrust23THRUST_200600_302600_NS4plusIjEEEE10hipError_tPvRmT2_T3_mT4_P12ihipStream_tbEUlT_E_NS1_11comp_targetILNS1_3genE9ELNS1_11target_archE1100ELNS1_3gpuE3ELNS1_3repE0EEENS1_30default_config_static_selectorELNS0_4arch9wavefront6targetE1EEEvT1_.kd
    .uniform_work_group_size: 1
    .uses_dynamic_stack: false
    .vgpr_count:     0
    .vgpr_spill_count: 0
    .wavefront_size: 64
  - .agpr_count:     0
    .args:
      - .offset:         0
        .size:           56
        .value_kind:     by_value
    .group_segment_fixed_size: 0
    .kernarg_segment_align: 8
    .kernarg_segment_size: 56
    .language:       OpenCL C
    .language_version:
      - 2
      - 0
    .max_flat_workgroup_size: 1024
    .name:           _ZN7rocprim17ROCPRIM_400000_NS6detail17trampoline_kernelINS0_14default_configENS1_35adjacent_difference_config_selectorILb0EjEEZNS1_24adjacent_difference_implIS3_Lb0ELb0EPKjPjN6thrust23THRUST_200600_302600_NS4plusIjEEEE10hipError_tPvRmT2_T3_mT4_P12ihipStream_tbEUlT_E_NS1_11comp_targetILNS1_3genE8ELNS1_11target_archE1030ELNS1_3gpuE2ELNS1_3repE0EEENS1_30default_config_static_selectorELNS0_4arch9wavefront6targetE1EEEvT1_
    .private_segment_fixed_size: 0
    .sgpr_count:     6
    .sgpr_spill_count: 0
    .symbol:         _ZN7rocprim17ROCPRIM_400000_NS6detail17trampoline_kernelINS0_14default_configENS1_35adjacent_difference_config_selectorILb0EjEEZNS1_24adjacent_difference_implIS3_Lb0ELb0EPKjPjN6thrust23THRUST_200600_302600_NS4plusIjEEEE10hipError_tPvRmT2_T3_mT4_P12ihipStream_tbEUlT_E_NS1_11comp_targetILNS1_3genE8ELNS1_11target_archE1030ELNS1_3gpuE2ELNS1_3repE0EEENS1_30default_config_static_selectorELNS0_4arch9wavefront6targetE1EEEvT1_.kd
    .uniform_work_group_size: 1
    .uses_dynamic_stack: false
    .vgpr_count:     0
    .vgpr_spill_count: 0
    .wavefront_size: 64
  - .agpr_count:     0
    .args:
      - .offset:         0
        .size:           56
        .value_kind:     by_value
    .group_segment_fixed_size: 0
    .kernarg_segment_align: 8
    .kernarg_segment_size: 56
    .language:       OpenCL C
    .language_version:
      - 2
      - 0
    .max_flat_workgroup_size: 128
    .name:           _ZN7rocprim17ROCPRIM_400000_NS6detail17trampoline_kernelINS0_14default_configENS1_25transform_config_selectorIjLb0EEEZNS1_14transform_implILb0ES3_S5_NS0_18transform_iteratorINS0_17counting_iteratorImlEEZNS1_24adjacent_difference_implIS3_Lb1ELb0EPKjPjN6thrust23THRUST_200600_302600_NS4plusIjEEEE10hipError_tPvRmT2_T3_mT4_P12ihipStream_tbEUlmE_jEESD_NS0_8identityIvEEEESI_SL_SM_mSN_SP_bEUlT_E_NS1_11comp_targetILNS1_3genE0ELNS1_11target_archE4294967295ELNS1_3gpuE0ELNS1_3repE0EEENS1_30default_config_static_selectorELNS0_4arch9wavefront6targetE1EEEvT1_
    .private_segment_fixed_size: 0
    .sgpr_count:     6
    .sgpr_spill_count: 0
    .symbol:         _ZN7rocprim17ROCPRIM_400000_NS6detail17trampoline_kernelINS0_14default_configENS1_25transform_config_selectorIjLb0EEEZNS1_14transform_implILb0ES3_S5_NS0_18transform_iteratorINS0_17counting_iteratorImlEEZNS1_24adjacent_difference_implIS3_Lb1ELb0EPKjPjN6thrust23THRUST_200600_302600_NS4plusIjEEEE10hipError_tPvRmT2_T3_mT4_P12ihipStream_tbEUlmE_jEESD_NS0_8identityIvEEEESI_SL_SM_mSN_SP_bEUlT_E_NS1_11comp_targetILNS1_3genE0ELNS1_11target_archE4294967295ELNS1_3gpuE0ELNS1_3repE0EEENS1_30default_config_static_selectorELNS0_4arch9wavefront6targetE1EEEvT1_.kd
    .uniform_work_group_size: 1
    .uses_dynamic_stack: false
    .vgpr_count:     0
    .vgpr_spill_count: 0
    .wavefront_size: 64
  - .agpr_count:     0
    .args:
      - .offset:         0
        .size:           56
        .value_kind:     by_value
      - .offset:         56
        .size:           4
        .value_kind:     hidden_block_count_x
      - .offset:         60
        .size:           4
        .value_kind:     hidden_block_count_y
      - .offset:         64
        .size:           4
        .value_kind:     hidden_block_count_z
      - .offset:         68
        .size:           2
        .value_kind:     hidden_group_size_x
      - .offset:         70
        .size:           2
        .value_kind:     hidden_group_size_y
      - .offset:         72
        .size:           2
        .value_kind:     hidden_group_size_z
      - .offset:         74
        .size:           2
        .value_kind:     hidden_remainder_x
      - .offset:         76
        .size:           2
        .value_kind:     hidden_remainder_y
      - .offset:         78
        .size:           2
        .value_kind:     hidden_remainder_z
      - .offset:         96
        .size:           8
        .value_kind:     hidden_global_offset_x
      - .offset:         104
        .size:           8
        .value_kind:     hidden_global_offset_y
      - .offset:         112
        .size:           8
        .value_kind:     hidden_global_offset_z
      - .offset:         120
        .size:           2
        .value_kind:     hidden_grid_dims
    .group_segment_fixed_size: 0
    .kernarg_segment_align: 8
    .kernarg_segment_size: 312
    .language:       OpenCL C
    .language_version:
      - 2
      - 0
    .max_flat_workgroup_size: 512
    .name:           _ZN7rocprim17ROCPRIM_400000_NS6detail17trampoline_kernelINS0_14default_configENS1_25transform_config_selectorIjLb0EEEZNS1_14transform_implILb0ES3_S5_NS0_18transform_iteratorINS0_17counting_iteratorImlEEZNS1_24adjacent_difference_implIS3_Lb1ELb0EPKjPjN6thrust23THRUST_200600_302600_NS4plusIjEEEE10hipError_tPvRmT2_T3_mT4_P12ihipStream_tbEUlmE_jEESD_NS0_8identityIvEEEESI_SL_SM_mSN_SP_bEUlT_E_NS1_11comp_targetILNS1_3genE5ELNS1_11target_archE942ELNS1_3gpuE9ELNS1_3repE0EEENS1_30default_config_static_selectorELNS0_4arch9wavefront6targetE1EEEvT1_
    .private_segment_fixed_size: 0
    .sgpr_count:     28
    .sgpr_spill_count: 0
    .symbol:         _ZN7rocprim17ROCPRIM_400000_NS6detail17trampoline_kernelINS0_14default_configENS1_25transform_config_selectorIjLb0EEEZNS1_14transform_implILb0ES3_S5_NS0_18transform_iteratorINS0_17counting_iteratorImlEEZNS1_24adjacent_difference_implIS3_Lb1ELb0EPKjPjN6thrust23THRUST_200600_302600_NS4plusIjEEEE10hipError_tPvRmT2_T3_mT4_P12ihipStream_tbEUlmE_jEESD_NS0_8identityIvEEEESI_SL_SM_mSN_SP_bEUlT_E_NS1_11comp_targetILNS1_3genE5ELNS1_11target_archE942ELNS1_3gpuE9ELNS1_3repE0EEENS1_30default_config_static_selectorELNS0_4arch9wavefront6targetE1EEEvT1_.kd
    .uniform_work_group_size: 1
    .uses_dynamic_stack: false
    .vgpr_count:     13
    .vgpr_spill_count: 0
    .wavefront_size: 64
  - .agpr_count:     0
    .args:
      - .offset:         0
        .size:           56
        .value_kind:     by_value
    .group_segment_fixed_size: 0
    .kernarg_segment_align: 8
    .kernarg_segment_size: 56
    .language:       OpenCL C
    .language_version:
      - 2
      - 0
    .max_flat_workgroup_size: 1024
    .name:           _ZN7rocprim17ROCPRIM_400000_NS6detail17trampoline_kernelINS0_14default_configENS1_25transform_config_selectorIjLb0EEEZNS1_14transform_implILb0ES3_S5_NS0_18transform_iteratorINS0_17counting_iteratorImlEEZNS1_24adjacent_difference_implIS3_Lb1ELb0EPKjPjN6thrust23THRUST_200600_302600_NS4plusIjEEEE10hipError_tPvRmT2_T3_mT4_P12ihipStream_tbEUlmE_jEESD_NS0_8identityIvEEEESI_SL_SM_mSN_SP_bEUlT_E_NS1_11comp_targetILNS1_3genE4ELNS1_11target_archE910ELNS1_3gpuE8ELNS1_3repE0EEENS1_30default_config_static_selectorELNS0_4arch9wavefront6targetE1EEEvT1_
    .private_segment_fixed_size: 0
    .sgpr_count:     6
    .sgpr_spill_count: 0
    .symbol:         _ZN7rocprim17ROCPRIM_400000_NS6detail17trampoline_kernelINS0_14default_configENS1_25transform_config_selectorIjLb0EEEZNS1_14transform_implILb0ES3_S5_NS0_18transform_iteratorINS0_17counting_iteratorImlEEZNS1_24adjacent_difference_implIS3_Lb1ELb0EPKjPjN6thrust23THRUST_200600_302600_NS4plusIjEEEE10hipError_tPvRmT2_T3_mT4_P12ihipStream_tbEUlmE_jEESD_NS0_8identityIvEEEESI_SL_SM_mSN_SP_bEUlT_E_NS1_11comp_targetILNS1_3genE4ELNS1_11target_archE910ELNS1_3gpuE8ELNS1_3repE0EEENS1_30default_config_static_selectorELNS0_4arch9wavefront6targetE1EEEvT1_.kd
    .uniform_work_group_size: 1
    .uses_dynamic_stack: false
    .vgpr_count:     0
    .vgpr_spill_count: 0
    .wavefront_size: 64
  - .agpr_count:     0
    .args:
      - .offset:         0
        .size:           56
        .value_kind:     by_value
    .group_segment_fixed_size: 0
    .kernarg_segment_align: 8
    .kernarg_segment_size: 56
    .language:       OpenCL C
    .language_version:
      - 2
      - 0
    .max_flat_workgroup_size: 128
    .name:           _ZN7rocprim17ROCPRIM_400000_NS6detail17trampoline_kernelINS0_14default_configENS1_25transform_config_selectorIjLb0EEEZNS1_14transform_implILb0ES3_S5_NS0_18transform_iteratorINS0_17counting_iteratorImlEEZNS1_24adjacent_difference_implIS3_Lb1ELb0EPKjPjN6thrust23THRUST_200600_302600_NS4plusIjEEEE10hipError_tPvRmT2_T3_mT4_P12ihipStream_tbEUlmE_jEESD_NS0_8identityIvEEEESI_SL_SM_mSN_SP_bEUlT_E_NS1_11comp_targetILNS1_3genE3ELNS1_11target_archE908ELNS1_3gpuE7ELNS1_3repE0EEENS1_30default_config_static_selectorELNS0_4arch9wavefront6targetE1EEEvT1_
    .private_segment_fixed_size: 0
    .sgpr_count:     6
    .sgpr_spill_count: 0
    .symbol:         _ZN7rocprim17ROCPRIM_400000_NS6detail17trampoline_kernelINS0_14default_configENS1_25transform_config_selectorIjLb0EEEZNS1_14transform_implILb0ES3_S5_NS0_18transform_iteratorINS0_17counting_iteratorImlEEZNS1_24adjacent_difference_implIS3_Lb1ELb0EPKjPjN6thrust23THRUST_200600_302600_NS4plusIjEEEE10hipError_tPvRmT2_T3_mT4_P12ihipStream_tbEUlmE_jEESD_NS0_8identityIvEEEESI_SL_SM_mSN_SP_bEUlT_E_NS1_11comp_targetILNS1_3genE3ELNS1_11target_archE908ELNS1_3gpuE7ELNS1_3repE0EEENS1_30default_config_static_selectorELNS0_4arch9wavefront6targetE1EEEvT1_.kd
    .uniform_work_group_size: 1
    .uses_dynamic_stack: false
    .vgpr_count:     0
    .vgpr_spill_count: 0
    .wavefront_size: 64
  - .agpr_count:     0
    .args:
      - .offset:         0
        .size:           56
        .value_kind:     by_value
    .group_segment_fixed_size: 0
    .kernarg_segment_align: 8
    .kernarg_segment_size: 56
    .language:       OpenCL C
    .language_version:
      - 2
      - 0
    .max_flat_workgroup_size: 1024
    .name:           _ZN7rocprim17ROCPRIM_400000_NS6detail17trampoline_kernelINS0_14default_configENS1_25transform_config_selectorIjLb0EEEZNS1_14transform_implILb0ES3_S5_NS0_18transform_iteratorINS0_17counting_iteratorImlEEZNS1_24adjacent_difference_implIS3_Lb1ELb0EPKjPjN6thrust23THRUST_200600_302600_NS4plusIjEEEE10hipError_tPvRmT2_T3_mT4_P12ihipStream_tbEUlmE_jEESD_NS0_8identityIvEEEESI_SL_SM_mSN_SP_bEUlT_E_NS1_11comp_targetILNS1_3genE2ELNS1_11target_archE906ELNS1_3gpuE6ELNS1_3repE0EEENS1_30default_config_static_selectorELNS0_4arch9wavefront6targetE1EEEvT1_
    .private_segment_fixed_size: 0
    .sgpr_count:     6
    .sgpr_spill_count: 0
    .symbol:         _ZN7rocprim17ROCPRIM_400000_NS6detail17trampoline_kernelINS0_14default_configENS1_25transform_config_selectorIjLb0EEEZNS1_14transform_implILb0ES3_S5_NS0_18transform_iteratorINS0_17counting_iteratorImlEEZNS1_24adjacent_difference_implIS3_Lb1ELb0EPKjPjN6thrust23THRUST_200600_302600_NS4plusIjEEEE10hipError_tPvRmT2_T3_mT4_P12ihipStream_tbEUlmE_jEESD_NS0_8identityIvEEEESI_SL_SM_mSN_SP_bEUlT_E_NS1_11comp_targetILNS1_3genE2ELNS1_11target_archE906ELNS1_3gpuE6ELNS1_3repE0EEENS1_30default_config_static_selectorELNS0_4arch9wavefront6targetE1EEEvT1_.kd
    .uniform_work_group_size: 1
    .uses_dynamic_stack: false
    .vgpr_count:     0
    .vgpr_spill_count: 0
    .wavefront_size: 64
  - .agpr_count:     0
    .args:
      - .offset:         0
        .size:           56
        .value_kind:     by_value
    .group_segment_fixed_size: 0
    .kernarg_segment_align: 8
    .kernarg_segment_size: 56
    .language:       OpenCL C
    .language_version:
      - 2
      - 0
    .max_flat_workgroup_size: 1024
    .name:           _ZN7rocprim17ROCPRIM_400000_NS6detail17trampoline_kernelINS0_14default_configENS1_25transform_config_selectorIjLb0EEEZNS1_14transform_implILb0ES3_S5_NS0_18transform_iteratorINS0_17counting_iteratorImlEEZNS1_24adjacent_difference_implIS3_Lb1ELb0EPKjPjN6thrust23THRUST_200600_302600_NS4plusIjEEEE10hipError_tPvRmT2_T3_mT4_P12ihipStream_tbEUlmE_jEESD_NS0_8identityIvEEEESI_SL_SM_mSN_SP_bEUlT_E_NS1_11comp_targetILNS1_3genE10ELNS1_11target_archE1201ELNS1_3gpuE5ELNS1_3repE0EEENS1_30default_config_static_selectorELNS0_4arch9wavefront6targetE1EEEvT1_
    .private_segment_fixed_size: 0
    .sgpr_count:     6
    .sgpr_spill_count: 0
    .symbol:         _ZN7rocprim17ROCPRIM_400000_NS6detail17trampoline_kernelINS0_14default_configENS1_25transform_config_selectorIjLb0EEEZNS1_14transform_implILb0ES3_S5_NS0_18transform_iteratorINS0_17counting_iteratorImlEEZNS1_24adjacent_difference_implIS3_Lb1ELb0EPKjPjN6thrust23THRUST_200600_302600_NS4plusIjEEEE10hipError_tPvRmT2_T3_mT4_P12ihipStream_tbEUlmE_jEESD_NS0_8identityIvEEEESI_SL_SM_mSN_SP_bEUlT_E_NS1_11comp_targetILNS1_3genE10ELNS1_11target_archE1201ELNS1_3gpuE5ELNS1_3repE0EEENS1_30default_config_static_selectorELNS0_4arch9wavefront6targetE1EEEvT1_.kd
    .uniform_work_group_size: 1
    .uses_dynamic_stack: false
    .vgpr_count:     0
    .vgpr_spill_count: 0
    .wavefront_size: 64
  - .agpr_count:     0
    .args:
      - .offset:         0
        .size:           56
        .value_kind:     by_value
    .group_segment_fixed_size: 0
    .kernarg_segment_align: 8
    .kernarg_segment_size: 56
    .language:       OpenCL C
    .language_version:
      - 2
      - 0
    .max_flat_workgroup_size: 512
    .name:           _ZN7rocprim17ROCPRIM_400000_NS6detail17trampoline_kernelINS0_14default_configENS1_25transform_config_selectorIjLb0EEEZNS1_14transform_implILb0ES3_S5_NS0_18transform_iteratorINS0_17counting_iteratorImlEEZNS1_24adjacent_difference_implIS3_Lb1ELb0EPKjPjN6thrust23THRUST_200600_302600_NS4plusIjEEEE10hipError_tPvRmT2_T3_mT4_P12ihipStream_tbEUlmE_jEESD_NS0_8identityIvEEEESI_SL_SM_mSN_SP_bEUlT_E_NS1_11comp_targetILNS1_3genE10ELNS1_11target_archE1200ELNS1_3gpuE4ELNS1_3repE0EEENS1_30default_config_static_selectorELNS0_4arch9wavefront6targetE1EEEvT1_
    .private_segment_fixed_size: 0
    .sgpr_count:     6
    .sgpr_spill_count: 0
    .symbol:         _ZN7rocprim17ROCPRIM_400000_NS6detail17trampoline_kernelINS0_14default_configENS1_25transform_config_selectorIjLb0EEEZNS1_14transform_implILb0ES3_S5_NS0_18transform_iteratorINS0_17counting_iteratorImlEEZNS1_24adjacent_difference_implIS3_Lb1ELb0EPKjPjN6thrust23THRUST_200600_302600_NS4plusIjEEEE10hipError_tPvRmT2_T3_mT4_P12ihipStream_tbEUlmE_jEESD_NS0_8identityIvEEEESI_SL_SM_mSN_SP_bEUlT_E_NS1_11comp_targetILNS1_3genE10ELNS1_11target_archE1200ELNS1_3gpuE4ELNS1_3repE0EEENS1_30default_config_static_selectorELNS0_4arch9wavefront6targetE1EEEvT1_.kd
    .uniform_work_group_size: 1
    .uses_dynamic_stack: false
    .vgpr_count:     0
    .vgpr_spill_count: 0
    .wavefront_size: 64
  - .agpr_count:     0
    .args:
      - .offset:         0
        .size:           56
        .value_kind:     by_value
    .group_segment_fixed_size: 0
    .kernarg_segment_align: 8
    .kernarg_segment_size: 56
    .language:       OpenCL C
    .language_version:
      - 2
      - 0
    .max_flat_workgroup_size: 64
    .name:           _ZN7rocprim17ROCPRIM_400000_NS6detail17trampoline_kernelINS0_14default_configENS1_25transform_config_selectorIjLb0EEEZNS1_14transform_implILb0ES3_S5_NS0_18transform_iteratorINS0_17counting_iteratorImlEEZNS1_24adjacent_difference_implIS3_Lb1ELb0EPKjPjN6thrust23THRUST_200600_302600_NS4plusIjEEEE10hipError_tPvRmT2_T3_mT4_P12ihipStream_tbEUlmE_jEESD_NS0_8identityIvEEEESI_SL_SM_mSN_SP_bEUlT_E_NS1_11comp_targetILNS1_3genE9ELNS1_11target_archE1100ELNS1_3gpuE3ELNS1_3repE0EEENS1_30default_config_static_selectorELNS0_4arch9wavefront6targetE1EEEvT1_
    .private_segment_fixed_size: 0
    .sgpr_count:     6
    .sgpr_spill_count: 0
    .symbol:         _ZN7rocprim17ROCPRIM_400000_NS6detail17trampoline_kernelINS0_14default_configENS1_25transform_config_selectorIjLb0EEEZNS1_14transform_implILb0ES3_S5_NS0_18transform_iteratorINS0_17counting_iteratorImlEEZNS1_24adjacent_difference_implIS3_Lb1ELb0EPKjPjN6thrust23THRUST_200600_302600_NS4plusIjEEEE10hipError_tPvRmT2_T3_mT4_P12ihipStream_tbEUlmE_jEESD_NS0_8identityIvEEEESI_SL_SM_mSN_SP_bEUlT_E_NS1_11comp_targetILNS1_3genE9ELNS1_11target_archE1100ELNS1_3gpuE3ELNS1_3repE0EEENS1_30default_config_static_selectorELNS0_4arch9wavefront6targetE1EEEvT1_.kd
    .uniform_work_group_size: 1
    .uses_dynamic_stack: false
    .vgpr_count:     0
    .vgpr_spill_count: 0
    .wavefront_size: 64
  - .agpr_count:     0
    .args:
      - .offset:         0
        .size:           56
        .value_kind:     by_value
    .group_segment_fixed_size: 0
    .kernarg_segment_align: 8
    .kernarg_segment_size: 56
    .language:       OpenCL C
    .language_version:
      - 2
      - 0
    .max_flat_workgroup_size: 256
    .name:           _ZN7rocprim17ROCPRIM_400000_NS6detail17trampoline_kernelINS0_14default_configENS1_25transform_config_selectorIjLb0EEEZNS1_14transform_implILb0ES3_S5_NS0_18transform_iteratorINS0_17counting_iteratorImlEEZNS1_24adjacent_difference_implIS3_Lb1ELb0EPKjPjN6thrust23THRUST_200600_302600_NS4plusIjEEEE10hipError_tPvRmT2_T3_mT4_P12ihipStream_tbEUlmE_jEESD_NS0_8identityIvEEEESI_SL_SM_mSN_SP_bEUlT_E_NS1_11comp_targetILNS1_3genE8ELNS1_11target_archE1030ELNS1_3gpuE2ELNS1_3repE0EEENS1_30default_config_static_selectorELNS0_4arch9wavefront6targetE1EEEvT1_
    .private_segment_fixed_size: 0
    .sgpr_count:     6
    .sgpr_spill_count: 0
    .symbol:         _ZN7rocprim17ROCPRIM_400000_NS6detail17trampoline_kernelINS0_14default_configENS1_25transform_config_selectorIjLb0EEEZNS1_14transform_implILb0ES3_S5_NS0_18transform_iteratorINS0_17counting_iteratorImlEEZNS1_24adjacent_difference_implIS3_Lb1ELb0EPKjPjN6thrust23THRUST_200600_302600_NS4plusIjEEEE10hipError_tPvRmT2_T3_mT4_P12ihipStream_tbEUlmE_jEESD_NS0_8identityIvEEEESI_SL_SM_mSN_SP_bEUlT_E_NS1_11comp_targetILNS1_3genE8ELNS1_11target_archE1030ELNS1_3gpuE2ELNS1_3repE0EEENS1_30default_config_static_selectorELNS0_4arch9wavefront6targetE1EEEvT1_.kd
    .uniform_work_group_size: 1
    .uses_dynamic_stack: false
    .vgpr_count:     0
    .vgpr_spill_count: 0
    .wavefront_size: 64
  - .agpr_count:     0
    .args:
      - .offset:         0
        .size:           56
        .value_kind:     by_value
    .group_segment_fixed_size: 0
    .kernarg_segment_align: 8
    .kernarg_segment_size: 56
    .language:       OpenCL C
    .language_version:
      - 2
      - 0
    .max_flat_workgroup_size: 1024
    .name:           _ZN7rocprim17ROCPRIM_400000_NS6detail17trampoline_kernelINS0_14default_configENS1_35adjacent_difference_config_selectorILb1EjEEZNS1_24adjacent_difference_implIS3_Lb1ELb0EPKjPjN6thrust23THRUST_200600_302600_NS4plusIjEEEE10hipError_tPvRmT2_T3_mT4_P12ihipStream_tbEUlT_E_NS1_11comp_targetILNS1_3genE0ELNS1_11target_archE4294967295ELNS1_3gpuE0ELNS1_3repE0EEENS1_30default_config_static_selectorELNS0_4arch9wavefront6targetE1EEEvT1_
    .private_segment_fixed_size: 0
    .sgpr_count:     6
    .sgpr_spill_count: 0
    .symbol:         _ZN7rocprim17ROCPRIM_400000_NS6detail17trampoline_kernelINS0_14default_configENS1_35adjacent_difference_config_selectorILb1EjEEZNS1_24adjacent_difference_implIS3_Lb1ELb0EPKjPjN6thrust23THRUST_200600_302600_NS4plusIjEEEE10hipError_tPvRmT2_T3_mT4_P12ihipStream_tbEUlT_E_NS1_11comp_targetILNS1_3genE0ELNS1_11target_archE4294967295ELNS1_3gpuE0ELNS1_3repE0EEENS1_30default_config_static_selectorELNS0_4arch9wavefront6targetE1EEEvT1_.kd
    .uniform_work_group_size: 1
    .uses_dynamic_stack: false
    .vgpr_count:     0
    .vgpr_spill_count: 0
    .wavefront_size: 64
  - .agpr_count:     0
    .args:
      - .offset:         0
        .size:           56
        .value_kind:     by_value
    .group_segment_fixed_size: 0
    .kernarg_segment_align: 8
    .kernarg_segment_size: 56
    .language:       OpenCL C
    .language_version:
      - 2
      - 0
    .max_flat_workgroup_size: 32
    .name:           _ZN7rocprim17ROCPRIM_400000_NS6detail17trampoline_kernelINS0_14default_configENS1_35adjacent_difference_config_selectorILb1EjEEZNS1_24adjacent_difference_implIS3_Lb1ELb0EPKjPjN6thrust23THRUST_200600_302600_NS4plusIjEEEE10hipError_tPvRmT2_T3_mT4_P12ihipStream_tbEUlT_E_NS1_11comp_targetILNS1_3genE10ELNS1_11target_archE1201ELNS1_3gpuE5ELNS1_3repE0EEENS1_30default_config_static_selectorELNS0_4arch9wavefront6targetE1EEEvT1_
    .private_segment_fixed_size: 0
    .sgpr_count:     6
    .sgpr_spill_count: 0
    .symbol:         _ZN7rocprim17ROCPRIM_400000_NS6detail17trampoline_kernelINS0_14default_configENS1_35adjacent_difference_config_selectorILb1EjEEZNS1_24adjacent_difference_implIS3_Lb1ELb0EPKjPjN6thrust23THRUST_200600_302600_NS4plusIjEEEE10hipError_tPvRmT2_T3_mT4_P12ihipStream_tbEUlT_E_NS1_11comp_targetILNS1_3genE10ELNS1_11target_archE1201ELNS1_3gpuE5ELNS1_3repE0EEENS1_30default_config_static_selectorELNS0_4arch9wavefront6targetE1EEEvT1_.kd
    .uniform_work_group_size: 1
    .uses_dynamic_stack: false
    .vgpr_count:     0
    .vgpr_spill_count: 0
    .wavefront_size: 64
  - .agpr_count:     0
    .args:
      - .offset:         0
        .size:           56
        .value_kind:     by_value
    .group_segment_fixed_size: 10240
    .kernarg_segment_align: 8
    .kernarg_segment_size: 56
    .language:       OpenCL C
    .language_version:
      - 2
      - 0
    .max_flat_workgroup_size: 512
    .name:           _ZN7rocprim17ROCPRIM_400000_NS6detail17trampoline_kernelINS0_14default_configENS1_35adjacent_difference_config_selectorILb1EjEEZNS1_24adjacent_difference_implIS3_Lb1ELb0EPKjPjN6thrust23THRUST_200600_302600_NS4plusIjEEEE10hipError_tPvRmT2_T3_mT4_P12ihipStream_tbEUlT_E_NS1_11comp_targetILNS1_3genE5ELNS1_11target_archE942ELNS1_3gpuE9ELNS1_3repE0EEENS1_30default_config_static_selectorELNS0_4arch9wavefront6targetE1EEEvT1_
    .private_segment_fixed_size: 0
    .sgpr_count:     35
    .sgpr_spill_count: 0
    .symbol:         _ZN7rocprim17ROCPRIM_400000_NS6detail17trampoline_kernelINS0_14default_configENS1_35adjacent_difference_config_selectorILb1EjEEZNS1_24adjacent_difference_implIS3_Lb1ELb0EPKjPjN6thrust23THRUST_200600_302600_NS4plusIjEEEE10hipError_tPvRmT2_T3_mT4_P12ihipStream_tbEUlT_E_NS1_11comp_targetILNS1_3genE5ELNS1_11target_archE942ELNS1_3gpuE9ELNS1_3repE0EEENS1_30default_config_static_selectorELNS0_4arch9wavefront6targetE1EEEvT1_.kd
    .uniform_work_group_size: 1
    .uses_dynamic_stack: false
    .vgpr_count:     26
    .vgpr_spill_count: 0
    .wavefront_size: 64
  - .agpr_count:     0
    .args:
      - .offset:         0
        .size:           56
        .value_kind:     by_value
    .group_segment_fixed_size: 0
    .kernarg_segment_align: 8
    .kernarg_segment_size: 56
    .language:       OpenCL C
    .language_version:
      - 2
      - 0
    .max_flat_workgroup_size: 512
    .name:           _ZN7rocprim17ROCPRIM_400000_NS6detail17trampoline_kernelINS0_14default_configENS1_35adjacent_difference_config_selectorILb1EjEEZNS1_24adjacent_difference_implIS3_Lb1ELb0EPKjPjN6thrust23THRUST_200600_302600_NS4plusIjEEEE10hipError_tPvRmT2_T3_mT4_P12ihipStream_tbEUlT_E_NS1_11comp_targetILNS1_3genE4ELNS1_11target_archE910ELNS1_3gpuE8ELNS1_3repE0EEENS1_30default_config_static_selectorELNS0_4arch9wavefront6targetE1EEEvT1_
    .private_segment_fixed_size: 0
    .sgpr_count:     6
    .sgpr_spill_count: 0
    .symbol:         _ZN7rocprim17ROCPRIM_400000_NS6detail17trampoline_kernelINS0_14default_configENS1_35adjacent_difference_config_selectorILb1EjEEZNS1_24adjacent_difference_implIS3_Lb1ELb0EPKjPjN6thrust23THRUST_200600_302600_NS4plusIjEEEE10hipError_tPvRmT2_T3_mT4_P12ihipStream_tbEUlT_E_NS1_11comp_targetILNS1_3genE4ELNS1_11target_archE910ELNS1_3gpuE8ELNS1_3repE0EEENS1_30default_config_static_selectorELNS0_4arch9wavefront6targetE1EEEvT1_.kd
    .uniform_work_group_size: 1
    .uses_dynamic_stack: false
    .vgpr_count:     0
    .vgpr_spill_count: 0
    .wavefront_size: 64
  - .agpr_count:     0
    .args:
      - .offset:         0
        .size:           56
        .value_kind:     by_value
    .group_segment_fixed_size: 0
    .kernarg_segment_align: 8
    .kernarg_segment_size: 56
    .language:       OpenCL C
    .language_version:
      - 2
      - 0
    .max_flat_workgroup_size: 1024
    .name:           _ZN7rocprim17ROCPRIM_400000_NS6detail17trampoline_kernelINS0_14default_configENS1_35adjacent_difference_config_selectorILb1EjEEZNS1_24adjacent_difference_implIS3_Lb1ELb0EPKjPjN6thrust23THRUST_200600_302600_NS4plusIjEEEE10hipError_tPvRmT2_T3_mT4_P12ihipStream_tbEUlT_E_NS1_11comp_targetILNS1_3genE3ELNS1_11target_archE908ELNS1_3gpuE7ELNS1_3repE0EEENS1_30default_config_static_selectorELNS0_4arch9wavefront6targetE1EEEvT1_
    .private_segment_fixed_size: 0
    .sgpr_count:     6
    .sgpr_spill_count: 0
    .symbol:         _ZN7rocprim17ROCPRIM_400000_NS6detail17trampoline_kernelINS0_14default_configENS1_35adjacent_difference_config_selectorILb1EjEEZNS1_24adjacent_difference_implIS3_Lb1ELb0EPKjPjN6thrust23THRUST_200600_302600_NS4plusIjEEEE10hipError_tPvRmT2_T3_mT4_P12ihipStream_tbEUlT_E_NS1_11comp_targetILNS1_3genE3ELNS1_11target_archE908ELNS1_3gpuE7ELNS1_3repE0EEENS1_30default_config_static_selectorELNS0_4arch9wavefront6targetE1EEEvT1_.kd
    .uniform_work_group_size: 1
    .uses_dynamic_stack: false
    .vgpr_count:     0
    .vgpr_spill_count: 0
    .wavefront_size: 64
  - .agpr_count:     0
    .args:
      - .offset:         0
        .size:           56
        .value_kind:     by_value
    .group_segment_fixed_size: 0
    .kernarg_segment_align: 8
    .kernarg_segment_size: 56
    .language:       OpenCL C
    .language_version:
      - 2
      - 0
    .max_flat_workgroup_size: 256
    .name:           _ZN7rocprim17ROCPRIM_400000_NS6detail17trampoline_kernelINS0_14default_configENS1_35adjacent_difference_config_selectorILb1EjEEZNS1_24adjacent_difference_implIS3_Lb1ELb0EPKjPjN6thrust23THRUST_200600_302600_NS4plusIjEEEE10hipError_tPvRmT2_T3_mT4_P12ihipStream_tbEUlT_E_NS1_11comp_targetILNS1_3genE2ELNS1_11target_archE906ELNS1_3gpuE6ELNS1_3repE0EEENS1_30default_config_static_selectorELNS0_4arch9wavefront6targetE1EEEvT1_
    .private_segment_fixed_size: 0
    .sgpr_count:     6
    .sgpr_spill_count: 0
    .symbol:         _ZN7rocprim17ROCPRIM_400000_NS6detail17trampoline_kernelINS0_14default_configENS1_35adjacent_difference_config_selectorILb1EjEEZNS1_24adjacent_difference_implIS3_Lb1ELb0EPKjPjN6thrust23THRUST_200600_302600_NS4plusIjEEEE10hipError_tPvRmT2_T3_mT4_P12ihipStream_tbEUlT_E_NS1_11comp_targetILNS1_3genE2ELNS1_11target_archE906ELNS1_3gpuE6ELNS1_3repE0EEENS1_30default_config_static_selectorELNS0_4arch9wavefront6targetE1EEEvT1_.kd
    .uniform_work_group_size: 1
    .uses_dynamic_stack: false
    .vgpr_count:     0
    .vgpr_spill_count: 0
    .wavefront_size: 64
  - .agpr_count:     0
    .args:
      - .offset:         0
        .size:           56
        .value_kind:     by_value
    .group_segment_fixed_size: 0
    .kernarg_segment_align: 8
    .kernarg_segment_size: 56
    .language:       OpenCL C
    .language_version:
      - 2
      - 0
    .max_flat_workgroup_size: 128
    .name:           _ZN7rocprim17ROCPRIM_400000_NS6detail17trampoline_kernelINS0_14default_configENS1_35adjacent_difference_config_selectorILb1EjEEZNS1_24adjacent_difference_implIS3_Lb1ELb0EPKjPjN6thrust23THRUST_200600_302600_NS4plusIjEEEE10hipError_tPvRmT2_T3_mT4_P12ihipStream_tbEUlT_E_NS1_11comp_targetILNS1_3genE9ELNS1_11target_archE1100ELNS1_3gpuE3ELNS1_3repE0EEENS1_30default_config_static_selectorELNS0_4arch9wavefront6targetE1EEEvT1_
    .private_segment_fixed_size: 0
    .sgpr_count:     6
    .sgpr_spill_count: 0
    .symbol:         _ZN7rocprim17ROCPRIM_400000_NS6detail17trampoline_kernelINS0_14default_configENS1_35adjacent_difference_config_selectorILb1EjEEZNS1_24adjacent_difference_implIS3_Lb1ELb0EPKjPjN6thrust23THRUST_200600_302600_NS4plusIjEEEE10hipError_tPvRmT2_T3_mT4_P12ihipStream_tbEUlT_E_NS1_11comp_targetILNS1_3genE9ELNS1_11target_archE1100ELNS1_3gpuE3ELNS1_3repE0EEENS1_30default_config_static_selectorELNS0_4arch9wavefront6targetE1EEEvT1_.kd
    .uniform_work_group_size: 1
    .uses_dynamic_stack: false
    .vgpr_count:     0
    .vgpr_spill_count: 0
    .wavefront_size: 64
  - .agpr_count:     0
    .args:
      - .offset:         0
        .size:           56
        .value_kind:     by_value
    .group_segment_fixed_size: 0
    .kernarg_segment_align: 8
    .kernarg_segment_size: 56
    .language:       OpenCL C
    .language_version:
      - 2
      - 0
    .max_flat_workgroup_size: 32
    .name:           _ZN7rocprim17ROCPRIM_400000_NS6detail17trampoline_kernelINS0_14default_configENS1_35adjacent_difference_config_selectorILb1EjEEZNS1_24adjacent_difference_implIS3_Lb1ELb0EPKjPjN6thrust23THRUST_200600_302600_NS4plusIjEEEE10hipError_tPvRmT2_T3_mT4_P12ihipStream_tbEUlT_E_NS1_11comp_targetILNS1_3genE8ELNS1_11target_archE1030ELNS1_3gpuE2ELNS1_3repE0EEENS1_30default_config_static_selectorELNS0_4arch9wavefront6targetE1EEEvT1_
    .private_segment_fixed_size: 0
    .sgpr_count:     6
    .sgpr_spill_count: 0
    .symbol:         _ZN7rocprim17ROCPRIM_400000_NS6detail17trampoline_kernelINS0_14default_configENS1_35adjacent_difference_config_selectorILb1EjEEZNS1_24adjacent_difference_implIS3_Lb1ELb0EPKjPjN6thrust23THRUST_200600_302600_NS4plusIjEEEE10hipError_tPvRmT2_T3_mT4_P12ihipStream_tbEUlT_E_NS1_11comp_targetILNS1_3genE8ELNS1_11target_archE1030ELNS1_3gpuE2ELNS1_3repE0EEENS1_30default_config_static_selectorELNS0_4arch9wavefront6targetE1EEEvT1_.kd
    .uniform_work_group_size: 1
    .uses_dynamic_stack: false
    .vgpr_count:     0
    .vgpr_spill_count: 0
    .wavefront_size: 64
  - .agpr_count:     0
    .args:
      - .offset:         0
        .size:           56
        .value_kind:     by_value
    .group_segment_fixed_size: 0
    .kernarg_segment_align: 8
    .kernarg_segment_size: 56
    .language:       OpenCL C
    .language_version:
      - 2
      - 0
    .max_flat_workgroup_size: 128
    .name:           _ZN7rocprim17ROCPRIM_400000_NS6detail17trampoline_kernelINS0_14default_configENS1_35adjacent_difference_config_selectorILb0EfEEZNS1_24adjacent_difference_implIS3_Lb0ELb0EPKfPfN6thrust23THRUST_200600_302600_NS4plusIfEEEE10hipError_tPvRmT2_T3_mT4_P12ihipStream_tbEUlT_E_NS1_11comp_targetILNS1_3genE0ELNS1_11target_archE4294967295ELNS1_3gpuE0ELNS1_3repE0EEENS1_30default_config_static_selectorELNS0_4arch9wavefront6targetE1EEEvT1_
    .private_segment_fixed_size: 0
    .sgpr_count:     6
    .sgpr_spill_count: 0
    .symbol:         _ZN7rocprim17ROCPRIM_400000_NS6detail17trampoline_kernelINS0_14default_configENS1_35adjacent_difference_config_selectorILb0EfEEZNS1_24adjacent_difference_implIS3_Lb0ELb0EPKfPfN6thrust23THRUST_200600_302600_NS4plusIfEEEE10hipError_tPvRmT2_T3_mT4_P12ihipStream_tbEUlT_E_NS1_11comp_targetILNS1_3genE0ELNS1_11target_archE4294967295ELNS1_3gpuE0ELNS1_3repE0EEENS1_30default_config_static_selectorELNS0_4arch9wavefront6targetE1EEEvT1_.kd
    .uniform_work_group_size: 1
    .uses_dynamic_stack: false
    .vgpr_count:     0
    .vgpr_spill_count: 0
    .wavefront_size: 64
  - .agpr_count:     0
    .args:
      - .offset:         0
        .size:           56
        .value_kind:     by_value
    .group_segment_fixed_size: 0
    .kernarg_segment_align: 8
    .kernarg_segment_size: 56
    .language:       OpenCL C
    .language_version:
      - 2
      - 0
    .max_flat_workgroup_size: 1024
    .name:           _ZN7rocprim17ROCPRIM_400000_NS6detail17trampoline_kernelINS0_14default_configENS1_35adjacent_difference_config_selectorILb0EfEEZNS1_24adjacent_difference_implIS3_Lb0ELb0EPKfPfN6thrust23THRUST_200600_302600_NS4plusIfEEEE10hipError_tPvRmT2_T3_mT4_P12ihipStream_tbEUlT_E_NS1_11comp_targetILNS1_3genE10ELNS1_11target_archE1201ELNS1_3gpuE5ELNS1_3repE0EEENS1_30default_config_static_selectorELNS0_4arch9wavefront6targetE1EEEvT1_
    .private_segment_fixed_size: 0
    .sgpr_count:     6
    .sgpr_spill_count: 0
    .symbol:         _ZN7rocprim17ROCPRIM_400000_NS6detail17trampoline_kernelINS0_14default_configENS1_35adjacent_difference_config_selectorILb0EfEEZNS1_24adjacent_difference_implIS3_Lb0ELb0EPKfPfN6thrust23THRUST_200600_302600_NS4plusIfEEEE10hipError_tPvRmT2_T3_mT4_P12ihipStream_tbEUlT_E_NS1_11comp_targetILNS1_3genE10ELNS1_11target_archE1201ELNS1_3gpuE5ELNS1_3repE0EEENS1_30default_config_static_selectorELNS0_4arch9wavefront6targetE1EEEvT1_.kd
    .uniform_work_group_size: 1
    .uses_dynamic_stack: false
    .vgpr_count:     0
    .vgpr_spill_count: 0
    .wavefront_size: 64
  - .agpr_count:     0
    .args:
      - .offset:         0
        .size:           56
        .value_kind:     by_value
    .group_segment_fixed_size: 7936
    .kernarg_segment_align: 8
    .kernarg_segment_size: 56
    .language:       OpenCL C
    .language_version:
      - 2
      - 0
    .max_flat_workgroup_size: 64
    .name:           _ZN7rocprim17ROCPRIM_400000_NS6detail17trampoline_kernelINS0_14default_configENS1_35adjacent_difference_config_selectorILb0EfEEZNS1_24adjacent_difference_implIS3_Lb0ELb0EPKfPfN6thrust23THRUST_200600_302600_NS4plusIfEEEE10hipError_tPvRmT2_T3_mT4_P12ihipStream_tbEUlT_E_NS1_11comp_targetILNS1_3genE5ELNS1_11target_archE942ELNS1_3gpuE9ELNS1_3repE0EEENS1_30default_config_static_selectorELNS0_4arch9wavefront6targetE1EEEvT1_
    .private_segment_fixed_size: 0
    .sgpr_count:     29
    .sgpr_spill_count: 0
    .symbol:         _ZN7rocprim17ROCPRIM_400000_NS6detail17trampoline_kernelINS0_14default_configENS1_35adjacent_difference_config_selectorILb0EfEEZNS1_24adjacent_difference_implIS3_Lb0ELb0EPKfPfN6thrust23THRUST_200600_302600_NS4plusIfEEEE10hipError_tPvRmT2_T3_mT4_P12ihipStream_tbEUlT_E_NS1_11comp_targetILNS1_3genE5ELNS1_11target_archE942ELNS1_3gpuE9ELNS1_3repE0EEENS1_30default_config_static_selectorELNS0_4arch9wavefront6targetE1EEEvT1_.kd
    .uniform_work_group_size: 1
    .uses_dynamic_stack: false
    .vgpr_count:     68
    .vgpr_spill_count: 0
    .wavefront_size: 64
  - .agpr_count:     0
    .args:
      - .offset:         0
        .size:           56
        .value_kind:     by_value
    .group_segment_fixed_size: 0
    .kernarg_segment_align: 8
    .kernarg_segment_size: 56
    .language:       OpenCL C
    .language_version:
      - 2
      - 0
    .max_flat_workgroup_size: 512
    .name:           _ZN7rocprim17ROCPRIM_400000_NS6detail17trampoline_kernelINS0_14default_configENS1_35adjacent_difference_config_selectorILb0EfEEZNS1_24adjacent_difference_implIS3_Lb0ELb0EPKfPfN6thrust23THRUST_200600_302600_NS4plusIfEEEE10hipError_tPvRmT2_T3_mT4_P12ihipStream_tbEUlT_E_NS1_11comp_targetILNS1_3genE4ELNS1_11target_archE910ELNS1_3gpuE8ELNS1_3repE0EEENS1_30default_config_static_selectorELNS0_4arch9wavefront6targetE1EEEvT1_
    .private_segment_fixed_size: 0
    .sgpr_count:     6
    .sgpr_spill_count: 0
    .symbol:         _ZN7rocprim17ROCPRIM_400000_NS6detail17trampoline_kernelINS0_14default_configENS1_35adjacent_difference_config_selectorILb0EfEEZNS1_24adjacent_difference_implIS3_Lb0ELb0EPKfPfN6thrust23THRUST_200600_302600_NS4plusIfEEEE10hipError_tPvRmT2_T3_mT4_P12ihipStream_tbEUlT_E_NS1_11comp_targetILNS1_3genE4ELNS1_11target_archE910ELNS1_3gpuE8ELNS1_3repE0EEENS1_30default_config_static_selectorELNS0_4arch9wavefront6targetE1EEEvT1_.kd
    .uniform_work_group_size: 1
    .uses_dynamic_stack: false
    .vgpr_count:     0
    .vgpr_spill_count: 0
    .wavefront_size: 64
  - .agpr_count:     0
    .args:
      - .offset:         0
        .size:           56
        .value_kind:     by_value
    .group_segment_fixed_size: 0
    .kernarg_segment_align: 8
    .kernarg_segment_size: 56
    .language:       OpenCL C
    .language_version:
      - 2
      - 0
    .max_flat_workgroup_size: 128
    .name:           _ZN7rocprim17ROCPRIM_400000_NS6detail17trampoline_kernelINS0_14default_configENS1_35adjacent_difference_config_selectorILb0EfEEZNS1_24adjacent_difference_implIS3_Lb0ELb0EPKfPfN6thrust23THRUST_200600_302600_NS4plusIfEEEE10hipError_tPvRmT2_T3_mT4_P12ihipStream_tbEUlT_E_NS1_11comp_targetILNS1_3genE3ELNS1_11target_archE908ELNS1_3gpuE7ELNS1_3repE0EEENS1_30default_config_static_selectorELNS0_4arch9wavefront6targetE1EEEvT1_
    .private_segment_fixed_size: 0
    .sgpr_count:     6
    .sgpr_spill_count: 0
    .symbol:         _ZN7rocprim17ROCPRIM_400000_NS6detail17trampoline_kernelINS0_14default_configENS1_35adjacent_difference_config_selectorILb0EfEEZNS1_24adjacent_difference_implIS3_Lb0ELb0EPKfPfN6thrust23THRUST_200600_302600_NS4plusIfEEEE10hipError_tPvRmT2_T3_mT4_P12ihipStream_tbEUlT_E_NS1_11comp_targetILNS1_3genE3ELNS1_11target_archE908ELNS1_3gpuE7ELNS1_3repE0EEENS1_30default_config_static_selectorELNS0_4arch9wavefront6targetE1EEEvT1_.kd
    .uniform_work_group_size: 1
    .uses_dynamic_stack: false
    .vgpr_count:     0
    .vgpr_spill_count: 0
    .wavefront_size: 64
  - .agpr_count:     0
    .args:
      - .offset:         0
        .size:           56
        .value_kind:     by_value
    .group_segment_fixed_size: 0
    .kernarg_segment_align: 8
    .kernarg_segment_size: 56
    .language:       OpenCL C
    .language_version:
      - 2
      - 0
    .max_flat_workgroup_size: 1024
    .name:           _ZN7rocprim17ROCPRIM_400000_NS6detail17trampoline_kernelINS0_14default_configENS1_35adjacent_difference_config_selectorILb0EfEEZNS1_24adjacent_difference_implIS3_Lb0ELb0EPKfPfN6thrust23THRUST_200600_302600_NS4plusIfEEEE10hipError_tPvRmT2_T3_mT4_P12ihipStream_tbEUlT_E_NS1_11comp_targetILNS1_3genE2ELNS1_11target_archE906ELNS1_3gpuE6ELNS1_3repE0EEENS1_30default_config_static_selectorELNS0_4arch9wavefront6targetE1EEEvT1_
    .private_segment_fixed_size: 0
    .sgpr_count:     6
    .sgpr_spill_count: 0
    .symbol:         _ZN7rocprim17ROCPRIM_400000_NS6detail17trampoline_kernelINS0_14default_configENS1_35adjacent_difference_config_selectorILb0EfEEZNS1_24adjacent_difference_implIS3_Lb0ELb0EPKfPfN6thrust23THRUST_200600_302600_NS4plusIfEEEE10hipError_tPvRmT2_T3_mT4_P12ihipStream_tbEUlT_E_NS1_11comp_targetILNS1_3genE2ELNS1_11target_archE906ELNS1_3gpuE6ELNS1_3repE0EEENS1_30default_config_static_selectorELNS0_4arch9wavefront6targetE1EEEvT1_.kd
    .uniform_work_group_size: 1
    .uses_dynamic_stack: false
    .vgpr_count:     0
    .vgpr_spill_count: 0
    .wavefront_size: 64
  - .agpr_count:     0
    .args:
      - .offset:         0
        .size:           56
        .value_kind:     by_value
    .group_segment_fixed_size: 0
    .kernarg_segment_align: 8
    .kernarg_segment_size: 56
    .language:       OpenCL C
    .language_version:
      - 2
      - 0
    .max_flat_workgroup_size: 1024
    .name:           _ZN7rocprim17ROCPRIM_400000_NS6detail17trampoline_kernelINS0_14default_configENS1_35adjacent_difference_config_selectorILb0EfEEZNS1_24adjacent_difference_implIS3_Lb0ELb0EPKfPfN6thrust23THRUST_200600_302600_NS4plusIfEEEE10hipError_tPvRmT2_T3_mT4_P12ihipStream_tbEUlT_E_NS1_11comp_targetILNS1_3genE9ELNS1_11target_archE1100ELNS1_3gpuE3ELNS1_3repE0EEENS1_30default_config_static_selectorELNS0_4arch9wavefront6targetE1EEEvT1_
    .private_segment_fixed_size: 0
    .sgpr_count:     6
    .sgpr_spill_count: 0
    .symbol:         _ZN7rocprim17ROCPRIM_400000_NS6detail17trampoline_kernelINS0_14default_configENS1_35adjacent_difference_config_selectorILb0EfEEZNS1_24adjacent_difference_implIS3_Lb0ELb0EPKfPfN6thrust23THRUST_200600_302600_NS4plusIfEEEE10hipError_tPvRmT2_T3_mT4_P12ihipStream_tbEUlT_E_NS1_11comp_targetILNS1_3genE9ELNS1_11target_archE1100ELNS1_3gpuE3ELNS1_3repE0EEENS1_30default_config_static_selectorELNS0_4arch9wavefront6targetE1EEEvT1_.kd
    .uniform_work_group_size: 1
    .uses_dynamic_stack: false
    .vgpr_count:     0
    .vgpr_spill_count: 0
    .wavefront_size: 64
  - .agpr_count:     0
    .args:
      - .offset:         0
        .size:           56
        .value_kind:     by_value
    .group_segment_fixed_size: 0
    .kernarg_segment_align: 8
    .kernarg_segment_size: 56
    .language:       OpenCL C
    .language_version:
      - 2
      - 0
    .max_flat_workgroup_size: 1024
    .name:           _ZN7rocprim17ROCPRIM_400000_NS6detail17trampoline_kernelINS0_14default_configENS1_35adjacent_difference_config_selectorILb0EfEEZNS1_24adjacent_difference_implIS3_Lb0ELb0EPKfPfN6thrust23THRUST_200600_302600_NS4plusIfEEEE10hipError_tPvRmT2_T3_mT4_P12ihipStream_tbEUlT_E_NS1_11comp_targetILNS1_3genE8ELNS1_11target_archE1030ELNS1_3gpuE2ELNS1_3repE0EEENS1_30default_config_static_selectorELNS0_4arch9wavefront6targetE1EEEvT1_
    .private_segment_fixed_size: 0
    .sgpr_count:     6
    .sgpr_spill_count: 0
    .symbol:         _ZN7rocprim17ROCPRIM_400000_NS6detail17trampoline_kernelINS0_14default_configENS1_35adjacent_difference_config_selectorILb0EfEEZNS1_24adjacent_difference_implIS3_Lb0ELb0EPKfPfN6thrust23THRUST_200600_302600_NS4plusIfEEEE10hipError_tPvRmT2_T3_mT4_P12ihipStream_tbEUlT_E_NS1_11comp_targetILNS1_3genE8ELNS1_11target_archE1030ELNS1_3gpuE2ELNS1_3repE0EEENS1_30default_config_static_selectorELNS0_4arch9wavefront6targetE1EEEvT1_.kd
    .uniform_work_group_size: 1
    .uses_dynamic_stack: false
    .vgpr_count:     0
    .vgpr_spill_count: 0
    .wavefront_size: 64
  - .agpr_count:     0
    .args:
      - .offset:         0
        .size:           56
        .value_kind:     by_value
    .group_segment_fixed_size: 0
    .kernarg_segment_align: 8
    .kernarg_segment_size: 56
    .language:       OpenCL C
    .language_version:
      - 2
      - 0
    .max_flat_workgroup_size: 128
    .name:           _ZN7rocprim17ROCPRIM_400000_NS6detail17trampoline_kernelINS0_14default_configENS1_25transform_config_selectorIfLb0EEEZNS1_14transform_implILb0ES3_S5_NS0_18transform_iteratorINS0_17counting_iteratorImlEEZNS1_24adjacent_difference_implIS3_Lb1ELb0EPKfPfN6thrust23THRUST_200600_302600_NS4plusIfEEEE10hipError_tPvRmT2_T3_mT4_P12ihipStream_tbEUlmE_fEESD_NS0_8identityIvEEEESI_SL_SM_mSN_SP_bEUlT_E_NS1_11comp_targetILNS1_3genE0ELNS1_11target_archE4294967295ELNS1_3gpuE0ELNS1_3repE0EEENS1_30default_config_static_selectorELNS0_4arch9wavefront6targetE1EEEvT1_
    .private_segment_fixed_size: 0
    .sgpr_count:     6
    .sgpr_spill_count: 0
    .symbol:         _ZN7rocprim17ROCPRIM_400000_NS6detail17trampoline_kernelINS0_14default_configENS1_25transform_config_selectorIfLb0EEEZNS1_14transform_implILb0ES3_S5_NS0_18transform_iteratorINS0_17counting_iteratorImlEEZNS1_24adjacent_difference_implIS3_Lb1ELb0EPKfPfN6thrust23THRUST_200600_302600_NS4plusIfEEEE10hipError_tPvRmT2_T3_mT4_P12ihipStream_tbEUlmE_fEESD_NS0_8identityIvEEEESI_SL_SM_mSN_SP_bEUlT_E_NS1_11comp_targetILNS1_3genE0ELNS1_11target_archE4294967295ELNS1_3gpuE0ELNS1_3repE0EEENS1_30default_config_static_selectorELNS0_4arch9wavefront6targetE1EEEvT1_.kd
    .uniform_work_group_size: 1
    .uses_dynamic_stack: false
    .vgpr_count:     0
    .vgpr_spill_count: 0
    .wavefront_size: 64
  - .agpr_count:     0
    .args:
      - .offset:         0
        .size:           56
        .value_kind:     by_value
      - .offset:         56
        .size:           4
        .value_kind:     hidden_block_count_x
      - .offset:         60
        .size:           4
        .value_kind:     hidden_block_count_y
      - .offset:         64
        .size:           4
        .value_kind:     hidden_block_count_z
      - .offset:         68
        .size:           2
        .value_kind:     hidden_group_size_x
      - .offset:         70
        .size:           2
        .value_kind:     hidden_group_size_y
      - .offset:         72
        .size:           2
        .value_kind:     hidden_group_size_z
      - .offset:         74
        .size:           2
        .value_kind:     hidden_remainder_x
      - .offset:         76
        .size:           2
        .value_kind:     hidden_remainder_y
      - .offset:         78
        .size:           2
        .value_kind:     hidden_remainder_z
      - .offset:         96
        .size:           8
        .value_kind:     hidden_global_offset_x
      - .offset:         104
        .size:           8
        .value_kind:     hidden_global_offset_y
      - .offset:         112
        .size:           8
        .value_kind:     hidden_global_offset_z
      - .offset:         120
        .size:           2
        .value_kind:     hidden_grid_dims
    .group_segment_fixed_size: 0
    .kernarg_segment_align: 8
    .kernarg_segment_size: 312
    .language:       OpenCL C
    .language_version:
      - 2
      - 0
    .max_flat_workgroup_size: 256
    .name:           _ZN7rocprim17ROCPRIM_400000_NS6detail17trampoline_kernelINS0_14default_configENS1_25transform_config_selectorIfLb0EEEZNS1_14transform_implILb0ES3_S5_NS0_18transform_iteratorINS0_17counting_iteratorImlEEZNS1_24adjacent_difference_implIS3_Lb1ELb0EPKfPfN6thrust23THRUST_200600_302600_NS4plusIfEEEE10hipError_tPvRmT2_T3_mT4_P12ihipStream_tbEUlmE_fEESD_NS0_8identityIvEEEESI_SL_SM_mSN_SP_bEUlT_E_NS1_11comp_targetILNS1_3genE5ELNS1_11target_archE942ELNS1_3gpuE9ELNS1_3repE0EEENS1_30default_config_static_selectorELNS0_4arch9wavefront6targetE1EEEvT1_
    .private_segment_fixed_size: 0
    .sgpr_count:     28
    .sgpr_spill_count: 0
    .symbol:         _ZN7rocprim17ROCPRIM_400000_NS6detail17trampoline_kernelINS0_14default_configENS1_25transform_config_selectorIfLb0EEEZNS1_14transform_implILb0ES3_S5_NS0_18transform_iteratorINS0_17counting_iteratorImlEEZNS1_24adjacent_difference_implIS3_Lb1ELb0EPKfPfN6thrust23THRUST_200600_302600_NS4plusIfEEEE10hipError_tPvRmT2_T3_mT4_P12ihipStream_tbEUlmE_fEESD_NS0_8identityIvEEEESI_SL_SM_mSN_SP_bEUlT_E_NS1_11comp_targetILNS1_3genE5ELNS1_11target_archE942ELNS1_3gpuE9ELNS1_3repE0EEENS1_30default_config_static_selectorELNS0_4arch9wavefront6targetE1EEEvT1_.kd
    .uniform_work_group_size: 1
    .uses_dynamic_stack: false
    .vgpr_count:     13
    .vgpr_spill_count: 0
    .wavefront_size: 64
  - .agpr_count:     0
    .args:
      - .offset:         0
        .size:           56
        .value_kind:     by_value
    .group_segment_fixed_size: 0
    .kernarg_segment_align: 8
    .kernarg_segment_size: 56
    .language:       OpenCL C
    .language_version:
      - 2
      - 0
    .max_flat_workgroup_size: 1024
    .name:           _ZN7rocprim17ROCPRIM_400000_NS6detail17trampoline_kernelINS0_14default_configENS1_25transform_config_selectorIfLb0EEEZNS1_14transform_implILb0ES3_S5_NS0_18transform_iteratorINS0_17counting_iteratorImlEEZNS1_24adjacent_difference_implIS3_Lb1ELb0EPKfPfN6thrust23THRUST_200600_302600_NS4plusIfEEEE10hipError_tPvRmT2_T3_mT4_P12ihipStream_tbEUlmE_fEESD_NS0_8identityIvEEEESI_SL_SM_mSN_SP_bEUlT_E_NS1_11comp_targetILNS1_3genE4ELNS1_11target_archE910ELNS1_3gpuE8ELNS1_3repE0EEENS1_30default_config_static_selectorELNS0_4arch9wavefront6targetE1EEEvT1_
    .private_segment_fixed_size: 0
    .sgpr_count:     6
    .sgpr_spill_count: 0
    .symbol:         _ZN7rocprim17ROCPRIM_400000_NS6detail17trampoline_kernelINS0_14default_configENS1_25transform_config_selectorIfLb0EEEZNS1_14transform_implILb0ES3_S5_NS0_18transform_iteratorINS0_17counting_iteratorImlEEZNS1_24adjacent_difference_implIS3_Lb1ELb0EPKfPfN6thrust23THRUST_200600_302600_NS4plusIfEEEE10hipError_tPvRmT2_T3_mT4_P12ihipStream_tbEUlmE_fEESD_NS0_8identityIvEEEESI_SL_SM_mSN_SP_bEUlT_E_NS1_11comp_targetILNS1_3genE4ELNS1_11target_archE910ELNS1_3gpuE8ELNS1_3repE0EEENS1_30default_config_static_selectorELNS0_4arch9wavefront6targetE1EEEvT1_.kd
    .uniform_work_group_size: 1
    .uses_dynamic_stack: false
    .vgpr_count:     0
    .vgpr_spill_count: 0
    .wavefront_size: 64
  - .agpr_count:     0
    .args:
      - .offset:         0
        .size:           56
        .value_kind:     by_value
    .group_segment_fixed_size: 0
    .kernarg_segment_align: 8
    .kernarg_segment_size: 56
    .language:       OpenCL C
    .language_version:
      - 2
      - 0
    .max_flat_workgroup_size: 128
    .name:           _ZN7rocprim17ROCPRIM_400000_NS6detail17trampoline_kernelINS0_14default_configENS1_25transform_config_selectorIfLb0EEEZNS1_14transform_implILb0ES3_S5_NS0_18transform_iteratorINS0_17counting_iteratorImlEEZNS1_24adjacent_difference_implIS3_Lb1ELb0EPKfPfN6thrust23THRUST_200600_302600_NS4plusIfEEEE10hipError_tPvRmT2_T3_mT4_P12ihipStream_tbEUlmE_fEESD_NS0_8identityIvEEEESI_SL_SM_mSN_SP_bEUlT_E_NS1_11comp_targetILNS1_3genE3ELNS1_11target_archE908ELNS1_3gpuE7ELNS1_3repE0EEENS1_30default_config_static_selectorELNS0_4arch9wavefront6targetE1EEEvT1_
    .private_segment_fixed_size: 0
    .sgpr_count:     6
    .sgpr_spill_count: 0
    .symbol:         _ZN7rocprim17ROCPRIM_400000_NS6detail17trampoline_kernelINS0_14default_configENS1_25transform_config_selectorIfLb0EEEZNS1_14transform_implILb0ES3_S5_NS0_18transform_iteratorINS0_17counting_iteratorImlEEZNS1_24adjacent_difference_implIS3_Lb1ELb0EPKfPfN6thrust23THRUST_200600_302600_NS4plusIfEEEE10hipError_tPvRmT2_T3_mT4_P12ihipStream_tbEUlmE_fEESD_NS0_8identityIvEEEESI_SL_SM_mSN_SP_bEUlT_E_NS1_11comp_targetILNS1_3genE3ELNS1_11target_archE908ELNS1_3gpuE7ELNS1_3repE0EEENS1_30default_config_static_selectorELNS0_4arch9wavefront6targetE1EEEvT1_.kd
    .uniform_work_group_size: 1
    .uses_dynamic_stack: false
    .vgpr_count:     0
    .vgpr_spill_count: 0
    .wavefront_size: 64
  - .agpr_count:     0
    .args:
      - .offset:         0
        .size:           56
        .value_kind:     by_value
    .group_segment_fixed_size: 0
    .kernarg_segment_align: 8
    .kernarg_segment_size: 56
    .language:       OpenCL C
    .language_version:
      - 2
      - 0
    .max_flat_workgroup_size: 1024
    .name:           _ZN7rocprim17ROCPRIM_400000_NS6detail17trampoline_kernelINS0_14default_configENS1_25transform_config_selectorIfLb0EEEZNS1_14transform_implILb0ES3_S5_NS0_18transform_iteratorINS0_17counting_iteratorImlEEZNS1_24adjacent_difference_implIS3_Lb1ELb0EPKfPfN6thrust23THRUST_200600_302600_NS4plusIfEEEE10hipError_tPvRmT2_T3_mT4_P12ihipStream_tbEUlmE_fEESD_NS0_8identityIvEEEESI_SL_SM_mSN_SP_bEUlT_E_NS1_11comp_targetILNS1_3genE2ELNS1_11target_archE906ELNS1_3gpuE6ELNS1_3repE0EEENS1_30default_config_static_selectorELNS0_4arch9wavefront6targetE1EEEvT1_
    .private_segment_fixed_size: 0
    .sgpr_count:     6
    .sgpr_spill_count: 0
    .symbol:         _ZN7rocprim17ROCPRIM_400000_NS6detail17trampoline_kernelINS0_14default_configENS1_25transform_config_selectorIfLb0EEEZNS1_14transform_implILb0ES3_S5_NS0_18transform_iteratorINS0_17counting_iteratorImlEEZNS1_24adjacent_difference_implIS3_Lb1ELb0EPKfPfN6thrust23THRUST_200600_302600_NS4plusIfEEEE10hipError_tPvRmT2_T3_mT4_P12ihipStream_tbEUlmE_fEESD_NS0_8identityIvEEEESI_SL_SM_mSN_SP_bEUlT_E_NS1_11comp_targetILNS1_3genE2ELNS1_11target_archE906ELNS1_3gpuE6ELNS1_3repE0EEENS1_30default_config_static_selectorELNS0_4arch9wavefront6targetE1EEEvT1_.kd
    .uniform_work_group_size: 1
    .uses_dynamic_stack: false
    .vgpr_count:     0
    .vgpr_spill_count: 0
    .wavefront_size: 64
  - .agpr_count:     0
    .args:
      - .offset:         0
        .size:           56
        .value_kind:     by_value
    .group_segment_fixed_size: 0
    .kernarg_segment_align: 8
    .kernarg_segment_size: 56
    .language:       OpenCL C
    .language_version:
      - 2
      - 0
    .max_flat_workgroup_size: 512
    .name:           _ZN7rocprim17ROCPRIM_400000_NS6detail17trampoline_kernelINS0_14default_configENS1_25transform_config_selectorIfLb0EEEZNS1_14transform_implILb0ES3_S5_NS0_18transform_iteratorINS0_17counting_iteratorImlEEZNS1_24adjacent_difference_implIS3_Lb1ELb0EPKfPfN6thrust23THRUST_200600_302600_NS4plusIfEEEE10hipError_tPvRmT2_T3_mT4_P12ihipStream_tbEUlmE_fEESD_NS0_8identityIvEEEESI_SL_SM_mSN_SP_bEUlT_E_NS1_11comp_targetILNS1_3genE10ELNS1_11target_archE1201ELNS1_3gpuE5ELNS1_3repE0EEENS1_30default_config_static_selectorELNS0_4arch9wavefront6targetE1EEEvT1_
    .private_segment_fixed_size: 0
    .sgpr_count:     6
    .sgpr_spill_count: 0
    .symbol:         _ZN7rocprim17ROCPRIM_400000_NS6detail17trampoline_kernelINS0_14default_configENS1_25transform_config_selectorIfLb0EEEZNS1_14transform_implILb0ES3_S5_NS0_18transform_iteratorINS0_17counting_iteratorImlEEZNS1_24adjacent_difference_implIS3_Lb1ELb0EPKfPfN6thrust23THRUST_200600_302600_NS4plusIfEEEE10hipError_tPvRmT2_T3_mT4_P12ihipStream_tbEUlmE_fEESD_NS0_8identityIvEEEESI_SL_SM_mSN_SP_bEUlT_E_NS1_11comp_targetILNS1_3genE10ELNS1_11target_archE1201ELNS1_3gpuE5ELNS1_3repE0EEENS1_30default_config_static_selectorELNS0_4arch9wavefront6targetE1EEEvT1_.kd
    .uniform_work_group_size: 1
    .uses_dynamic_stack: false
    .vgpr_count:     0
    .vgpr_spill_count: 0
    .wavefront_size: 64
  - .agpr_count:     0
    .args:
      - .offset:         0
        .size:           56
        .value_kind:     by_value
    .group_segment_fixed_size: 0
    .kernarg_segment_align: 8
    .kernarg_segment_size: 56
    .language:       OpenCL C
    .language_version:
      - 2
      - 0
    .max_flat_workgroup_size: 512
    .name:           _ZN7rocprim17ROCPRIM_400000_NS6detail17trampoline_kernelINS0_14default_configENS1_25transform_config_selectorIfLb0EEEZNS1_14transform_implILb0ES3_S5_NS0_18transform_iteratorINS0_17counting_iteratorImlEEZNS1_24adjacent_difference_implIS3_Lb1ELb0EPKfPfN6thrust23THRUST_200600_302600_NS4plusIfEEEE10hipError_tPvRmT2_T3_mT4_P12ihipStream_tbEUlmE_fEESD_NS0_8identityIvEEEESI_SL_SM_mSN_SP_bEUlT_E_NS1_11comp_targetILNS1_3genE10ELNS1_11target_archE1200ELNS1_3gpuE4ELNS1_3repE0EEENS1_30default_config_static_selectorELNS0_4arch9wavefront6targetE1EEEvT1_
    .private_segment_fixed_size: 0
    .sgpr_count:     6
    .sgpr_spill_count: 0
    .symbol:         _ZN7rocprim17ROCPRIM_400000_NS6detail17trampoline_kernelINS0_14default_configENS1_25transform_config_selectorIfLb0EEEZNS1_14transform_implILb0ES3_S5_NS0_18transform_iteratorINS0_17counting_iteratorImlEEZNS1_24adjacent_difference_implIS3_Lb1ELb0EPKfPfN6thrust23THRUST_200600_302600_NS4plusIfEEEE10hipError_tPvRmT2_T3_mT4_P12ihipStream_tbEUlmE_fEESD_NS0_8identityIvEEEESI_SL_SM_mSN_SP_bEUlT_E_NS1_11comp_targetILNS1_3genE10ELNS1_11target_archE1200ELNS1_3gpuE4ELNS1_3repE0EEENS1_30default_config_static_selectorELNS0_4arch9wavefront6targetE1EEEvT1_.kd
    .uniform_work_group_size: 1
    .uses_dynamic_stack: false
    .vgpr_count:     0
    .vgpr_spill_count: 0
    .wavefront_size: 64
  - .agpr_count:     0
    .args:
      - .offset:         0
        .size:           56
        .value_kind:     by_value
    .group_segment_fixed_size: 0
    .kernarg_segment_align: 8
    .kernarg_segment_size: 56
    .language:       OpenCL C
    .language_version:
      - 2
      - 0
    .max_flat_workgroup_size: 1024
    .name:           _ZN7rocprim17ROCPRIM_400000_NS6detail17trampoline_kernelINS0_14default_configENS1_25transform_config_selectorIfLb0EEEZNS1_14transform_implILb0ES3_S5_NS0_18transform_iteratorINS0_17counting_iteratorImlEEZNS1_24adjacent_difference_implIS3_Lb1ELb0EPKfPfN6thrust23THRUST_200600_302600_NS4plusIfEEEE10hipError_tPvRmT2_T3_mT4_P12ihipStream_tbEUlmE_fEESD_NS0_8identityIvEEEESI_SL_SM_mSN_SP_bEUlT_E_NS1_11comp_targetILNS1_3genE9ELNS1_11target_archE1100ELNS1_3gpuE3ELNS1_3repE0EEENS1_30default_config_static_selectorELNS0_4arch9wavefront6targetE1EEEvT1_
    .private_segment_fixed_size: 0
    .sgpr_count:     6
    .sgpr_spill_count: 0
    .symbol:         _ZN7rocprim17ROCPRIM_400000_NS6detail17trampoline_kernelINS0_14default_configENS1_25transform_config_selectorIfLb0EEEZNS1_14transform_implILb0ES3_S5_NS0_18transform_iteratorINS0_17counting_iteratorImlEEZNS1_24adjacent_difference_implIS3_Lb1ELb0EPKfPfN6thrust23THRUST_200600_302600_NS4plusIfEEEE10hipError_tPvRmT2_T3_mT4_P12ihipStream_tbEUlmE_fEESD_NS0_8identityIvEEEESI_SL_SM_mSN_SP_bEUlT_E_NS1_11comp_targetILNS1_3genE9ELNS1_11target_archE1100ELNS1_3gpuE3ELNS1_3repE0EEENS1_30default_config_static_selectorELNS0_4arch9wavefront6targetE1EEEvT1_.kd
    .uniform_work_group_size: 1
    .uses_dynamic_stack: false
    .vgpr_count:     0
    .vgpr_spill_count: 0
    .wavefront_size: 64
  - .agpr_count:     0
    .args:
      - .offset:         0
        .size:           56
        .value_kind:     by_value
    .group_segment_fixed_size: 0
    .kernarg_segment_align: 8
    .kernarg_segment_size: 56
    .language:       OpenCL C
    .language_version:
      - 2
      - 0
    .max_flat_workgroup_size: 256
    .name:           _ZN7rocprim17ROCPRIM_400000_NS6detail17trampoline_kernelINS0_14default_configENS1_25transform_config_selectorIfLb0EEEZNS1_14transform_implILb0ES3_S5_NS0_18transform_iteratorINS0_17counting_iteratorImlEEZNS1_24adjacent_difference_implIS3_Lb1ELb0EPKfPfN6thrust23THRUST_200600_302600_NS4plusIfEEEE10hipError_tPvRmT2_T3_mT4_P12ihipStream_tbEUlmE_fEESD_NS0_8identityIvEEEESI_SL_SM_mSN_SP_bEUlT_E_NS1_11comp_targetILNS1_3genE8ELNS1_11target_archE1030ELNS1_3gpuE2ELNS1_3repE0EEENS1_30default_config_static_selectorELNS0_4arch9wavefront6targetE1EEEvT1_
    .private_segment_fixed_size: 0
    .sgpr_count:     6
    .sgpr_spill_count: 0
    .symbol:         _ZN7rocprim17ROCPRIM_400000_NS6detail17trampoline_kernelINS0_14default_configENS1_25transform_config_selectorIfLb0EEEZNS1_14transform_implILb0ES3_S5_NS0_18transform_iteratorINS0_17counting_iteratorImlEEZNS1_24adjacent_difference_implIS3_Lb1ELb0EPKfPfN6thrust23THRUST_200600_302600_NS4plusIfEEEE10hipError_tPvRmT2_T3_mT4_P12ihipStream_tbEUlmE_fEESD_NS0_8identityIvEEEESI_SL_SM_mSN_SP_bEUlT_E_NS1_11comp_targetILNS1_3genE8ELNS1_11target_archE1030ELNS1_3gpuE2ELNS1_3repE0EEENS1_30default_config_static_selectorELNS0_4arch9wavefront6targetE1EEEvT1_.kd
    .uniform_work_group_size: 1
    .uses_dynamic_stack: false
    .vgpr_count:     0
    .vgpr_spill_count: 0
    .wavefront_size: 64
  - .agpr_count:     0
    .args:
      - .offset:         0
        .size:           56
        .value_kind:     by_value
    .group_segment_fixed_size: 0
    .kernarg_segment_align: 8
    .kernarg_segment_size: 56
    .language:       OpenCL C
    .language_version:
      - 2
      - 0
    .max_flat_workgroup_size: 1024
    .name:           _ZN7rocprim17ROCPRIM_400000_NS6detail17trampoline_kernelINS0_14default_configENS1_35adjacent_difference_config_selectorILb1EfEEZNS1_24adjacent_difference_implIS3_Lb1ELb0EPKfPfN6thrust23THRUST_200600_302600_NS4plusIfEEEE10hipError_tPvRmT2_T3_mT4_P12ihipStream_tbEUlT_E_NS1_11comp_targetILNS1_3genE0ELNS1_11target_archE4294967295ELNS1_3gpuE0ELNS1_3repE0EEENS1_30default_config_static_selectorELNS0_4arch9wavefront6targetE1EEEvT1_
    .private_segment_fixed_size: 0
    .sgpr_count:     6
    .sgpr_spill_count: 0
    .symbol:         _ZN7rocprim17ROCPRIM_400000_NS6detail17trampoline_kernelINS0_14default_configENS1_35adjacent_difference_config_selectorILb1EfEEZNS1_24adjacent_difference_implIS3_Lb1ELb0EPKfPfN6thrust23THRUST_200600_302600_NS4plusIfEEEE10hipError_tPvRmT2_T3_mT4_P12ihipStream_tbEUlT_E_NS1_11comp_targetILNS1_3genE0ELNS1_11target_archE4294967295ELNS1_3gpuE0ELNS1_3repE0EEENS1_30default_config_static_selectorELNS0_4arch9wavefront6targetE1EEEvT1_.kd
    .uniform_work_group_size: 1
    .uses_dynamic_stack: false
    .vgpr_count:     0
    .vgpr_spill_count: 0
    .wavefront_size: 64
  - .agpr_count:     0
    .args:
      - .offset:         0
        .size:           56
        .value_kind:     by_value
    .group_segment_fixed_size: 0
    .kernarg_segment_align: 8
    .kernarg_segment_size: 56
    .language:       OpenCL C
    .language_version:
      - 2
      - 0
    .max_flat_workgroup_size: 128
    .name:           _ZN7rocprim17ROCPRIM_400000_NS6detail17trampoline_kernelINS0_14default_configENS1_35adjacent_difference_config_selectorILb1EfEEZNS1_24adjacent_difference_implIS3_Lb1ELb0EPKfPfN6thrust23THRUST_200600_302600_NS4plusIfEEEE10hipError_tPvRmT2_T3_mT4_P12ihipStream_tbEUlT_E_NS1_11comp_targetILNS1_3genE10ELNS1_11target_archE1201ELNS1_3gpuE5ELNS1_3repE0EEENS1_30default_config_static_selectorELNS0_4arch9wavefront6targetE1EEEvT1_
    .private_segment_fixed_size: 0
    .sgpr_count:     6
    .sgpr_spill_count: 0
    .symbol:         _ZN7rocprim17ROCPRIM_400000_NS6detail17trampoline_kernelINS0_14default_configENS1_35adjacent_difference_config_selectorILb1EfEEZNS1_24adjacent_difference_implIS3_Lb1ELb0EPKfPfN6thrust23THRUST_200600_302600_NS4plusIfEEEE10hipError_tPvRmT2_T3_mT4_P12ihipStream_tbEUlT_E_NS1_11comp_targetILNS1_3genE10ELNS1_11target_archE1201ELNS1_3gpuE5ELNS1_3repE0EEENS1_30default_config_static_selectorELNS0_4arch9wavefront6targetE1EEEvT1_.kd
    .uniform_work_group_size: 1
    .uses_dynamic_stack: false
    .vgpr_count:     0
    .vgpr_spill_count: 0
    .wavefront_size: 64
  - .agpr_count:     0
    .args:
      - .offset:         0
        .size:           56
        .value_kind:     by_value
    .group_segment_fixed_size: 3072
    .kernarg_segment_align: 8
    .kernarg_segment_size: 56
    .language:       OpenCL C
    .language_version:
      - 2
      - 0
    .max_flat_workgroup_size: 256
    .name:           _ZN7rocprim17ROCPRIM_400000_NS6detail17trampoline_kernelINS0_14default_configENS1_35adjacent_difference_config_selectorILb1EfEEZNS1_24adjacent_difference_implIS3_Lb1ELb0EPKfPfN6thrust23THRUST_200600_302600_NS4plusIfEEEE10hipError_tPvRmT2_T3_mT4_P12ihipStream_tbEUlT_E_NS1_11comp_targetILNS1_3genE5ELNS1_11target_archE942ELNS1_3gpuE9ELNS1_3repE0EEENS1_30default_config_static_selectorELNS0_4arch9wavefront6targetE1EEEvT1_
    .private_segment_fixed_size: 0
    .sgpr_count:     35
    .sgpr_spill_count: 0
    .symbol:         _ZN7rocprim17ROCPRIM_400000_NS6detail17trampoline_kernelINS0_14default_configENS1_35adjacent_difference_config_selectorILb1EfEEZNS1_24adjacent_difference_implIS3_Lb1ELb0EPKfPfN6thrust23THRUST_200600_302600_NS4plusIfEEEE10hipError_tPvRmT2_T3_mT4_P12ihipStream_tbEUlT_E_NS1_11comp_targetILNS1_3genE5ELNS1_11target_archE942ELNS1_3gpuE9ELNS1_3repE0EEENS1_30default_config_static_selectorELNS0_4arch9wavefront6targetE1EEEvT1_.kd
    .uniform_work_group_size: 1
    .uses_dynamic_stack: false
    .vgpr_count:     12
    .vgpr_spill_count: 0
    .wavefront_size: 64
  - .agpr_count:     0
    .args:
      - .offset:         0
        .size:           56
        .value_kind:     by_value
    .group_segment_fixed_size: 0
    .kernarg_segment_align: 8
    .kernarg_segment_size: 56
    .language:       OpenCL C
    .language_version:
      - 2
      - 0
    .max_flat_workgroup_size: 512
    .name:           _ZN7rocprim17ROCPRIM_400000_NS6detail17trampoline_kernelINS0_14default_configENS1_35adjacent_difference_config_selectorILb1EfEEZNS1_24adjacent_difference_implIS3_Lb1ELb0EPKfPfN6thrust23THRUST_200600_302600_NS4plusIfEEEE10hipError_tPvRmT2_T3_mT4_P12ihipStream_tbEUlT_E_NS1_11comp_targetILNS1_3genE4ELNS1_11target_archE910ELNS1_3gpuE8ELNS1_3repE0EEENS1_30default_config_static_selectorELNS0_4arch9wavefront6targetE1EEEvT1_
    .private_segment_fixed_size: 0
    .sgpr_count:     6
    .sgpr_spill_count: 0
    .symbol:         _ZN7rocprim17ROCPRIM_400000_NS6detail17trampoline_kernelINS0_14default_configENS1_35adjacent_difference_config_selectorILb1EfEEZNS1_24adjacent_difference_implIS3_Lb1ELb0EPKfPfN6thrust23THRUST_200600_302600_NS4plusIfEEEE10hipError_tPvRmT2_T3_mT4_P12ihipStream_tbEUlT_E_NS1_11comp_targetILNS1_3genE4ELNS1_11target_archE910ELNS1_3gpuE8ELNS1_3repE0EEENS1_30default_config_static_selectorELNS0_4arch9wavefront6targetE1EEEvT1_.kd
    .uniform_work_group_size: 1
    .uses_dynamic_stack: false
    .vgpr_count:     0
    .vgpr_spill_count: 0
    .wavefront_size: 64
  - .agpr_count:     0
    .args:
      - .offset:         0
        .size:           56
        .value_kind:     by_value
    .group_segment_fixed_size: 0
    .kernarg_segment_align: 8
    .kernarg_segment_size: 56
    .language:       OpenCL C
    .language_version:
      - 2
      - 0
    .max_flat_workgroup_size: 1024
    .name:           _ZN7rocprim17ROCPRIM_400000_NS6detail17trampoline_kernelINS0_14default_configENS1_35adjacent_difference_config_selectorILb1EfEEZNS1_24adjacent_difference_implIS3_Lb1ELb0EPKfPfN6thrust23THRUST_200600_302600_NS4plusIfEEEE10hipError_tPvRmT2_T3_mT4_P12ihipStream_tbEUlT_E_NS1_11comp_targetILNS1_3genE3ELNS1_11target_archE908ELNS1_3gpuE7ELNS1_3repE0EEENS1_30default_config_static_selectorELNS0_4arch9wavefront6targetE1EEEvT1_
    .private_segment_fixed_size: 0
    .sgpr_count:     6
    .sgpr_spill_count: 0
    .symbol:         _ZN7rocprim17ROCPRIM_400000_NS6detail17trampoline_kernelINS0_14default_configENS1_35adjacent_difference_config_selectorILb1EfEEZNS1_24adjacent_difference_implIS3_Lb1ELb0EPKfPfN6thrust23THRUST_200600_302600_NS4plusIfEEEE10hipError_tPvRmT2_T3_mT4_P12ihipStream_tbEUlT_E_NS1_11comp_targetILNS1_3genE3ELNS1_11target_archE908ELNS1_3gpuE7ELNS1_3repE0EEENS1_30default_config_static_selectorELNS0_4arch9wavefront6targetE1EEEvT1_.kd
    .uniform_work_group_size: 1
    .uses_dynamic_stack: false
    .vgpr_count:     0
    .vgpr_spill_count: 0
    .wavefront_size: 64
  - .agpr_count:     0
    .args:
      - .offset:         0
        .size:           56
        .value_kind:     by_value
    .group_segment_fixed_size: 0
    .kernarg_segment_align: 8
    .kernarg_segment_size: 56
    .language:       OpenCL C
    .language_version:
      - 2
      - 0
    .max_flat_workgroup_size: 256
    .name:           _ZN7rocprim17ROCPRIM_400000_NS6detail17trampoline_kernelINS0_14default_configENS1_35adjacent_difference_config_selectorILb1EfEEZNS1_24adjacent_difference_implIS3_Lb1ELb0EPKfPfN6thrust23THRUST_200600_302600_NS4plusIfEEEE10hipError_tPvRmT2_T3_mT4_P12ihipStream_tbEUlT_E_NS1_11comp_targetILNS1_3genE2ELNS1_11target_archE906ELNS1_3gpuE6ELNS1_3repE0EEENS1_30default_config_static_selectorELNS0_4arch9wavefront6targetE1EEEvT1_
    .private_segment_fixed_size: 0
    .sgpr_count:     6
    .sgpr_spill_count: 0
    .symbol:         _ZN7rocprim17ROCPRIM_400000_NS6detail17trampoline_kernelINS0_14default_configENS1_35adjacent_difference_config_selectorILb1EfEEZNS1_24adjacent_difference_implIS3_Lb1ELb0EPKfPfN6thrust23THRUST_200600_302600_NS4plusIfEEEE10hipError_tPvRmT2_T3_mT4_P12ihipStream_tbEUlT_E_NS1_11comp_targetILNS1_3genE2ELNS1_11target_archE906ELNS1_3gpuE6ELNS1_3repE0EEENS1_30default_config_static_selectorELNS0_4arch9wavefront6targetE1EEEvT1_.kd
    .uniform_work_group_size: 1
    .uses_dynamic_stack: false
    .vgpr_count:     0
    .vgpr_spill_count: 0
    .wavefront_size: 64
  - .agpr_count:     0
    .args:
      - .offset:         0
        .size:           56
        .value_kind:     by_value
    .group_segment_fixed_size: 0
    .kernarg_segment_align: 8
    .kernarg_segment_size: 56
    .language:       OpenCL C
    .language_version:
      - 2
      - 0
    .max_flat_workgroup_size: 128
    .name:           _ZN7rocprim17ROCPRIM_400000_NS6detail17trampoline_kernelINS0_14default_configENS1_35adjacent_difference_config_selectorILb1EfEEZNS1_24adjacent_difference_implIS3_Lb1ELb0EPKfPfN6thrust23THRUST_200600_302600_NS4plusIfEEEE10hipError_tPvRmT2_T3_mT4_P12ihipStream_tbEUlT_E_NS1_11comp_targetILNS1_3genE9ELNS1_11target_archE1100ELNS1_3gpuE3ELNS1_3repE0EEENS1_30default_config_static_selectorELNS0_4arch9wavefront6targetE1EEEvT1_
    .private_segment_fixed_size: 0
    .sgpr_count:     6
    .sgpr_spill_count: 0
    .symbol:         _ZN7rocprim17ROCPRIM_400000_NS6detail17trampoline_kernelINS0_14default_configENS1_35adjacent_difference_config_selectorILb1EfEEZNS1_24adjacent_difference_implIS3_Lb1ELb0EPKfPfN6thrust23THRUST_200600_302600_NS4plusIfEEEE10hipError_tPvRmT2_T3_mT4_P12ihipStream_tbEUlT_E_NS1_11comp_targetILNS1_3genE9ELNS1_11target_archE1100ELNS1_3gpuE3ELNS1_3repE0EEENS1_30default_config_static_selectorELNS0_4arch9wavefront6targetE1EEEvT1_.kd
    .uniform_work_group_size: 1
    .uses_dynamic_stack: false
    .vgpr_count:     0
    .vgpr_spill_count: 0
    .wavefront_size: 64
  - .agpr_count:     0
    .args:
      - .offset:         0
        .size:           56
        .value_kind:     by_value
    .group_segment_fixed_size: 0
    .kernarg_segment_align: 8
    .kernarg_segment_size: 56
    .language:       OpenCL C
    .language_version:
      - 2
      - 0
    .max_flat_workgroup_size: 32
    .name:           _ZN7rocprim17ROCPRIM_400000_NS6detail17trampoline_kernelINS0_14default_configENS1_35adjacent_difference_config_selectorILb1EfEEZNS1_24adjacent_difference_implIS3_Lb1ELb0EPKfPfN6thrust23THRUST_200600_302600_NS4plusIfEEEE10hipError_tPvRmT2_T3_mT4_P12ihipStream_tbEUlT_E_NS1_11comp_targetILNS1_3genE8ELNS1_11target_archE1030ELNS1_3gpuE2ELNS1_3repE0EEENS1_30default_config_static_selectorELNS0_4arch9wavefront6targetE1EEEvT1_
    .private_segment_fixed_size: 0
    .sgpr_count:     6
    .sgpr_spill_count: 0
    .symbol:         _ZN7rocprim17ROCPRIM_400000_NS6detail17trampoline_kernelINS0_14default_configENS1_35adjacent_difference_config_selectorILb1EfEEZNS1_24adjacent_difference_implIS3_Lb1ELb0EPKfPfN6thrust23THRUST_200600_302600_NS4plusIfEEEE10hipError_tPvRmT2_T3_mT4_P12ihipStream_tbEUlT_E_NS1_11comp_targetILNS1_3genE8ELNS1_11target_archE1030ELNS1_3gpuE2ELNS1_3repE0EEENS1_30default_config_static_selectorELNS0_4arch9wavefront6targetE1EEEvT1_.kd
    .uniform_work_group_size: 1
    .uses_dynamic_stack: false
    .vgpr_count:     0
    .vgpr_spill_count: 0
    .wavefront_size: 64
  - .agpr_count:     0
    .args:
      - .offset:         0
        .size:           56
        .value_kind:     by_value
    .group_segment_fixed_size: 0
    .kernarg_segment_align: 8
    .kernarg_segment_size: 56
    .language:       OpenCL C
    .language_version:
      - 2
      - 0
    .max_flat_workgroup_size: 128
    .name:           _ZN7rocprim17ROCPRIM_400000_NS6detail17trampoline_kernelINS0_14default_configENS1_35adjacent_difference_config_selectorILb0EdEEZNS1_24adjacent_difference_implIS3_Lb0ELb0EPKdPdN6thrust23THRUST_200600_302600_NS4plusIdEEEE10hipError_tPvRmT2_T3_mT4_P12ihipStream_tbEUlT_E_NS1_11comp_targetILNS1_3genE0ELNS1_11target_archE4294967295ELNS1_3gpuE0ELNS1_3repE0EEENS1_30default_config_static_selectorELNS0_4arch9wavefront6targetE1EEEvT1_
    .private_segment_fixed_size: 0
    .sgpr_count:     6
    .sgpr_spill_count: 0
    .symbol:         _ZN7rocprim17ROCPRIM_400000_NS6detail17trampoline_kernelINS0_14default_configENS1_35adjacent_difference_config_selectorILb0EdEEZNS1_24adjacent_difference_implIS3_Lb0ELb0EPKdPdN6thrust23THRUST_200600_302600_NS4plusIdEEEE10hipError_tPvRmT2_T3_mT4_P12ihipStream_tbEUlT_E_NS1_11comp_targetILNS1_3genE0ELNS1_11target_archE4294967295ELNS1_3gpuE0ELNS1_3repE0EEENS1_30default_config_static_selectorELNS0_4arch9wavefront6targetE1EEEvT1_.kd
    .uniform_work_group_size: 1
    .uses_dynamic_stack: false
    .vgpr_count:     0
    .vgpr_spill_count: 0
    .wavefront_size: 64
  - .agpr_count:     0
    .args:
      - .offset:         0
        .size:           56
        .value_kind:     by_value
    .group_segment_fixed_size: 0
    .kernarg_segment_align: 8
    .kernarg_segment_size: 56
    .language:       OpenCL C
    .language_version:
      - 2
      - 0
    .max_flat_workgroup_size: 32
    .name:           _ZN7rocprim17ROCPRIM_400000_NS6detail17trampoline_kernelINS0_14default_configENS1_35adjacent_difference_config_selectorILb0EdEEZNS1_24adjacent_difference_implIS3_Lb0ELb0EPKdPdN6thrust23THRUST_200600_302600_NS4plusIdEEEE10hipError_tPvRmT2_T3_mT4_P12ihipStream_tbEUlT_E_NS1_11comp_targetILNS1_3genE10ELNS1_11target_archE1201ELNS1_3gpuE5ELNS1_3repE0EEENS1_30default_config_static_selectorELNS0_4arch9wavefront6targetE1EEEvT1_
    .private_segment_fixed_size: 0
    .sgpr_count:     6
    .sgpr_spill_count: 0
    .symbol:         _ZN7rocprim17ROCPRIM_400000_NS6detail17trampoline_kernelINS0_14default_configENS1_35adjacent_difference_config_selectorILb0EdEEZNS1_24adjacent_difference_implIS3_Lb0ELb0EPKdPdN6thrust23THRUST_200600_302600_NS4plusIdEEEE10hipError_tPvRmT2_T3_mT4_P12ihipStream_tbEUlT_E_NS1_11comp_targetILNS1_3genE10ELNS1_11target_archE1201ELNS1_3gpuE5ELNS1_3repE0EEENS1_30default_config_static_selectorELNS0_4arch9wavefront6targetE1EEEvT1_.kd
    .uniform_work_group_size: 1
    .uses_dynamic_stack: false
    .vgpr_count:     0
    .vgpr_spill_count: 0
    .wavefront_size: 64
  - .agpr_count:     0
    .args:
      - .offset:         0
        .size:           56
        .value_kind:     by_value
    .group_segment_fixed_size: 6656
    .kernarg_segment_align: 8
    .kernarg_segment_size: 56
    .language:       OpenCL C
    .language_version:
      - 2
      - 0
    .max_flat_workgroup_size: 64
    .name:           _ZN7rocprim17ROCPRIM_400000_NS6detail17trampoline_kernelINS0_14default_configENS1_35adjacent_difference_config_selectorILb0EdEEZNS1_24adjacent_difference_implIS3_Lb0ELb0EPKdPdN6thrust23THRUST_200600_302600_NS4plusIdEEEE10hipError_tPvRmT2_T3_mT4_P12ihipStream_tbEUlT_E_NS1_11comp_targetILNS1_3genE5ELNS1_11target_archE942ELNS1_3gpuE9ELNS1_3repE0EEENS1_30default_config_static_selectorELNS0_4arch9wavefront6targetE1EEEvT1_
    .private_segment_fixed_size: 0
    .sgpr_count:     29
    .sgpr_spill_count: 0
    .symbol:         _ZN7rocprim17ROCPRIM_400000_NS6detail17trampoline_kernelINS0_14default_configENS1_35adjacent_difference_config_selectorILb0EdEEZNS1_24adjacent_difference_implIS3_Lb0ELb0EPKdPdN6thrust23THRUST_200600_302600_NS4plusIdEEEE10hipError_tPvRmT2_T3_mT4_P12ihipStream_tbEUlT_E_NS1_11comp_targetILNS1_3genE5ELNS1_11target_archE942ELNS1_3gpuE9ELNS1_3repE0EEENS1_30default_config_static_selectorELNS0_4arch9wavefront6targetE1EEEvT1_.kd
    .uniform_work_group_size: 1
    .uses_dynamic_stack: false
    .vgpr_count:     68
    .vgpr_spill_count: 0
    .wavefront_size: 64
  - .agpr_count:     0
    .args:
      - .offset:         0
        .size:           56
        .value_kind:     by_value
    .group_segment_fixed_size: 0
    .kernarg_segment_align: 8
    .kernarg_segment_size: 56
    .language:       OpenCL C
    .language_version:
      - 2
      - 0
    .max_flat_workgroup_size: 256
    .name:           _ZN7rocprim17ROCPRIM_400000_NS6detail17trampoline_kernelINS0_14default_configENS1_35adjacent_difference_config_selectorILb0EdEEZNS1_24adjacent_difference_implIS3_Lb0ELb0EPKdPdN6thrust23THRUST_200600_302600_NS4plusIdEEEE10hipError_tPvRmT2_T3_mT4_P12ihipStream_tbEUlT_E_NS1_11comp_targetILNS1_3genE4ELNS1_11target_archE910ELNS1_3gpuE8ELNS1_3repE0EEENS1_30default_config_static_selectorELNS0_4arch9wavefront6targetE1EEEvT1_
    .private_segment_fixed_size: 0
    .sgpr_count:     6
    .sgpr_spill_count: 0
    .symbol:         _ZN7rocprim17ROCPRIM_400000_NS6detail17trampoline_kernelINS0_14default_configENS1_35adjacent_difference_config_selectorILb0EdEEZNS1_24adjacent_difference_implIS3_Lb0ELb0EPKdPdN6thrust23THRUST_200600_302600_NS4plusIdEEEE10hipError_tPvRmT2_T3_mT4_P12ihipStream_tbEUlT_E_NS1_11comp_targetILNS1_3genE4ELNS1_11target_archE910ELNS1_3gpuE8ELNS1_3repE0EEENS1_30default_config_static_selectorELNS0_4arch9wavefront6targetE1EEEvT1_.kd
    .uniform_work_group_size: 1
    .uses_dynamic_stack: false
    .vgpr_count:     0
    .vgpr_spill_count: 0
    .wavefront_size: 64
  - .agpr_count:     0
    .args:
      - .offset:         0
        .size:           56
        .value_kind:     by_value
    .group_segment_fixed_size: 0
    .kernarg_segment_align: 8
    .kernarg_segment_size: 56
    .language:       OpenCL C
    .language_version:
      - 2
      - 0
    .max_flat_workgroup_size: 128
    .name:           _ZN7rocprim17ROCPRIM_400000_NS6detail17trampoline_kernelINS0_14default_configENS1_35adjacent_difference_config_selectorILb0EdEEZNS1_24adjacent_difference_implIS3_Lb0ELb0EPKdPdN6thrust23THRUST_200600_302600_NS4plusIdEEEE10hipError_tPvRmT2_T3_mT4_P12ihipStream_tbEUlT_E_NS1_11comp_targetILNS1_3genE3ELNS1_11target_archE908ELNS1_3gpuE7ELNS1_3repE0EEENS1_30default_config_static_selectorELNS0_4arch9wavefront6targetE1EEEvT1_
    .private_segment_fixed_size: 0
    .sgpr_count:     6
    .sgpr_spill_count: 0
    .symbol:         _ZN7rocprim17ROCPRIM_400000_NS6detail17trampoline_kernelINS0_14default_configENS1_35adjacent_difference_config_selectorILb0EdEEZNS1_24adjacent_difference_implIS3_Lb0ELb0EPKdPdN6thrust23THRUST_200600_302600_NS4plusIdEEEE10hipError_tPvRmT2_T3_mT4_P12ihipStream_tbEUlT_E_NS1_11comp_targetILNS1_3genE3ELNS1_11target_archE908ELNS1_3gpuE7ELNS1_3repE0EEENS1_30default_config_static_selectorELNS0_4arch9wavefront6targetE1EEEvT1_.kd
    .uniform_work_group_size: 1
    .uses_dynamic_stack: false
    .vgpr_count:     0
    .vgpr_spill_count: 0
    .wavefront_size: 64
  - .agpr_count:     0
    .args:
      - .offset:         0
        .size:           56
        .value_kind:     by_value
    .group_segment_fixed_size: 0
    .kernarg_segment_align: 8
    .kernarg_segment_size: 56
    .language:       OpenCL C
    .language_version:
      - 2
      - 0
    .max_flat_workgroup_size: 1024
    .name:           _ZN7rocprim17ROCPRIM_400000_NS6detail17trampoline_kernelINS0_14default_configENS1_35adjacent_difference_config_selectorILb0EdEEZNS1_24adjacent_difference_implIS3_Lb0ELb0EPKdPdN6thrust23THRUST_200600_302600_NS4plusIdEEEE10hipError_tPvRmT2_T3_mT4_P12ihipStream_tbEUlT_E_NS1_11comp_targetILNS1_3genE2ELNS1_11target_archE906ELNS1_3gpuE6ELNS1_3repE0EEENS1_30default_config_static_selectorELNS0_4arch9wavefront6targetE1EEEvT1_
    .private_segment_fixed_size: 0
    .sgpr_count:     6
    .sgpr_spill_count: 0
    .symbol:         _ZN7rocprim17ROCPRIM_400000_NS6detail17trampoline_kernelINS0_14default_configENS1_35adjacent_difference_config_selectorILb0EdEEZNS1_24adjacent_difference_implIS3_Lb0ELb0EPKdPdN6thrust23THRUST_200600_302600_NS4plusIdEEEE10hipError_tPvRmT2_T3_mT4_P12ihipStream_tbEUlT_E_NS1_11comp_targetILNS1_3genE2ELNS1_11target_archE906ELNS1_3gpuE6ELNS1_3repE0EEENS1_30default_config_static_selectorELNS0_4arch9wavefront6targetE1EEEvT1_.kd
    .uniform_work_group_size: 1
    .uses_dynamic_stack: false
    .vgpr_count:     0
    .vgpr_spill_count: 0
    .wavefront_size: 64
  - .agpr_count:     0
    .args:
      - .offset:         0
        .size:           56
        .value_kind:     by_value
    .group_segment_fixed_size: 0
    .kernarg_segment_align: 8
    .kernarg_segment_size: 56
    .language:       OpenCL C
    .language_version:
      - 2
      - 0
    .max_flat_workgroup_size: 1024
    .name:           _ZN7rocprim17ROCPRIM_400000_NS6detail17trampoline_kernelINS0_14default_configENS1_35adjacent_difference_config_selectorILb0EdEEZNS1_24adjacent_difference_implIS3_Lb0ELb0EPKdPdN6thrust23THRUST_200600_302600_NS4plusIdEEEE10hipError_tPvRmT2_T3_mT4_P12ihipStream_tbEUlT_E_NS1_11comp_targetILNS1_3genE9ELNS1_11target_archE1100ELNS1_3gpuE3ELNS1_3repE0EEENS1_30default_config_static_selectorELNS0_4arch9wavefront6targetE1EEEvT1_
    .private_segment_fixed_size: 0
    .sgpr_count:     6
    .sgpr_spill_count: 0
    .symbol:         _ZN7rocprim17ROCPRIM_400000_NS6detail17trampoline_kernelINS0_14default_configENS1_35adjacent_difference_config_selectorILb0EdEEZNS1_24adjacent_difference_implIS3_Lb0ELb0EPKdPdN6thrust23THRUST_200600_302600_NS4plusIdEEEE10hipError_tPvRmT2_T3_mT4_P12ihipStream_tbEUlT_E_NS1_11comp_targetILNS1_3genE9ELNS1_11target_archE1100ELNS1_3gpuE3ELNS1_3repE0EEENS1_30default_config_static_selectorELNS0_4arch9wavefront6targetE1EEEvT1_.kd
    .uniform_work_group_size: 1
    .uses_dynamic_stack: false
    .vgpr_count:     0
    .vgpr_spill_count: 0
    .wavefront_size: 64
  - .agpr_count:     0
    .args:
      - .offset:         0
        .size:           56
        .value_kind:     by_value
    .group_segment_fixed_size: 0
    .kernarg_segment_align: 8
    .kernarg_segment_size: 56
    .language:       OpenCL C
    .language_version:
      - 2
      - 0
    .max_flat_workgroup_size: 1024
    .name:           _ZN7rocprim17ROCPRIM_400000_NS6detail17trampoline_kernelINS0_14default_configENS1_35adjacent_difference_config_selectorILb0EdEEZNS1_24adjacent_difference_implIS3_Lb0ELb0EPKdPdN6thrust23THRUST_200600_302600_NS4plusIdEEEE10hipError_tPvRmT2_T3_mT4_P12ihipStream_tbEUlT_E_NS1_11comp_targetILNS1_3genE8ELNS1_11target_archE1030ELNS1_3gpuE2ELNS1_3repE0EEENS1_30default_config_static_selectorELNS0_4arch9wavefront6targetE1EEEvT1_
    .private_segment_fixed_size: 0
    .sgpr_count:     6
    .sgpr_spill_count: 0
    .symbol:         _ZN7rocprim17ROCPRIM_400000_NS6detail17trampoline_kernelINS0_14default_configENS1_35adjacent_difference_config_selectorILb0EdEEZNS1_24adjacent_difference_implIS3_Lb0ELb0EPKdPdN6thrust23THRUST_200600_302600_NS4plusIdEEEE10hipError_tPvRmT2_T3_mT4_P12ihipStream_tbEUlT_E_NS1_11comp_targetILNS1_3genE8ELNS1_11target_archE1030ELNS1_3gpuE2ELNS1_3repE0EEENS1_30default_config_static_selectorELNS0_4arch9wavefront6targetE1EEEvT1_.kd
    .uniform_work_group_size: 1
    .uses_dynamic_stack: false
    .vgpr_count:     0
    .vgpr_spill_count: 0
    .wavefront_size: 64
  - .agpr_count:     0
    .args:
      - .offset:         0
        .size:           56
        .value_kind:     by_value
    .group_segment_fixed_size: 0
    .kernarg_segment_align: 8
    .kernarg_segment_size: 56
    .language:       OpenCL C
    .language_version:
      - 2
      - 0
    .max_flat_workgroup_size: 128
    .name:           _ZN7rocprim17ROCPRIM_400000_NS6detail17trampoline_kernelINS0_14default_configENS1_25transform_config_selectorIdLb0EEEZNS1_14transform_implILb0ES3_S5_NS0_18transform_iteratorINS0_17counting_iteratorImlEEZNS1_24adjacent_difference_implIS3_Lb1ELb0EPKdPdN6thrust23THRUST_200600_302600_NS4plusIdEEEE10hipError_tPvRmT2_T3_mT4_P12ihipStream_tbEUlmE_dEESD_NS0_8identityIvEEEESI_SL_SM_mSN_SP_bEUlT_E_NS1_11comp_targetILNS1_3genE0ELNS1_11target_archE4294967295ELNS1_3gpuE0ELNS1_3repE0EEENS1_30default_config_static_selectorELNS0_4arch9wavefront6targetE1EEEvT1_
    .private_segment_fixed_size: 0
    .sgpr_count:     6
    .sgpr_spill_count: 0
    .symbol:         _ZN7rocprim17ROCPRIM_400000_NS6detail17trampoline_kernelINS0_14default_configENS1_25transform_config_selectorIdLb0EEEZNS1_14transform_implILb0ES3_S5_NS0_18transform_iteratorINS0_17counting_iteratorImlEEZNS1_24adjacent_difference_implIS3_Lb1ELb0EPKdPdN6thrust23THRUST_200600_302600_NS4plusIdEEEE10hipError_tPvRmT2_T3_mT4_P12ihipStream_tbEUlmE_dEESD_NS0_8identityIvEEEESI_SL_SM_mSN_SP_bEUlT_E_NS1_11comp_targetILNS1_3genE0ELNS1_11target_archE4294967295ELNS1_3gpuE0ELNS1_3repE0EEENS1_30default_config_static_selectorELNS0_4arch9wavefront6targetE1EEEvT1_.kd
    .uniform_work_group_size: 1
    .uses_dynamic_stack: false
    .vgpr_count:     0
    .vgpr_spill_count: 0
    .wavefront_size: 64
  - .agpr_count:     0
    .args:
      - .offset:         0
        .size:           56
        .value_kind:     by_value
      - .offset:         56
        .size:           4
        .value_kind:     hidden_block_count_x
      - .offset:         60
        .size:           4
        .value_kind:     hidden_block_count_y
      - .offset:         64
        .size:           4
        .value_kind:     hidden_block_count_z
      - .offset:         68
        .size:           2
        .value_kind:     hidden_group_size_x
      - .offset:         70
        .size:           2
        .value_kind:     hidden_group_size_y
      - .offset:         72
        .size:           2
        .value_kind:     hidden_group_size_z
      - .offset:         74
        .size:           2
        .value_kind:     hidden_remainder_x
      - .offset:         76
        .size:           2
        .value_kind:     hidden_remainder_y
      - .offset:         78
        .size:           2
        .value_kind:     hidden_remainder_z
      - .offset:         96
        .size:           8
        .value_kind:     hidden_global_offset_x
      - .offset:         104
        .size:           8
        .value_kind:     hidden_global_offset_y
      - .offset:         112
        .size:           8
        .value_kind:     hidden_global_offset_z
      - .offset:         120
        .size:           2
        .value_kind:     hidden_grid_dims
    .group_segment_fixed_size: 0
    .kernarg_segment_align: 8
    .kernarg_segment_size: 312
    .language:       OpenCL C
    .language_version:
      - 2
      - 0
    .max_flat_workgroup_size: 512
    .name:           _ZN7rocprim17ROCPRIM_400000_NS6detail17trampoline_kernelINS0_14default_configENS1_25transform_config_selectorIdLb0EEEZNS1_14transform_implILb0ES3_S5_NS0_18transform_iteratorINS0_17counting_iteratorImlEEZNS1_24adjacent_difference_implIS3_Lb1ELb0EPKdPdN6thrust23THRUST_200600_302600_NS4plusIdEEEE10hipError_tPvRmT2_T3_mT4_P12ihipStream_tbEUlmE_dEESD_NS0_8identityIvEEEESI_SL_SM_mSN_SP_bEUlT_E_NS1_11comp_targetILNS1_3genE5ELNS1_11target_archE942ELNS1_3gpuE9ELNS1_3repE0EEENS1_30default_config_static_selectorELNS0_4arch9wavefront6targetE1EEEvT1_
    .private_segment_fixed_size: 0
    .sgpr_count:     26
    .sgpr_spill_count: 0
    .symbol:         _ZN7rocprim17ROCPRIM_400000_NS6detail17trampoline_kernelINS0_14default_configENS1_25transform_config_selectorIdLb0EEEZNS1_14transform_implILb0ES3_S5_NS0_18transform_iteratorINS0_17counting_iteratorImlEEZNS1_24adjacent_difference_implIS3_Lb1ELb0EPKdPdN6thrust23THRUST_200600_302600_NS4plusIdEEEE10hipError_tPvRmT2_T3_mT4_P12ihipStream_tbEUlmE_dEESD_NS0_8identityIvEEEESI_SL_SM_mSN_SP_bEUlT_E_NS1_11comp_targetILNS1_3genE5ELNS1_11target_archE942ELNS1_3gpuE9ELNS1_3repE0EEENS1_30default_config_static_selectorELNS0_4arch9wavefront6targetE1EEEvT1_.kd
    .uniform_work_group_size: 1
    .uses_dynamic_stack: false
    .vgpr_count:     20
    .vgpr_spill_count: 0
    .wavefront_size: 64
  - .agpr_count:     0
    .args:
      - .offset:         0
        .size:           56
        .value_kind:     by_value
    .group_segment_fixed_size: 0
    .kernarg_segment_align: 8
    .kernarg_segment_size: 56
    .language:       OpenCL C
    .language_version:
      - 2
      - 0
    .max_flat_workgroup_size: 256
    .name:           _ZN7rocprim17ROCPRIM_400000_NS6detail17trampoline_kernelINS0_14default_configENS1_25transform_config_selectorIdLb0EEEZNS1_14transform_implILb0ES3_S5_NS0_18transform_iteratorINS0_17counting_iteratorImlEEZNS1_24adjacent_difference_implIS3_Lb1ELb0EPKdPdN6thrust23THRUST_200600_302600_NS4plusIdEEEE10hipError_tPvRmT2_T3_mT4_P12ihipStream_tbEUlmE_dEESD_NS0_8identityIvEEEESI_SL_SM_mSN_SP_bEUlT_E_NS1_11comp_targetILNS1_3genE4ELNS1_11target_archE910ELNS1_3gpuE8ELNS1_3repE0EEENS1_30default_config_static_selectorELNS0_4arch9wavefront6targetE1EEEvT1_
    .private_segment_fixed_size: 0
    .sgpr_count:     6
    .sgpr_spill_count: 0
    .symbol:         _ZN7rocprim17ROCPRIM_400000_NS6detail17trampoline_kernelINS0_14default_configENS1_25transform_config_selectorIdLb0EEEZNS1_14transform_implILb0ES3_S5_NS0_18transform_iteratorINS0_17counting_iteratorImlEEZNS1_24adjacent_difference_implIS3_Lb1ELb0EPKdPdN6thrust23THRUST_200600_302600_NS4plusIdEEEE10hipError_tPvRmT2_T3_mT4_P12ihipStream_tbEUlmE_dEESD_NS0_8identityIvEEEESI_SL_SM_mSN_SP_bEUlT_E_NS1_11comp_targetILNS1_3genE4ELNS1_11target_archE910ELNS1_3gpuE8ELNS1_3repE0EEENS1_30default_config_static_selectorELNS0_4arch9wavefront6targetE1EEEvT1_.kd
    .uniform_work_group_size: 1
    .uses_dynamic_stack: false
    .vgpr_count:     0
    .vgpr_spill_count: 0
    .wavefront_size: 64
  - .agpr_count:     0
    .args:
      - .offset:         0
        .size:           56
        .value_kind:     by_value
    .group_segment_fixed_size: 0
    .kernarg_segment_align: 8
    .kernarg_segment_size: 56
    .language:       OpenCL C
    .language_version:
      - 2
      - 0
    .max_flat_workgroup_size: 128
    .name:           _ZN7rocprim17ROCPRIM_400000_NS6detail17trampoline_kernelINS0_14default_configENS1_25transform_config_selectorIdLb0EEEZNS1_14transform_implILb0ES3_S5_NS0_18transform_iteratorINS0_17counting_iteratorImlEEZNS1_24adjacent_difference_implIS3_Lb1ELb0EPKdPdN6thrust23THRUST_200600_302600_NS4plusIdEEEE10hipError_tPvRmT2_T3_mT4_P12ihipStream_tbEUlmE_dEESD_NS0_8identityIvEEEESI_SL_SM_mSN_SP_bEUlT_E_NS1_11comp_targetILNS1_3genE3ELNS1_11target_archE908ELNS1_3gpuE7ELNS1_3repE0EEENS1_30default_config_static_selectorELNS0_4arch9wavefront6targetE1EEEvT1_
    .private_segment_fixed_size: 0
    .sgpr_count:     6
    .sgpr_spill_count: 0
    .symbol:         _ZN7rocprim17ROCPRIM_400000_NS6detail17trampoline_kernelINS0_14default_configENS1_25transform_config_selectorIdLb0EEEZNS1_14transform_implILb0ES3_S5_NS0_18transform_iteratorINS0_17counting_iteratorImlEEZNS1_24adjacent_difference_implIS3_Lb1ELb0EPKdPdN6thrust23THRUST_200600_302600_NS4plusIdEEEE10hipError_tPvRmT2_T3_mT4_P12ihipStream_tbEUlmE_dEESD_NS0_8identityIvEEEESI_SL_SM_mSN_SP_bEUlT_E_NS1_11comp_targetILNS1_3genE3ELNS1_11target_archE908ELNS1_3gpuE7ELNS1_3repE0EEENS1_30default_config_static_selectorELNS0_4arch9wavefront6targetE1EEEvT1_.kd
    .uniform_work_group_size: 1
    .uses_dynamic_stack: false
    .vgpr_count:     0
    .vgpr_spill_count: 0
    .wavefront_size: 64
  - .agpr_count:     0
    .args:
      - .offset:         0
        .size:           56
        .value_kind:     by_value
    .group_segment_fixed_size: 0
    .kernarg_segment_align: 8
    .kernarg_segment_size: 56
    .language:       OpenCL C
    .language_version:
      - 2
      - 0
    .max_flat_workgroup_size: 1024
    .name:           _ZN7rocprim17ROCPRIM_400000_NS6detail17trampoline_kernelINS0_14default_configENS1_25transform_config_selectorIdLb0EEEZNS1_14transform_implILb0ES3_S5_NS0_18transform_iteratorINS0_17counting_iteratorImlEEZNS1_24adjacent_difference_implIS3_Lb1ELb0EPKdPdN6thrust23THRUST_200600_302600_NS4plusIdEEEE10hipError_tPvRmT2_T3_mT4_P12ihipStream_tbEUlmE_dEESD_NS0_8identityIvEEEESI_SL_SM_mSN_SP_bEUlT_E_NS1_11comp_targetILNS1_3genE2ELNS1_11target_archE906ELNS1_3gpuE6ELNS1_3repE0EEENS1_30default_config_static_selectorELNS0_4arch9wavefront6targetE1EEEvT1_
    .private_segment_fixed_size: 0
    .sgpr_count:     6
    .sgpr_spill_count: 0
    .symbol:         _ZN7rocprim17ROCPRIM_400000_NS6detail17trampoline_kernelINS0_14default_configENS1_25transform_config_selectorIdLb0EEEZNS1_14transform_implILb0ES3_S5_NS0_18transform_iteratorINS0_17counting_iteratorImlEEZNS1_24adjacent_difference_implIS3_Lb1ELb0EPKdPdN6thrust23THRUST_200600_302600_NS4plusIdEEEE10hipError_tPvRmT2_T3_mT4_P12ihipStream_tbEUlmE_dEESD_NS0_8identityIvEEEESI_SL_SM_mSN_SP_bEUlT_E_NS1_11comp_targetILNS1_3genE2ELNS1_11target_archE906ELNS1_3gpuE6ELNS1_3repE0EEENS1_30default_config_static_selectorELNS0_4arch9wavefront6targetE1EEEvT1_.kd
    .uniform_work_group_size: 1
    .uses_dynamic_stack: false
    .vgpr_count:     0
    .vgpr_spill_count: 0
    .wavefront_size: 64
  - .agpr_count:     0
    .args:
      - .offset:         0
        .size:           56
        .value_kind:     by_value
    .group_segment_fixed_size: 0
    .kernarg_segment_align: 8
    .kernarg_segment_size: 56
    .language:       OpenCL C
    .language_version:
      - 2
      - 0
    .max_flat_workgroup_size: 64
    .name:           _ZN7rocprim17ROCPRIM_400000_NS6detail17trampoline_kernelINS0_14default_configENS1_25transform_config_selectorIdLb0EEEZNS1_14transform_implILb0ES3_S5_NS0_18transform_iteratorINS0_17counting_iteratorImlEEZNS1_24adjacent_difference_implIS3_Lb1ELb0EPKdPdN6thrust23THRUST_200600_302600_NS4plusIdEEEE10hipError_tPvRmT2_T3_mT4_P12ihipStream_tbEUlmE_dEESD_NS0_8identityIvEEEESI_SL_SM_mSN_SP_bEUlT_E_NS1_11comp_targetILNS1_3genE10ELNS1_11target_archE1201ELNS1_3gpuE5ELNS1_3repE0EEENS1_30default_config_static_selectorELNS0_4arch9wavefront6targetE1EEEvT1_
    .private_segment_fixed_size: 0
    .sgpr_count:     6
    .sgpr_spill_count: 0
    .symbol:         _ZN7rocprim17ROCPRIM_400000_NS6detail17trampoline_kernelINS0_14default_configENS1_25transform_config_selectorIdLb0EEEZNS1_14transform_implILb0ES3_S5_NS0_18transform_iteratorINS0_17counting_iteratorImlEEZNS1_24adjacent_difference_implIS3_Lb1ELb0EPKdPdN6thrust23THRUST_200600_302600_NS4plusIdEEEE10hipError_tPvRmT2_T3_mT4_P12ihipStream_tbEUlmE_dEESD_NS0_8identityIvEEEESI_SL_SM_mSN_SP_bEUlT_E_NS1_11comp_targetILNS1_3genE10ELNS1_11target_archE1201ELNS1_3gpuE5ELNS1_3repE0EEENS1_30default_config_static_selectorELNS0_4arch9wavefront6targetE1EEEvT1_.kd
    .uniform_work_group_size: 1
    .uses_dynamic_stack: false
    .vgpr_count:     0
    .vgpr_spill_count: 0
    .wavefront_size: 64
  - .agpr_count:     0
    .args:
      - .offset:         0
        .size:           56
        .value_kind:     by_value
    .group_segment_fixed_size: 0
    .kernarg_segment_align: 8
    .kernarg_segment_size: 56
    .language:       OpenCL C
    .language_version:
      - 2
      - 0
    .max_flat_workgroup_size: 512
    .name:           _ZN7rocprim17ROCPRIM_400000_NS6detail17trampoline_kernelINS0_14default_configENS1_25transform_config_selectorIdLb0EEEZNS1_14transform_implILb0ES3_S5_NS0_18transform_iteratorINS0_17counting_iteratorImlEEZNS1_24adjacent_difference_implIS3_Lb1ELb0EPKdPdN6thrust23THRUST_200600_302600_NS4plusIdEEEE10hipError_tPvRmT2_T3_mT4_P12ihipStream_tbEUlmE_dEESD_NS0_8identityIvEEEESI_SL_SM_mSN_SP_bEUlT_E_NS1_11comp_targetILNS1_3genE10ELNS1_11target_archE1200ELNS1_3gpuE4ELNS1_3repE0EEENS1_30default_config_static_selectorELNS0_4arch9wavefront6targetE1EEEvT1_
    .private_segment_fixed_size: 0
    .sgpr_count:     6
    .sgpr_spill_count: 0
    .symbol:         _ZN7rocprim17ROCPRIM_400000_NS6detail17trampoline_kernelINS0_14default_configENS1_25transform_config_selectorIdLb0EEEZNS1_14transform_implILb0ES3_S5_NS0_18transform_iteratorINS0_17counting_iteratorImlEEZNS1_24adjacent_difference_implIS3_Lb1ELb0EPKdPdN6thrust23THRUST_200600_302600_NS4plusIdEEEE10hipError_tPvRmT2_T3_mT4_P12ihipStream_tbEUlmE_dEESD_NS0_8identityIvEEEESI_SL_SM_mSN_SP_bEUlT_E_NS1_11comp_targetILNS1_3genE10ELNS1_11target_archE1200ELNS1_3gpuE4ELNS1_3repE0EEENS1_30default_config_static_selectorELNS0_4arch9wavefront6targetE1EEEvT1_.kd
    .uniform_work_group_size: 1
    .uses_dynamic_stack: false
    .vgpr_count:     0
    .vgpr_spill_count: 0
    .wavefront_size: 64
  - .agpr_count:     0
    .args:
      - .offset:         0
        .size:           56
        .value_kind:     by_value
    .group_segment_fixed_size: 0
    .kernarg_segment_align: 8
    .kernarg_segment_size: 56
    .language:       OpenCL C
    .language_version:
      - 2
      - 0
    .max_flat_workgroup_size: 512
    .name:           _ZN7rocprim17ROCPRIM_400000_NS6detail17trampoline_kernelINS0_14default_configENS1_25transform_config_selectorIdLb0EEEZNS1_14transform_implILb0ES3_S5_NS0_18transform_iteratorINS0_17counting_iteratorImlEEZNS1_24adjacent_difference_implIS3_Lb1ELb0EPKdPdN6thrust23THRUST_200600_302600_NS4plusIdEEEE10hipError_tPvRmT2_T3_mT4_P12ihipStream_tbEUlmE_dEESD_NS0_8identityIvEEEESI_SL_SM_mSN_SP_bEUlT_E_NS1_11comp_targetILNS1_3genE9ELNS1_11target_archE1100ELNS1_3gpuE3ELNS1_3repE0EEENS1_30default_config_static_selectorELNS0_4arch9wavefront6targetE1EEEvT1_
    .private_segment_fixed_size: 0
    .sgpr_count:     6
    .sgpr_spill_count: 0
    .symbol:         _ZN7rocprim17ROCPRIM_400000_NS6detail17trampoline_kernelINS0_14default_configENS1_25transform_config_selectorIdLb0EEEZNS1_14transform_implILb0ES3_S5_NS0_18transform_iteratorINS0_17counting_iteratorImlEEZNS1_24adjacent_difference_implIS3_Lb1ELb0EPKdPdN6thrust23THRUST_200600_302600_NS4plusIdEEEE10hipError_tPvRmT2_T3_mT4_P12ihipStream_tbEUlmE_dEESD_NS0_8identityIvEEEESI_SL_SM_mSN_SP_bEUlT_E_NS1_11comp_targetILNS1_3genE9ELNS1_11target_archE1100ELNS1_3gpuE3ELNS1_3repE0EEENS1_30default_config_static_selectorELNS0_4arch9wavefront6targetE1EEEvT1_.kd
    .uniform_work_group_size: 1
    .uses_dynamic_stack: false
    .vgpr_count:     0
    .vgpr_spill_count: 0
    .wavefront_size: 64
  - .agpr_count:     0
    .args:
      - .offset:         0
        .size:           56
        .value_kind:     by_value
    .group_segment_fixed_size: 0
    .kernarg_segment_align: 8
    .kernarg_segment_size: 56
    .language:       OpenCL C
    .language_version:
      - 2
      - 0
    .max_flat_workgroup_size: 512
    .name:           _ZN7rocprim17ROCPRIM_400000_NS6detail17trampoline_kernelINS0_14default_configENS1_25transform_config_selectorIdLb0EEEZNS1_14transform_implILb0ES3_S5_NS0_18transform_iteratorINS0_17counting_iteratorImlEEZNS1_24adjacent_difference_implIS3_Lb1ELb0EPKdPdN6thrust23THRUST_200600_302600_NS4plusIdEEEE10hipError_tPvRmT2_T3_mT4_P12ihipStream_tbEUlmE_dEESD_NS0_8identityIvEEEESI_SL_SM_mSN_SP_bEUlT_E_NS1_11comp_targetILNS1_3genE8ELNS1_11target_archE1030ELNS1_3gpuE2ELNS1_3repE0EEENS1_30default_config_static_selectorELNS0_4arch9wavefront6targetE1EEEvT1_
    .private_segment_fixed_size: 0
    .sgpr_count:     6
    .sgpr_spill_count: 0
    .symbol:         _ZN7rocprim17ROCPRIM_400000_NS6detail17trampoline_kernelINS0_14default_configENS1_25transform_config_selectorIdLb0EEEZNS1_14transform_implILb0ES3_S5_NS0_18transform_iteratorINS0_17counting_iteratorImlEEZNS1_24adjacent_difference_implIS3_Lb1ELb0EPKdPdN6thrust23THRUST_200600_302600_NS4plusIdEEEE10hipError_tPvRmT2_T3_mT4_P12ihipStream_tbEUlmE_dEESD_NS0_8identityIvEEEESI_SL_SM_mSN_SP_bEUlT_E_NS1_11comp_targetILNS1_3genE8ELNS1_11target_archE1030ELNS1_3gpuE2ELNS1_3repE0EEENS1_30default_config_static_selectorELNS0_4arch9wavefront6targetE1EEEvT1_.kd
    .uniform_work_group_size: 1
    .uses_dynamic_stack: false
    .vgpr_count:     0
    .vgpr_spill_count: 0
    .wavefront_size: 64
  - .agpr_count:     0
    .args:
      - .offset:         0
        .size:           56
        .value_kind:     by_value
    .group_segment_fixed_size: 0
    .kernarg_segment_align: 8
    .kernarg_segment_size: 56
    .language:       OpenCL C
    .language_version:
      - 2
      - 0
    .max_flat_workgroup_size: 512
    .name:           _ZN7rocprim17ROCPRIM_400000_NS6detail17trampoline_kernelINS0_14default_configENS1_35adjacent_difference_config_selectorILb1EdEEZNS1_24adjacent_difference_implIS3_Lb1ELb0EPKdPdN6thrust23THRUST_200600_302600_NS4plusIdEEEE10hipError_tPvRmT2_T3_mT4_P12ihipStream_tbEUlT_E_NS1_11comp_targetILNS1_3genE0ELNS1_11target_archE4294967295ELNS1_3gpuE0ELNS1_3repE0EEENS1_30default_config_static_selectorELNS0_4arch9wavefront6targetE1EEEvT1_
    .private_segment_fixed_size: 0
    .sgpr_count:     6
    .sgpr_spill_count: 0
    .symbol:         _ZN7rocprim17ROCPRIM_400000_NS6detail17trampoline_kernelINS0_14default_configENS1_35adjacent_difference_config_selectorILb1EdEEZNS1_24adjacent_difference_implIS3_Lb1ELb0EPKdPdN6thrust23THRUST_200600_302600_NS4plusIdEEEE10hipError_tPvRmT2_T3_mT4_P12ihipStream_tbEUlT_E_NS1_11comp_targetILNS1_3genE0ELNS1_11target_archE4294967295ELNS1_3gpuE0ELNS1_3repE0EEENS1_30default_config_static_selectorELNS0_4arch9wavefront6targetE1EEEvT1_.kd
    .uniform_work_group_size: 1
    .uses_dynamic_stack: false
    .vgpr_count:     0
    .vgpr_spill_count: 0
    .wavefront_size: 64
  - .agpr_count:     0
    .args:
      - .offset:         0
        .size:           56
        .value_kind:     by_value
    .group_segment_fixed_size: 0
    .kernarg_segment_align: 8
    .kernarg_segment_size: 56
    .language:       OpenCL C
    .language_version:
      - 2
      - 0
    .max_flat_workgroup_size: 256
    .name:           _ZN7rocprim17ROCPRIM_400000_NS6detail17trampoline_kernelINS0_14default_configENS1_35adjacent_difference_config_selectorILb1EdEEZNS1_24adjacent_difference_implIS3_Lb1ELb0EPKdPdN6thrust23THRUST_200600_302600_NS4plusIdEEEE10hipError_tPvRmT2_T3_mT4_P12ihipStream_tbEUlT_E_NS1_11comp_targetILNS1_3genE10ELNS1_11target_archE1201ELNS1_3gpuE5ELNS1_3repE0EEENS1_30default_config_static_selectorELNS0_4arch9wavefront6targetE1EEEvT1_
    .private_segment_fixed_size: 0
    .sgpr_count:     6
    .sgpr_spill_count: 0
    .symbol:         _ZN7rocprim17ROCPRIM_400000_NS6detail17trampoline_kernelINS0_14default_configENS1_35adjacent_difference_config_selectorILb1EdEEZNS1_24adjacent_difference_implIS3_Lb1ELb0EPKdPdN6thrust23THRUST_200600_302600_NS4plusIdEEEE10hipError_tPvRmT2_T3_mT4_P12ihipStream_tbEUlT_E_NS1_11comp_targetILNS1_3genE10ELNS1_11target_archE1201ELNS1_3gpuE5ELNS1_3repE0EEENS1_30default_config_static_selectorELNS0_4arch9wavefront6targetE1EEEvT1_.kd
    .uniform_work_group_size: 1
    .uses_dynamic_stack: false
    .vgpr_count:     0
    .vgpr_spill_count: 0
    .wavefront_size: 64
  - .agpr_count:     0
    .args:
      - .offset:         0
        .size:           56
        .value_kind:     by_value
    .group_segment_fixed_size: 2112
    .kernarg_segment_align: 8
    .kernarg_segment_size: 56
    .language:       OpenCL C
    .language_version:
      - 2
      - 0
    .max_flat_workgroup_size: 128
    .name:           _ZN7rocprim17ROCPRIM_400000_NS6detail17trampoline_kernelINS0_14default_configENS1_35adjacent_difference_config_selectorILb1EdEEZNS1_24adjacent_difference_implIS3_Lb1ELb0EPKdPdN6thrust23THRUST_200600_302600_NS4plusIdEEEE10hipError_tPvRmT2_T3_mT4_P12ihipStream_tbEUlT_E_NS1_11comp_targetILNS1_3genE5ELNS1_11target_archE942ELNS1_3gpuE9ELNS1_3repE0EEENS1_30default_config_static_selectorELNS0_4arch9wavefront6targetE1EEEvT1_
    .private_segment_fixed_size: 0
    .sgpr_count:     34
    .sgpr_spill_count: 0
    .symbol:         _ZN7rocprim17ROCPRIM_400000_NS6detail17trampoline_kernelINS0_14default_configENS1_35adjacent_difference_config_selectorILb1EdEEZNS1_24adjacent_difference_implIS3_Lb1ELb0EPKdPdN6thrust23THRUST_200600_302600_NS4plusIdEEEE10hipError_tPvRmT2_T3_mT4_P12ihipStream_tbEUlT_E_NS1_11comp_targetILNS1_3genE5ELNS1_11target_archE942ELNS1_3gpuE9ELNS1_3repE0EEENS1_30default_config_static_selectorELNS0_4arch9wavefront6targetE1EEEvT1_.kd
    .uniform_work_group_size: 1
    .uses_dynamic_stack: false
    .vgpr_count:     16
    .vgpr_spill_count: 0
    .wavefront_size: 64
  - .agpr_count:     0
    .args:
      - .offset:         0
        .size:           56
        .value_kind:     by_value
    .group_segment_fixed_size: 0
    .kernarg_segment_align: 8
    .kernarg_segment_size: 56
    .language:       OpenCL C
    .language_version:
      - 2
      - 0
    .max_flat_workgroup_size: 512
    .name:           _ZN7rocprim17ROCPRIM_400000_NS6detail17trampoline_kernelINS0_14default_configENS1_35adjacent_difference_config_selectorILb1EdEEZNS1_24adjacent_difference_implIS3_Lb1ELb0EPKdPdN6thrust23THRUST_200600_302600_NS4plusIdEEEE10hipError_tPvRmT2_T3_mT4_P12ihipStream_tbEUlT_E_NS1_11comp_targetILNS1_3genE4ELNS1_11target_archE910ELNS1_3gpuE8ELNS1_3repE0EEENS1_30default_config_static_selectorELNS0_4arch9wavefront6targetE1EEEvT1_
    .private_segment_fixed_size: 0
    .sgpr_count:     6
    .sgpr_spill_count: 0
    .symbol:         _ZN7rocprim17ROCPRIM_400000_NS6detail17trampoline_kernelINS0_14default_configENS1_35adjacent_difference_config_selectorILb1EdEEZNS1_24adjacent_difference_implIS3_Lb1ELb0EPKdPdN6thrust23THRUST_200600_302600_NS4plusIdEEEE10hipError_tPvRmT2_T3_mT4_P12ihipStream_tbEUlT_E_NS1_11comp_targetILNS1_3genE4ELNS1_11target_archE910ELNS1_3gpuE8ELNS1_3repE0EEENS1_30default_config_static_selectorELNS0_4arch9wavefront6targetE1EEEvT1_.kd
    .uniform_work_group_size: 1
    .uses_dynamic_stack: false
    .vgpr_count:     0
    .vgpr_spill_count: 0
    .wavefront_size: 64
  - .agpr_count:     0
    .args:
      - .offset:         0
        .size:           56
        .value_kind:     by_value
    .group_segment_fixed_size: 0
    .kernarg_segment_align: 8
    .kernarg_segment_size: 56
    .language:       OpenCL C
    .language_version:
      - 2
      - 0
    .max_flat_workgroup_size: 512
    .name:           _ZN7rocprim17ROCPRIM_400000_NS6detail17trampoline_kernelINS0_14default_configENS1_35adjacent_difference_config_selectorILb1EdEEZNS1_24adjacent_difference_implIS3_Lb1ELb0EPKdPdN6thrust23THRUST_200600_302600_NS4plusIdEEEE10hipError_tPvRmT2_T3_mT4_P12ihipStream_tbEUlT_E_NS1_11comp_targetILNS1_3genE3ELNS1_11target_archE908ELNS1_3gpuE7ELNS1_3repE0EEENS1_30default_config_static_selectorELNS0_4arch9wavefront6targetE1EEEvT1_
    .private_segment_fixed_size: 0
    .sgpr_count:     6
    .sgpr_spill_count: 0
    .symbol:         _ZN7rocprim17ROCPRIM_400000_NS6detail17trampoline_kernelINS0_14default_configENS1_35adjacent_difference_config_selectorILb1EdEEZNS1_24adjacent_difference_implIS3_Lb1ELb0EPKdPdN6thrust23THRUST_200600_302600_NS4plusIdEEEE10hipError_tPvRmT2_T3_mT4_P12ihipStream_tbEUlT_E_NS1_11comp_targetILNS1_3genE3ELNS1_11target_archE908ELNS1_3gpuE7ELNS1_3repE0EEENS1_30default_config_static_selectorELNS0_4arch9wavefront6targetE1EEEvT1_.kd
    .uniform_work_group_size: 1
    .uses_dynamic_stack: false
    .vgpr_count:     0
    .vgpr_spill_count: 0
    .wavefront_size: 64
  - .agpr_count:     0
    .args:
      - .offset:         0
        .size:           56
        .value_kind:     by_value
    .group_segment_fixed_size: 0
    .kernarg_segment_align: 8
    .kernarg_segment_size: 56
    .language:       OpenCL C
    .language_version:
      - 2
      - 0
    .max_flat_workgroup_size: 128
    .name:           _ZN7rocprim17ROCPRIM_400000_NS6detail17trampoline_kernelINS0_14default_configENS1_35adjacent_difference_config_selectorILb1EdEEZNS1_24adjacent_difference_implIS3_Lb1ELb0EPKdPdN6thrust23THRUST_200600_302600_NS4plusIdEEEE10hipError_tPvRmT2_T3_mT4_P12ihipStream_tbEUlT_E_NS1_11comp_targetILNS1_3genE2ELNS1_11target_archE906ELNS1_3gpuE6ELNS1_3repE0EEENS1_30default_config_static_selectorELNS0_4arch9wavefront6targetE1EEEvT1_
    .private_segment_fixed_size: 0
    .sgpr_count:     6
    .sgpr_spill_count: 0
    .symbol:         _ZN7rocprim17ROCPRIM_400000_NS6detail17trampoline_kernelINS0_14default_configENS1_35adjacent_difference_config_selectorILb1EdEEZNS1_24adjacent_difference_implIS3_Lb1ELb0EPKdPdN6thrust23THRUST_200600_302600_NS4plusIdEEEE10hipError_tPvRmT2_T3_mT4_P12ihipStream_tbEUlT_E_NS1_11comp_targetILNS1_3genE2ELNS1_11target_archE906ELNS1_3gpuE6ELNS1_3repE0EEENS1_30default_config_static_selectorELNS0_4arch9wavefront6targetE1EEEvT1_.kd
    .uniform_work_group_size: 1
    .uses_dynamic_stack: false
    .vgpr_count:     0
    .vgpr_spill_count: 0
    .wavefront_size: 64
  - .agpr_count:     0
    .args:
      - .offset:         0
        .size:           56
        .value_kind:     by_value
    .group_segment_fixed_size: 0
    .kernarg_segment_align: 8
    .kernarg_segment_size: 56
    .language:       OpenCL C
    .language_version:
      - 2
      - 0
    .max_flat_workgroup_size: 128
    .name:           _ZN7rocprim17ROCPRIM_400000_NS6detail17trampoline_kernelINS0_14default_configENS1_35adjacent_difference_config_selectorILb1EdEEZNS1_24adjacent_difference_implIS3_Lb1ELb0EPKdPdN6thrust23THRUST_200600_302600_NS4plusIdEEEE10hipError_tPvRmT2_T3_mT4_P12ihipStream_tbEUlT_E_NS1_11comp_targetILNS1_3genE9ELNS1_11target_archE1100ELNS1_3gpuE3ELNS1_3repE0EEENS1_30default_config_static_selectorELNS0_4arch9wavefront6targetE1EEEvT1_
    .private_segment_fixed_size: 0
    .sgpr_count:     6
    .sgpr_spill_count: 0
    .symbol:         _ZN7rocprim17ROCPRIM_400000_NS6detail17trampoline_kernelINS0_14default_configENS1_35adjacent_difference_config_selectorILb1EdEEZNS1_24adjacent_difference_implIS3_Lb1ELb0EPKdPdN6thrust23THRUST_200600_302600_NS4plusIdEEEE10hipError_tPvRmT2_T3_mT4_P12ihipStream_tbEUlT_E_NS1_11comp_targetILNS1_3genE9ELNS1_11target_archE1100ELNS1_3gpuE3ELNS1_3repE0EEENS1_30default_config_static_selectorELNS0_4arch9wavefront6targetE1EEEvT1_.kd
    .uniform_work_group_size: 1
    .uses_dynamic_stack: false
    .vgpr_count:     0
    .vgpr_spill_count: 0
    .wavefront_size: 64
  - .agpr_count:     0
    .args:
      - .offset:         0
        .size:           56
        .value_kind:     by_value
    .group_segment_fixed_size: 0
    .kernarg_segment_align: 8
    .kernarg_segment_size: 56
    .language:       OpenCL C
    .language_version:
      - 2
      - 0
    .max_flat_workgroup_size: 32
    .name:           _ZN7rocprim17ROCPRIM_400000_NS6detail17trampoline_kernelINS0_14default_configENS1_35adjacent_difference_config_selectorILb1EdEEZNS1_24adjacent_difference_implIS3_Lb1ELb0EPKdPdN6thrust23THRUST_200600_302600_NS4plusIdEEEE10hipError_tPvRmT2_T3_mT4_P12ihipStream_tbEUlT_E_NS1_11comp_targetILNS1_3genE8ELNS1_11target_archE1030ELNS1_3gpuE2ELNS1_3repE0EEENS1_30default_config_static_selectorELNS0_4arch9wavefront6targetE1EEEvT1_
    .private_segment_fixed_size: 0
    .sgpr_count:     6
    .sgpr_spill_count: 0
    .symbol:         _ZN7rocprim17ROCPRIM_400000_NS6detail17trampoline_kernelINS0_14default_configENS1_35adjacent_difference_config_selectorILb1EdEEZNS1_24adjacent_difference_implIS3_Lb1ELb0EPKdPdN6thrust23THRUST_200600_302600_NS4plusIdEEEE10hipError_tPvRmT2_T3_mT4_P12ihipStream_tbEUlT_E_NS1_11comp_targetILNS1_3genE8ELNS1_11target_archE1030ELNS1_3gpuE2ELNS1_3repE0EEENS1_30default_config_static_selectorELNS0_4arch9wavefront6targetE1EEEvT1_.kd
    .uniform_work_group_size: 1
    .uses_dynamic_stack: false
    .vgpr_count:     0
    .vgpr_spill_count: 0
    .wavefront_size: 64
  - .agpr_count:     0
    .args:
      - .offset:         0
        .size:           56
        .value_kind:     by_value
    .group_segment_fixed_size: 0
    .kernarg_segment_align: 8
    .kernarg_segment_size: 56
    .language:       OpenCL C
    .language_version:
      - 2
      - 0
    .max_flat_workgroup_size: 128
    .name:           _ZN7rocprim17ROCPRIM_400000_NS6detail17trampoline_kernelINS0_14default_configENS1_25transform_config_selectorIaLb0EEEZNS1_14transform_implILb0ES3_S5_NS0_18transform_iteratorINS0_17counting_iteratorImlEEZNS1_24adjacent_difference_implIS3_Lb1ELb0EPaN6thrust23THRUST_200600_302600_NS16discard_iteratorINSD_11use_defaultEEENSD_5minusIaEEEE10hipError_tPvRmT2_T3_mT4_P12ihipStream_tbEUlmE_aEESB_NS0_8identityIvEEEESJ_SM_SN_mSO_SQ_bEUlT_E_NS1_11comp_targetILNS1_3genE0ELNS1_11target_archE4294967295ELNS1_3gpuE0ELNS1_3repE0EEENS1_30default_config_static_selectorELNS0_4arch9wavefront6targetE1EEEvT1_
    .private_segment_fixed_size: 0
    .sgpr_count:     6
    .sgpr_spill_count: 0
    .symbol:         _ZN7rocprim17ROCPRIM_400000_NS6detail17trampoline_kernelINS0_14default_configENS1_25transform_config_selectorIaLb0EEEZNS1_14transform_implILb0ES3_S5_NS0_18transform_iteratorINS0_17counting_iteratorImlEEZNS1_24adjacent_difference_implIS3_Lb1ELb0EPaN6thrust23THRUST_200600_302600_NS16discard_iteratorINSD_11use_defaultEEENSD_5minusIaEEEE10hipError_tPvRmT2_T3_mT4_P12ihipStream_tbEUlmE_aEESB_NS0_8identityIvEEEESJ_SM_SN_mSO_SQ_bEUlT_E_NS1_11comp_targetILNS1_3genE0ELNS1_11target_archE4294967295ELNS1_3gpuE0ELNS1_3repE0EEENS1_30default_config_static_selectorELNS0_4arch9wavefront6targetE1EEEvT1_.kd
    .uniform_work_group_size: 1
    .uses_dynamic_stack: false
    .vgpr_count:     0
    .vgpr_spill_count: 0
    .wavefront_size: 64
  - .agpr_count:     0
    .args:
      - .offset:         0
        .size:           56
        .value_kind:     by_value
      - .offset:         56
        .size:           4
        .value_kind:     hidden_block_count_x
      - .offset:         60
        .size:           4
        .value_kind:     hidden_block_count_y
      - .offset:         64
        .size:           4
        .value_kind:     hidden_block_count_z
      - .offset:         68
        .size:           2
        .value_kind:     hidden_group_size_x
      - .offset:         70
        .size:           2
        .value_kind:     hidden_group_size_y
      - .offset:         72
        .size:           2
        .value_kind:     hidden_group_size_z
      - .offset:         74
        .size:           2
        .value_kind:     hidden_remainder_x
      - .offset:         76
        .size:           2
        .value_kind:     hidden_remainder_y
      - .offset:         78
        .size:           2
        .value_kind:     hidden_remainder_z
      - .offset:         96
        .size:           8
        .value_kind:     hidden_global_offset_x
      - .offset:         104
        .size:           8
        .value_kind:     hidden_global_offset_y
      - .offset:         112
        .size:           8
        .value_kind:     hidden_global_offset_z
      - .offset:         120
        .size:           2
        .value_kind:     hidden_grid_dims
    .group_segment_fixed_size: 0
    .kernarg_segment_align: 8
    .kernarg_segment_size: 312
    .language:       OpenCL C
    .language_version:
      - 2
      - 0
    .max_flat_workgroup_size: 1024
    .name:           _ZN7rocprim17ROCPRIM_400000_NS6detail17trampoline_kernelINS0_14default_configENS1_25transform_config_selectorIaLb0EEEZNS1_14transform_implILb0ES3_S5_NS0_18transform_iteratorINS0_17counting_iteratorImlEEZNS1_24adjacent_difference_implIS3_Lb1ELb0EPaN6thrust23THRUST_200600_302600_NS16discard_iteratorINSD_11use_defaultEEENSD_5minusIaEEEE10hipError_tPvRmT2_T3_mT4_P12ihipStream_tbEUlmE_aEESB_NS0_8identityIvEEEESJ_SM_SN_mSO_SQ_bEUlT_E_NS1_11comp_targetILNS1_3genE5ELNS1_11target_archE942ELNS1_3gpuE9ELNS1_3repE0EEENS1_30default_config_static_selectorELNS0_4arch9wavefront6targetE1EEEvT1_
    .private_segment_fixed_size: 0
    .sgpr_count:     33
    .sgpr_spill_count: 0
    .symbol:         _ZN7rocprim17ROCPRIM_400000_NS6detail17trampoline_kernelINS0_14default_configENS1_25transform_config_selectorIaLb0EEEZNS1_14transform_implILb0ES3_S5_NS0_18transform_iteratorINS0_17counting_iteratorImlEEZNS1_24adjacent_difference_implIS3_Lb1ELb0EPaN6thrust23THRUST_200600_302600_NS16discard_iteratorINSD_11use_defaultEEENSD_5minusIaEEEE10hipError_tPvRmT2_T3_mT4_P12ihipStream_tbEUlmE_aEESB_NS0_8identityIvEEEESJ_SM_SN_mSO_SQ_bEUlT_E_NS1_11comp_targetILNS1_3genE5ELNS1_11target_archE942ELNS1_3gpuE9ELNS1_3repE0EEENS1_30default_config_static_selectorELNS0_4arch9wavefront6targetE1EEEvT1_.kd
    .uniform_work_group_size: 1
    .uses_dynamic_stack: false
    .vgpr_count:     15
    .vgpr_spill_count: 0
    .wavefront_size: 64
  - .agpr_count:     0
    .args:
      - .offset:         0
        .size:           56
        .value_kind:     by_value
    .group_segment_fixed_size: 0
    .kernarg_segment_align: 8
    .kernarg_segment_size: 56
    .language:       OpenCL C
    .language_version:
      - 2
      - 0
    .max_flat_workgroup_size: 64
    .name:           _ZN7rocprim17ROCPRIM_400000_NS6detail17trampoline_kernelINS0_14default_configENS1_25transform_config_selectorIaLb0EEEZNS1_14transform_implILb0ES3_S5_NS0_18transform_iteratorINS0_17counting_iteratorImlEEZNS1_24adjacent_difference_implIS3_Lb1ELb0EPaN6thrust23THRUST_200600_302600_NS16discard_iteratorINSD_11use_defaultEEENSD_5minusIaEEEE10hipError_tPvRmT2_T3_mT4_P12ihipStream_tbEUlmE_aEESB_NS0_8identityIvEEEESJ_SM_SN_mSO_SQ_bEUlT_E_NS1_11comp_targetILNS1_3genE4ELNS1_11target_archE910ELNS1_3gpuE8ELNS1_3repE0EEENS1_30default_config_static_selectorELNS0_4arch9wavefront6targetE1EEEvT1_
    .private_segment_fixed_size: 0
    .sgpr_count:     6
    .sgpr_spill_count: 0
    .symbol:         _ZN7rocprim17ROCPRIM_400000_NS6detail17trampoline_kernelINS0_14default_configENS1_25transform_config_selectorIaLb0EEEZNS1_14transform_implILb0ES3_S5_NS0_18transform_iteratorINS0_17counting_iteratorImlEEZNS1_24adjacent_difference_implIS3_Lb1ELb0EPaN6thrust23THRUST_200600_302600_NS16discard_iteratorINSD_11use_defaultEEENSD_5minusIaEEEE10hipError_tPvRmT2_T3_mT4_P12ihipStream_tbEUlmE_aEESB_NS0_8identityIvEEEESJ_SM_SN_mSO_SQ_bEUlT_E_NS1_11comp_targetILNS1_3genE4ELNS1_11target_archE910ELNS1_3gpuE8ELNS1_3repE0EEENS1_30default_config_static_selectorELNS0_4arch9wavefront6targetE1EEEvT1_.kd
    .uniform_work_group_size: 1
    .uses_dynamic_stack: false
    .vgpr_count:     0
    .vgpr_spill_count: 0
    .wavefront_size: 64
  - .agpr_count:     0
    .args:
      - .offset:         0
        .size:           56
        .value_kind:     by_value
    .group_segment_fixed_size: 0
    .kernarg_segment_align: 8
    .kernarg_segment_size: 56
    .language:       OpenCL C
    .language_version:
      - 2
      - 0
    .max_flat_workgroup_size: 128
    .name:           _ZN7rocprim17ROCPRIM_400000_NS6detail17trampoline_kernelINS0_14default_configENS1_25transform_config_selectorIaLb0EEEZNS1_14transform_implILb0ES3_S5_NS0_18transform_iteratorINS0_17counting_iteratorImlEEZNS1_24adjacent_difference_implIS3_Lb1ELb0EPaN6thrust23THRUST_200600_302600_NS16discard_iteratorINSD_11use_defaultEEENSD_5minusIaEEEE10hipError_tPvRmT2_T3_mT4_P12ihipStream_tbEUlmE_aEESB_NS0_8identityIvEEEESJ_SM_SN_mSO_SQ_bEUlT_E_NS1_11comp_targetILNS1_3genE3ELNS1_11target_archE908ELNS1_3gpuE7ELNS1_3repE0EEENS1_30default_config_static_selectorELNS0_4arch9wavefront6targetE1EEEvT1_
    .private_segment_fixed_size: 0
    .sgpr_count:     6
    .sgpr_spill_count: 0
    .symbol:         _ZN7rocprim17ROCPRIM_400000_NS6detail17trampoline_kernelINS0_14default_configENS1_25transform_config_selectorIaLb0EEEZNS1_14transform_implILb0ES3_S5_NS0_18transform_iteratorINS0_17counting_iteratorImlEEZNS1_24adjacent_difference_implIS3_Lb1ELb0EPaN6thrust23THRUST_200600_302600_NS16discard_iteratorINSD_11use_defaultEEENSD_5minusIaEEEE10hipError_tPvRmT2_T3_mT4_P12ihipStream_tbEUlmE_aEESB_NS0_8identityIvEEEESJ_SM_SN_mSO_SQ_bEUlT_E_NS1_11comp_targetILNS1_3genE3ELNS1_11target_archE908ELNS1_3gpuE7ELNS1_3repE0EEENS1_30default_config_static_selectorELNS0_4arch9wavefront6targetE1EEEvT1_.kd
    .uniform_work_group_size: 1
    .uses_dynamic_stack: false
    .vgpr_count:     0
    .vgpr_spill_count: 0
    .wavefront_size: 64
  - .agpr_count:     0
    .args:
      - .offset:         0
        .size:           56
        .value_kind:     by_value
    .group_segment_fixed_size: 0
    .kernarg_segment_align: 8
    .kernarg_segment_size: 56
    .language:       OpenCL C
    .language_version:
      - 2
      - 0
    .max_flat_workgroup_size: 64
    .name:           _ZN7rocprim17ROCPRIM_400000_NS6detail17trampoline_kernelINS0_14default_configENS1_25transform_config_selectorIaLb0EEEZNS1_14transform_implILb0ES3_S5_NS0_18transform_iteratorINS0_17counting_iteratorImlEEZNS1_24adjacent_difference_implIS3_Lb1ELb0EPaN6thrust23THRUST_200600_302600_NS16discard_iteratorINSD_11use_defaultEEENSD_5minusIaEEEE10hipError_tPvRmT2_T3_mT4_P12ihipStream_tbEUlmE_aEESB_NS0_8identityIvEEEESJ_SM_SN_mSO_SQ_bEUlT_E_NS1_11comp_targetILNS1_3genE2ELNS1_11target_archE906ELNS1_3gpuE6ELNS1_3repE0EEENS1_30default_config_static_selectorELNS0_4arch9wavefront6targetE1EEEvT1_
    .private_segment_fixed_size: 0
    .sgpr_count:     6
    .sgpr_spill_count: 0
    .symbol:         _ZN7rocprim17ROCPRIM_400000_NS6detail17trampoline_kernelINS0_14default_configENS1_25transform_config_selectorIaLb0EEEZNS1_14transform_implILb0ES3_S5_NS0_18transform_iteratorINS0_17counting_iteratorImlEEZNS1_24adjacent_difference_implIS3_Lb1ELb0EPaN6thrust23THRUST_200600_302600_NS16discard_iteratorINSD_11use_defaultEEENSD_5minusIaEEEE10hipError_tPvRmT2_T3_mT4_P12ihipStream_tbEUlmE_aEESB_NS0_8identityIvEEEESJ_SM_SN_mSO_SQ_bEUlT_E_NS1_11comp_targetILNS1_3genE2ELNS1_11target_archE906ELNS1_3gpuE6ELNS1_3repE0EEENS1_30default_config_static_selectorELNS0_4arch9wavefront6targetE1EEEvT1_.kd
    .uniform_work_group_size: 1
    .uses_dynamic_stack: false
    .vgpr_count:     0
    .vgpr_spill_count: 0
    .wavefront_size: 64
  - .agpr_count:     0
    .args:
      - .offset:         0
        .size:           56
        .value_kind:     by_value
    .group_segment_fixed_size: 0
    .kernarg_segment_align: 8
    .kernarg_segment_size: 56
    .language:       OpenCL C
    .language_version:
      - 2
      - 0
    .max_flat_workgroup_size: 256
    .name:           _ZN7rocprim17ROCPRIM_400000_NS6detail17trampoline_kernelINS0_14default_configENS1_25transform_config_selectorIaLb0EEEZNS1_14transform_implILb0ES3_S5_NS0_18transform_iteratorINS0_17counting_iteratorImlEEZNS1_24adjacent_difference_implIS3_Lb1ELb0EPaN6thrust23THRUST_200600_302600_NS16discard_iteratorINSD_11use_defaultEEENSD_5minusIaEEEE10hipError_tPvRmT2_T3_mT4_P12ihipStream_tbEUlmE_aEESB_NS0_8identityIvEEEESJ_SM_SN_mSO_SQ_bEUlT_E_NS1_11comp_targetILNS1_3genE10ELNS1_11target_archE1201ELNS1_3gpuE5ELNS1_3repE0EEENS1_30default_config_static_selectorELNS0_4arch9wavefront6targetE1EEEvT1_
    .private_segment_fixed_size: 0
    .sgpr_count:     6
    .sgpr_spill_count: 0
    .symbol:         _ZN7rocprim17ROCPRIM_400000_NS6detail17trampoline_kernelINS0_14default_configENS1_25transform_config_selectorIaLb0EEEZNS1_14transform_implILb0ES3_S5_NS0_18transform_iteratorINS0_17counting_iteratorImlEEZNS1_24adjacent_difference_implIS3_Lb1ELb0EPaN6thrust23THRUST_200600_302600_NS16discard_iteratorINSD_11use_defaultEEENSD_5minusIaEEEE10hipError_tPvRmT2_T3_mT4_P12ihipStream_tbEUlmE_aEESB_NS0_8identityIvEEEESJ_SM_SN_mSO_SQ_bEUlT_E_NS1_11comp_targetILNS1_3genE10ELNS1_11target_archE1201ELNS1_3gpuE5ELNS1_3repE0EEENS1_30default_config_static_selectorELNS0_4arch9wavefront6targetE1EEEvT1_.kd
    .uniform_work_group_size: 1
    .uses_dynamic_stack: false
    .vgpr_count:     0
    .vgpr_spill_count: 0
    .wavefront_size: 64
  - .agpr_count:     0
    .args:
      - .offset:         0
        .size:           56
        .value_kind:     by_value
    .group_segment_fixed_size: 0
    .kernarg_segment_align: 8
    .kernarg_segment_size: 56
    .language:       OpenCL C
    .language_version:
      - 2
      - 0
    .max_flat_workgroup_size: 256
    .name:           _ZN7rocprim17ROCPRIM_400000_NS6detail17trampoline_kernelINS0_14default_configENS1_25transform_config_selectorIaLb0EEEZNS1_14transform_implILb0ES3_S5_NS0_18transform_iteratorINS0_17counting_iteratorImlEEZNS1_24adjacent_difference_implIS3_Lb1ELb0EPaN6thrust23THRUST_200600_302600_NS16discard_iteratorINSD_11use_defaultEEENSD_5minusIaEEEE10hipError_tPvRmT2_T3_mT4_P12ihipStream_tbEUlmE_aEESB_NS0_8identityIvEEEESJ_SM_SN_mSO_SQ_bEUlT_E_NS1_11comp_targetILNS1_3genE10ELNS1_11target_archE1200ELNS1_3gpuE4ELNS1_3repE0EEENS1_30default_config_static_selectorELNS0_4arch9wavefront6targetE1EEEvT1_
    .private_segment_fixed_size: 0
    .sgpr_count:     6
    .sgpr_spill_count: 0
    .symbol:         _ZN7rocprim17ROCPRIM_400000_NS6detail17trampoline_kernelINS0_14default_configENS1_25transform_config_selectorIaLb0EEEZNS1_14transform_implILb0ES3_S5_NS0_18transform_iteratorINS0_17counting_iteratorImlEEZNS1_24adjacent_difference_implIS3_Lb1ELb0EPaN6thrust23THRUST_200600_302600_NS16discard_iteratorINSD_11use_defaultEEENSD_5minusIaEEEE10hipError_tPvRmT2_T3_mT4_P12ihipStream_tbEUlmE_aEESB_NS0_8identityIvEEEESJ_SM_SN_mSO_SQ_bEUlT_E_NS1_11comp_targetILNS1_3genE10ELNS1_11target_archE1200ELNS1_3gpuE4ELNS1_3repE0EEENS1_30default_config_static_selectorELNS0_4arch9wavefront6targetE1EEEvT1_.kd
    .uniform_work_group_size: 1
    .uses_dynamic_stack: false
    .vgpr_count:     0
    .vgpr_spill_count: 0
    .wavefront_size: 64
  - .agpr_count:     0
    .args:
      - .offset:         0
        .size:           56
        .value_kind:     by_value
    .group_segment_fixed_size: 0
    .kernarg_segment_align: 8
    .kernarg_segment_size: 56
    .language:       OpenCL C
    .language_version:
      - 2
      - 0
    .max_flat_workgroup_size: 1024
    .name:           _ZN7rocprim17ROCPRIM_400000_NS6detail17trampoline_kernelINS0_14default_configENS1_25transform_config_selectorIaLb0EEEZNS1_14transform_implILb0ES3_S5_NS0_18transform_iteratorINS0_17counting_iteratorImlEEZNS1_24adjacent_difference_implIS3_Lb1ELb0EPaN6thrust23THRUST_200600_302600_NS16discard_iteratorINSD_11use_defaultEEENSD_5minusIaEEEE10hipError_tPvRmT2_T3_mT4_P12ihipStream_tbEUlmE_aEESB_NS0_8identityIvEEEESJ_SM_SN_mSO_SQ_bEUlT_E_NS1_11comp_targetILNS1_3genE9ELNS1_11target_archE1100ELNS1_3gpuE3ELNS1_3repE0EEENS1_30default_config_static_selectorELNS0_4arch9wavefront6targetE1EEEvT1_
    .private_segment_fixed_size: 0
    .sgpr_count:     6
    .sgpr_spill_count: 0
    .symbol:         _ZN7rocprim17ROCPRIM_400000_NS6detail17trampoline_kernelINS0_14default_configENS1_25transform_config_selectorIaLb0EEEZNS1_14transform_implILb0ES3_S5_NS0_18transform_iteratorINS0_17counting_iteratorImlEEZNS1_24adjacent_difference_implIS3_Lb1ELb0EPaN6thrust23THRUST_200600_302600_NS16discard_iteratorINSD_11use_defaultEEENSD_5minusIaEEEE10hipError_tPvRmT2_T3_mT4_P12ihipStream_tbEUlmE_aEESB_NS0_8identityIvEEEESJ_SM_SN_mSO_SQ_bEUlT_E_NS1_11comp_targetILNS1_3genE9ELNS1_11target_archE1100ELNS1_3gpuE3ELNS1_3repE0EEENS1_30default_config_static_selectorELNS0_4arch9wavefront6targetE1EEEvT1_.kd
    .uniform_work_group_size: 1
    .uses_dynamic_stack: false
    .vgpr_count:     0
    .vgpr_spill_count: 0
    .wavefront_size: 64
  - .agpr_count:     0
    .args:
      - .offset:         0
        .size:           56
        .value_kind:     by_value
    .group_segment_fixed_size: 0
    .kernarg_segment_align: 8
    .kernarg_segment_size: 56
    .language:       OpenCL C
    .language_version:
      - 2
      - 0
    .max_flat_workgroup_size: 128
    .name:           _ZN7rocprim17ROCPRIM_400000_NS6detail17trampoline_kernelINS0_14default_configENS1_25transform_config_selectorIaLb0EEEZNS1_14transform_implILb0ES3_S5_NS0_18transform_iteratorINS0_17counting_iteratorImlEEZNS1_24adjacent_difference_implIS3_Lb1ELb0EPaN6thrust23THRUST_200600_302600_NS16discard_iteratorINSD_11use_defaultEEENSD_5minusIaEEEE10hipError_tPvRmT2_T3_mT4_P12ihipStream_tbEUlmE_aEESB_NS0_8identityIvEEEESJ_SM_SN_mSO_SQ_bEUlT_E_NS1_11comp_targetILNS1_3genE8ELNS1_11target_archE1030ELNS1_3gpuE2ELNS1_3repE0EEENS1_30default_config_static_selectorELNS0_4arch9wavefront6targetE1EEEvT1_
    .private_segment_fixed_size: 0
    .sgpr_count:     6
    .sgpr_spill_count: 0
    .symbol:         _ZN7rocprim17ROCPRIM_400000_NS6detail17trampoline_kernelINS0_14default_configENS1_25transform_config_selectorIaLb0EEEZNS1_14transform_implILb0ES3_S5_NS0_18transform_iteratorINS0_17counting_iteratorImlEEZNS1_24adjacent_difference_implIS3_Lb1ELb0EPaN6thrust23THRUST_200600_302600_NS16discard_iteratorINSD_11use_defaultEEENSD_5minusIaEEEE10hipError_tPvRmT2_T3_mT4_P12ihipStream_tbEUlmE_aEESB_NS0_8identityIvEEEESJ_SM_SN_mSO_SQ_bEUlT_E_NS1_11comp_targetILNS1_3genE8ELNS1_11target_archE1030ELNS1_3gpuE2ELNS1_3repE0EEENS1_30default_config_static_selectorELNS0_4arch9wavefront6targetE1EEEvT1_.kd
    .uniform_work_group_size: 1
    .uses_dynamic_stack: false
    .vgpr_count:     0
    .vgpr_spill_count: 0
    .wavefront_size: 64
  - .agpr_count:     0
    .args:
      - .offset:         0
        .size:           64
        .value_kind:     by_value
    .group_segment_fixed_size: 0
    .kernarg_segment_align: 8
    .kernarg_segment_size: 64
    .language:       OpenCL C
    .language_version:
      - 2
      - 0
    .max_flat_workgroup_size: 64
    .name:           _ZN7rocprim17ROCPRIM_400000_NS6detail17trampoline_kernelINS0_14default_configENS1_35adjacent_difference_config_selectorILb1EaEEZNS1_24adjacent_difference_implIS3_Lb1ELb0EPaN6thrust23THRUST_200600_302600_NS16discard_iteratorINS9_11use_defaultEEENS9_5minusIaEEEE10hipError_tPvRmT2_T3_mT4_P12ihipStream_tbEUlT_E_NS1_11comp_targetILNS1_3genE0ELNS1_11target_archE4294967295ELNS1_3gpuE0ELNS1_3repE0EEENS1_30default_config_static_selectorELNS0_4arch9wavefront6targetE1EEEvT1_
    .private_segment_fixed_size: 0
    .sgpr_count:     6
    .sgpr_spill_count: 0
    .symbol:         _ZN7rocprim17ROCPRIM_400000_NS6detail17trampoline_kernelINS0_14default_configENS1_35adjacent_difference_config_selectorILb1EaEEZNS1_24adjacent_difference_implIS3_Lb1ELb0EPaN6thrust23THRUST_200600_302600_NS16discard_iteratorINS9_11use_defaultEEENS9_5minusIaEEEE10hipError_tPvRmT2_T3_mT4_P12ihipStream_tbEUlT_E_NS1_11comp_targetILNS1_3genE0ELNS1_11target_archE4294967295ELNS1_3gpuE0ELNS1_3repE0EEENS1_30default_config_static_selectorELNS0_4arch9wavefront6targetE1EEEvT1_.kd
    .uniform_work_group_size: 1
    .uses_dynamic_stack: false
    .vgpr_count:     0
    .vgpr_spill_count: 0
    .wavefront_size: 64
  - .agpr_count:     0
    .args:
      - .offset:         0
        .size:           64
        .value_kind:     by_value
    .group_segment_fixed_size: 0
    .kernarg_segment_align: 8
    .kernarg_segment_size: 64
    .language:       OpenCL C
    .language_version:
      - 2
      - 0
    .max_flat_workgroup_size: 128
    .name:           _ZN7rocprim17ROCPRIM_400000_NS6detail17trampoline_kernelINS0_14default_configENS1_35adjacent_difference_config_selectorILb1EaEEZNS1_24adjacent_difference_implIS3_Lb1ELb0EPaN6thrust23THRUST_200600_302600_NS16discard_iteratorINS9_11use_defaultEEENS9_5minusIaEEEE10hipError_tPvRmT2_T3_mT4_P12ihipStream_tbEUlT_E_NS1_11comp_targetILNS1_3genE10ELNS1_11target_archE1201ELNS1_3gpuE5ELNS1_3repE0EEENS1_30default_config_static_selectorELNS0_4arch9wavefront6targetE1EEEvT1_
    .private_segment_fixed_size: 0
    .sgpr_count:     6
    .sgpr_spill_count: 0
    .symbol:         _ZN7rocprim17ROCPRIM_400000_NS6detail17trampoline_kernelINS0_14default_configENS1_35adjacent_difference_config_selectorILb1EaEEZNS1_24adjacent_difference_implIS3_Lb1ELb0EPaN6thrust23THRUST_200600_302600_NS16discard_iteratorINS9_11use_defaultEEENS9_5minusIaEEEE10hipError_tPvRmT2_T3_mT4_P12ihipStream_tbEUlT_E_NS1_11comp_targetILNS1_3genE10ELNS1_11target_archE1201ELNS1_3gpuE5ELNS1_3repE0EEENS1_30default_config_static_selectorELNS0_4arch9wavefront6targetE1EEEvT1_.kd
    .uniform_work_group_size: 1
    .uses_dynamic_stack: false
    .vgpr_count:     0
    .vgpr_spill_count: 0
    .wavefront_size: 64
  - .agpr_count:     0
    .args:
      - .offset:         0
        .size:           64
        .value_kind:     by_value
    .group_segment_fixed_size: 2944
    .kernarg_segment_align: 8
    .kernarg_segment_size: 64
    .language:       OpenCL C
    .language_version:
      - 2
      - 0
    .max_flat_workgroup_size: 128
    .name:           _ZN7rocprim17ROCPRIM_400000_NS6detail17trampoline_kernelINS0_14default_configENS1_35adjacent_difference_config_selectorILb1EaEEZNS1_24adjacent_difference_implIS3_Lb1ELb0EPaN6thrust23THRUST_200600_302600_NS16discard_iteratorINS9_11use_defaultEEENS9_5minusIaEEEE10hipError_tPvRmT2_T3_mT4_P12ihipStream_tbEUlT_E_NS1_11comp_targetILNS1_3genE5ELNS1_11target_archE942ELNS1_3gpuE9ELNS1_3repE0EEENS1_30default_config_static_selectorELNS0_4arch9wavefront6targetE1EEEvT1_
    .private_segment_fixed_size: 0
    .sgpr_count:     27
    .sgpr_spill_count: 0
    .symbol:         _ZN7rocprim17ROCPRIM_400000_NS6detail17trampoline_kernelINS0_14default_configENS1_35adjacent_difference_config_selectorILb1EaEEZNS1_24adjacent_difference_implIS3_Lb1ELb0EPaN6thrust23THRUST_200600_302600_NS16discard_iteratorINS9_11use_defaultEEENS9_5minusIaEEEE10hipError_tPvRmT2_T3_mT4_P12ihipStream_tbEUlT_E_NS1_11comp_targetILNS1_3genE5ELNS1_11target_archE942ELNS1_3gpuE9ELNS1_3repE0EEENS1_30default_config_static_selectorELNS0_4arch9wavefront6targetE1EEEvT1_.kd
    .uniform_work_group_size: 1
    .uses_dynamic_stack: false
    .vgpr_count:     38
    .vgpr_spill_count: 0
    .wavefront_size: 64
  - .agpr_count:     0
    .args:
      - .offset:         0
        .size:           64
        .value_kind:     by_value
    .group_segment_fixed_size: 0
    .kernarg_segment_align: 8
    .kernarg_segment_size: 64
    .language:       OpenCL C
    .language_version:
      - 2
      - 0
    .max_flat_workgroup_size: 128
    .name:           _ZN7rocprim17ROCPRIM_400000_NS6detail17trampoline_kernelINS0_14default_configENS1_35adjacent_difference_config_selectorILb1EaEEZNS1_24adjacent_difference_implIS3_Lb1ELb0EPaN6thrust23THRUST_200600_302600_NS16discard_iteratorINS9_11use_defaultEEENS9_5minusIaEEEE10hipError_tPvRmT2_T3_mT4_P12ihipStream_tbEUlT_E_NS1_11comp_targetILNS1_3genE4ELNS1_11target_archE910ELNS1_3gpuE8ELNS1_3repE0EEENS1_30default_config_static_selectorELNS0_4arch9wavefront6targetE1EEEvT1_
    .private_segment_fixed_size: 0
    .sgpr_count:     6
    .sgpr_spill_count: 0
    .symbol:         _ZN7rocprim17ROCPRIM_400000_NS6detail17trampoline_kernelINS0_14default_configENS1_35adjacent_difference_config_selectorILb1EaEEZNS1_24adjacent_difference_implIS3_Lb1ELb0EPaN6thrust23THRUST_200600_302600_NS16discard_iteratorINS9_11use_defaultEEENS9_5minusIaEEEE10hipError_tPvRmT2_T3_mT4_P12ihipStream_tbEUlT_E_NS1_11comp_targetILNS1_3genE4ELNS1_11target_archE910ELNS1_3gpuE8ELNS1_3repE0EEENS1_30default_config_static_selectorELNS0_4arch9wavefront6targetE1EEEvT1_.kd
    .uniform_work_group_size: 1
    .uses_dynamic_stack: false
    .vgpr_count:     0
    .vgpr_spill_count: 0
    .wavefront_size: 64
  - .agpr_count:     0
    .args:
      - .offset:         0
        .size:           64
        .value_kind:     by_value
    .group_segment_fixed_size: 0
    .kernarg_segment_align: 8
    .kernarg_segment_size: 64
    .language:       OpenCL C
    .language_version:
      - 2
      - 0
    .max_flat_workgroup_size: 64
    .name:           _ZN7rocprim17ROCPRIM_400000_NS6detail17trampoline_kernelINS0_14default_configENS1_35adjacent_difference_config_selectorILb1EaEEZNS1_24adjacent_difference_implIS3_Lb1ELb0EPaN6thrust23THRUST_200600_302600_NS16discard_iteratorINS9_11use_defaultEEENS9_5minusIaEEEE10hipError_tPvRmT2_T3_mT4_P12ihipStream_tbEUlT_E_NS1_11comp_targetILNS1_3genE3ELNS1_11target_archE908ELNS1_3gpuE7ELNS1_3repE0EEENS1_30default_config_static_selectorELNS0_4arch9wavefront6targetE1EEEvT1_
    .private_segment_fixed_size: 0
    .sgpr_count:     6
    .sgpr_spill_count: 0
    .symbol:         _ZN7rocprim17ROCPRIM_400000_NS6detail17trampoline_kernelINS0_14default_configENS1_35adjacent_difference_config_selectorILb1EaEEZNS1_24adjacent_difference_implIS3_Lb1ELb0EPaN6thrust23THRUST_200600_302600_NS16discard_iteratorINS9_11use_defaultEEENS9_5minusIaEEEE10hipError_tPvRmT2_T3_mT4_P12ihipStream_tbEUlT_E_NS1_11comp_targetILNS1_3genE3ELNS1_11target_archE908ELNS1_3gpuE7ELNS1_3repE0EEENS1_30default_config_static_selectorELNS0_4arch9wavefront6targetE1EEEvT1_.kd
    .uniform_work_group_size: 1
    .uses_dynamic_stack: false
    .vgpr_count:     0
    .vgpr_spill_count: 0
    .wavefront_size: 64
  - .agpr_count:     0
    .args:
      - .offset:         0
        .size:           64
        .value_kind:     by_value
    .group_segment_fixed_size: 0
    .kernarg_segment_align: 8
    .kernarg_segment_size: 64
    .language:       OpenCL C
    .language_version:
      - 2
      - 0
    .max_flat_workgroup_size: 64
    .name:           _ZN7rocprim17ROCPRIM_400000_NS6detail17trampoline_kernelINS0_14default_configENS1_35adjacent_difference_config_selectorILb1EaEEZNS1_24adjacent_difference_implIS3_Lb1ELb0EPaN6thrust23THRUST_200600_302600_NS16discard_iteratorINS9_11use_defaultEEENS9_5minusIaEEEE10hipError_tPvRmT2_T3_mT4_P12ihipStream_tbEUlT_E_NS1_11comp_targetILNS1_3genE2ELNS1_11target_archE906ELNS1_3gpuE6ELNS1_3repE0EEENS1_30default_config_static_selectorELNS0_4arch9wavefront6targetE1EEEvT1_
    .private_segment_fixed_size: 0
    .sgpr_count:     6
    .sgpr_spill_count: 0
    .symbol:         _ZN7rocprim17ROCPRIM_400000_NS6detail17trampoline_kernelINS0_14default_configENS1_35adjacent_difference_config_selectorILb1EaEEZNS1_24adjacent_difference_implIS3_Lb1ELb0EPaN6thrust23THRUST_200600_302600_NS16discard_iteratorINS9_11use_defaultEEENS9_5minusIaEEEE10hipError_tPvRmT2_T3_mT4_P12ihipStream_tbEUlT_E_NS1_11comp_targetILNS1_3genE2ELNS1_11target_archE906ELNS1_3gpuE6ELNS1_3repE0EEENS1_30default_config_static_selectorELNS0_4arch9wavefront6targetE1EEEvT1_.kd
    .uniform_work_group_size: 1
    .uses_dynamic_stack: false
    .vgpr_count:     0
    .vgpr_spill_count: 0
    .wavefront_size: 64
  - .agpr_count:     0
    .args:
      - .offset:         0
        .size:           64
        .value_kind:     by_value
    .group_segment_fixed_size: 0
    .kernarg_segment_align: 8
    .kernarg_segment_size: 64
    .language:       OpenCL C
    .language_version:
      - 2
      - 0
    .max_flat_workgroup_size: 512
    .name:           _ZN7rocprim17ROCPRIM_400000_NS6detail17trampoline_kernelINS0_14default_configENS1_35adjacent_difference_config_selectorILb1EaEEZNS1_24adjacent_difference_implIS3_Lb1ELb0EPaN6thrust23THRUST_200600_302600_NS16discard_iteratorINS9_11use_defaultEEENS9_5minusIaEEEE10hipError_tPvRmT2_T3_mT4_P12ihipStream_tbEUlT_E_NS1_11comp_targetILNS1_3genE9ELNS1_11target_archE1100ELNS1_3gpuE3ELNS1_3repE0EEENS1_30default_config_static_selectorELNS0_4arch9wavefront6targetE1EEEvT1_
    .private_segment_fixed_size: 0
    .sgpr_count:     6
    .sgpr_spill_count: 0
    .symbol:         _ZN7rocprim17ROCPRIM_400000_NS6detail17trampoline_kernelINS0_14default_configENS1_35adjacent_difference_config_selectorILb1EaEEZNS1_24adjacent_difference_implIS3_Lb1ELb0EPaN6thrust23THRUST_200600_302600_NS16discard_iteratorINS9_11use_defaultEEENS9_5minusIaEEEE10hipError_tPvRmT2_T3_mT4_P12ihipStream_tbEUlT_E_NS1_11comp_targetILNS1_3genE9ELNS1_11target_archE1100ELNS1_3gpuE3ELNS1_3repE0EEENS1_30default_config_static_selectorELNS0_4arch9wavefront6targetE1EEEvT1_.kd
    .uniform_work_group_size: 1
    .uses_dynamic_stack: false
    .vgpr_count:     0
    .vgpr_spill_count: 0
    .wavefront_size: 64
  - .agpr_count:     0
    .args:
      - .offset:         0
        .size:           64
        .value_kind:     by_value
    .group_segment_fixed_size: 0
    .kernarg_segment_align: 8
    .kernarg_segment_size: 64
    .language:       OpenCL C
    .language_version:
      - 2
      - 0
    .max_flat_workgroup_size: 1024
    .name:           _ZN7rocprim17ROCPRIM_400000_NS6detail17trampoline_kernelINS0_14default_configENS1_35adjacent_difference_config_selectorILb1EaEEZNS1_24adjacent_difference_implIS3_Lb1ELb0EPaN6thrust23THRUST_200600_302600_NS16discard_iteratorINS9_11use_defaultEEENS9_5minusIaEEEE10hipError_tPvRmT2_T3_mT4_P12ihipStream_tbEUlT_E_NS1_11comp_targetILNS1_3genE8ELNS1_11target_archE1030ELNS1_3gpuE2ELNS1_3repE0EEENS1_30default_config_static_selectorELNS0_4arch9wavefront6targetE1EEEvT1_
    .private_segment_fixed_size: 0
    .sgpr_count:     6
    .sgpr_spill_count: 0
    .symbol:         _ZN7rocprim17ROCPRIM_400000_NS6detail17trampoline_kernelINS0_14default_configENS1_35adjacent_difference_config_selectorILb1EaEEZNS1_24adjacent_difference_implIS3_Lb1ELb0EPaN6thrust23THRUST_200600_302600_NS16discard_iteratorINS9_11use_defaultEEENS9_5minusIaEEEE10hipError_tPvRmT2_T3_mT4_P12ihipStream_tbEUlT_E_NS1_11comp_targetILNS1_3genE8ELNS1_11target_archE1030ELNS1_3gpuE2ELNS1_3repE0EEENS1_30default_config_static_selectorELNS0_4arch9wavefront6targetE1EEEvT1_.kd
    .uniform_work_group_size: 1
    .uses_dynamic_stack: false
    .vgpr_count:     0
    .vgpr_spill_count: 0
    .wavefront_size: 64
  - .agpr_count:     0
    .args:
      - .offset:         0
        .size:           56
        .value_kind:     by_value
    .group_segment_fixed_size: 0
    .kernarg_segment_align: 8
    .kernarg_segment_size: 56
    .language:       OpenCL C
    .language_version:
      - 2
      - 0
    .max_flat_workgroup_size: 128
    .name:           _ZN7rocprim17ROCPRIM_400000_NS6detail17trampoline_kernelINS0_14default_configENS1_25transform_config_selectorIhLb0EEEZNS1_14transform_implILb0ES3_S5_NS0_18transform_iteratorINS0_17counting_iteratorImlEEZNS1_24adjacent_difference_implIS3_Lb1ELb0EPhN6thrust23THRUST_200600_302600_NS16discard_iteratorINSD_11use_defaultEEENSD_5minusIhEEEE10hipError_tPvRmT2_T3_mT4_P12ihipStream_tbEUlmE_hEESB_NS0_8identityIvEEEESJ_SM_SN_mSO_SQ_bEUlT_E_NS1_11comp_targetILNS1_3genE0ELNS1_11target_archE4294967295ELNS1_3gpuE0ELNS1_3repE0EEENS1_30default_config_static_selectorELNS0_4arch9wavefront6targetE1EEEvT1_
    .private_segment_fixed_size: 0
    .sgpr_count:     6
    .sgpr_spill_count: 0
    .symbol:         _ZN7rocprim17ROCPRIM_400000_NS6detail17trampoline_kernelINS0_14default_configENS1_25transform_config_selectorIhLb0EEEZNS1_14transform_implILb0ES3_S5_NS0_18transform_iteratorINS0_17counting_iteratorImlEEZNS1_24adjacent_difference_implIS3_Lb1ELb0EPhN6thrust23THRUST_200600_302600_NS16discard_iteratorINSD_11use_defaultEEENSD_5minusIhEEEE10hipError_tPvRmT2_T3_mT4_P12ihipStream_tbEUlmE_hEESB_NS0_8identityIvEEEESJ_SM_SN_mSO_SQ_bEUlT_E_NS1_11comp_targetILNS1_3genE0ELNS1_11target_archE4294967295ELNS1_3gpuE0ELNS1_3repE0EEENS1_30default_config_static_selectorELNS0_4arch9wavefront6targetE1EEEvT1_.kd
    .uniform_work_group_size: 1
    .uses_dynamic_stack: false
    .vgpr_count:     0
    .vgpr_spill_count: 0
    .wavefront_size: 64
  - .agpr_count:     0
    .args:
      - .offset:         0
        .size:           56
        .value_kind:     by_value
      - .offset:         56
        .size:           4
        .value_kind:     hidden_block_count_x
      - .offset:         60
        .size:           4
        .value_kind:     hidden_block_count_y
      - .offset:         64
        .size:           4
        .value_kind:     hidden_block_count_z
      - .offset:         68
        .size:           2
        .value_kind:     hidden_group_size_x
      - .offset:         70
        .size:           2
        .value_kind:     hidden_group_size_y
      - .offset:         72
        .size:           2
        .value_kind:     hidden_group_size_z
      - .offset:         74
        .size:           2
        .value_kind:     hidden_remainder_x
      - .offset:         76
        .size:           2
        .value_kind:     hidden_remainder_y
      - .offset:         78
        .size:           2
        .value_kind:     hidden_remainder_z
      - .offset:         96
        .size:           8
        .value_kind:     hidden_global_offset_x
      - .offset:         104
        .size:           8
        .value_kind:     hidden_global_offset_y
      - .offset:         112
        .size:           8
        .value_kind:     hidden_global_offset_z
      - .offset:         120
        .size:           2
        .value_kind:     hidden_grid_dims
    .group_segment_fixed_size: 0
    .kernarg_segment_align: 8
    .kernarg_segment_size: 312
    .language:       OpenCL C
    .language_version:
      - 2
      - 0
    .max_flat_workgroup_size: 1024
    .name:           _ZN7rocprim17ROCPRIM_400000_NS6detail17trampoline_kernelINS0_14default_configENS1_25transform_config_selectorIhLb0EEEZNS1_14transform_implILb0ES3_S5_NS0_18transform_iteratorINS0_17counting_iteratorImlEEZNS1_24adjacent_difference_implIS3_Lb1ELb0EPhN6thrust23THRUST_200600_302600_NS16discard_iteratorINSD_11use_defaultEEENSD_5minusIhEEEE10hipError_tPvRmT2_T3_mT4_P12ihipStream_tbEUlmE_hEESB_NS0_8identityIvEEEESJ_SM_SN_mSO_SQ_bEUlT_E_NS1_11comp_targetILNS1_3genE5ELNS1_11target_archE942ELNS1_3gpuE9ELNS1_3repE0EEENS1_30default_config_static_selectorELNS0_4arch9wavefront6targetE1EEEvT1_
    .private_segment_fixed_size: 0
    .sgpr_count:     33
    .sgpr_spill_count: 0
    .symbol:         _ZN7rocprim17ROCPRIM_400000_NS6detail17trampoline_kernelINS0_14default_configENS1_25transform_config_selectorIhLb0EEEZNS1_14transform_implILb0ES3_S5_NS0_18transform_iteratorINS0_17counting_iteratorImlEEZNS1_24adjacent_difference_implIS3_Lb1ELb0EPhN6thrust23THRUST_200600_302600_NS16discard_iteratorINSD_11use_defaultEEENSD_5minusIhEEEE10hipError_tPvRmT2_T3_mT4_P12ihipStream_tbEUlmE_hEESB_NS0_8identityIvEEEESJ_SM_SN_mSO_SQ_bEUlT_E_NS1_11comp_targetILNS1_3genE5ELNS1_11target_archE942ELNS1_3gpuE9ELNS1_3repE0EEENS1_30default_config_static_selectorELNS0_4arch9wavefront6targetE1EEEvT1_.kd
    .uniform_work_group_size: 1
    .uses_dynamic_stack: false
    .vgpr_count:     15
    .vgpr_spill_count: 0
    .wavefront_size: 64
  - .agpr_count:     0
    .args:
      - .offset:         0
        .size:           56
        .value_kind:     by_value
    .group_segment_fixed_size: 0
    .kernarg_segment_align: 8
    .kernarg_segment_size: 56
    .language:       OpenCL C
    .language_version:
      - 2
      - 0
    .max_flat_workgroup_size: 64
    .name:           _ZN7rocprim17ROCPRIM_400000_NS6detail17trampoline_kernelINS0_14default_configENS1_25transform_config_selectorIhLb0EEEZNS1_14transform_implILb0ES3_S5_NS0_18transform_iteratorINS0_17counting_iteratorImlEEZNS1_24adjacent_difference_implIS3_Lb1ELb0EPhN6thrust23THRUST_200600_302600_NS16discard_iteratorINSD_11use_defaultEEENSD_5minusIhEEEE10hipError_tPvRmT2_T3_mT4_P12ihipStream_tbEUlmE_hEESB_NS0_8identityIvEEEESJ_SM_SN_mSO_SQ_bEUlT_E_NS1_11comp_targetILNS1_3genE4ELNS1_11target_archE910ELNS1_3gpuE8ELNS1_3repE0EEENS1_30default_config_static_selectorELNS0_4arch9wavefront6targetE1EEEvT1_
    .private_segment_fixed_size: 0
    .sgpr_count:     6
    .sgpr_spill_count: 0
    .symbol:         _ZN7rocprim17ROCPRIM_400000_NS6detail17trampoline_kernelINS0_14default_configENS1_25transform_config_selectorIhLb0EEEZNS1_14transform_implILb0ES3_S5_NS0_18transform_iteratorINS0_17counting_iteratorImlEEZNS1_24adjacent_difference_implIS3_Lb1ELb0EPhN6thrust23THRUST_200600_302600_NS16discard_iteratorINSD_11use_defaultEEENSD_5minusIhEEEE10hipError_tPvRmT2_T3_mT4_P12ihipStream_tbEUlmE_hEESB_NS0_8identityIvEEEESJ_SM_SN_mSO_SQ_bEUlT_E_NS1_11comp_targetILNS1_3genE4ELNS1_11target_archE910ELNS1_3gpuE8ELNS1_3repE0EEENS1_30default_config_static_selectorELNS0_4arch9wavefront6targetE1EEEvT1_.kd
    .uniform_work_group_size: 1
    .uses_dynamic_stack: false
    .vgpr_count:     0
    .vgpr_spill_count: 0
    .wavefront_size: 64
  - .agpr_count:     0
    .args:
      - .offset:         0
        .size:           56
        .value_kind:     by_value
    .group_segment_fixed_size: 0
    .kernarg_segment_align: 8
    .kernarg_segment_size: 56
    .language:       OpenCL C
    .language_version:
      - 2
      - 0
    .max_flat_workgroup_size: 128
    .name:           _ZN7rocprim17ROCPRIM_400000_NS6detail17trampoline_kernelINS0_14default_configENS1_25transform_config_selectorIhLb0EEEZNS1_14transform_implILb0ES3_S5_NS0_18transform_iteratorINS0_17counting_iteratorImlEEZNS1_24adjacent_difference_implIS3_Lb1ELb0EPhN6thrust23THRUST_200600_302600_NS16discard_iteratorINSD_11use_defaultEEENSD_5minusIhEEEE10hipError_tPvRmT2_T3_mT4_P12ihipStream_tbEUlmE_hEESB_NS0_8identityIvEEEESJ_SM_SN_mSO_SQ_bEUlT_E_NS1_11comp_targetILNS1_3genE3ELNS1_11target_archE908ELNS1_3gpuE7ELNS1_3repE0EEENS1_30default_config_static_selectorELNS0_4arch9wavefront6targetE1EEEvT1_
    .private_segment_fixed_size: 0
    .sgpr_count:     6
    .sgpr_spill_count: 0
    .symbol:         _ZN7rocprim17ROCPRIM_400000_NS6detail17trampoline_kernelINS0_14default_configENS1_25transform_config_selectorIhLb0EEEZNS1_14transform_implILb0ES3_S5_NS0_18transform_iteratorINS0_17counting_iteratorImlEEZNS1_24adjacent_difference_implIS3_Lb1ELb0EPhN6thrust23THRUST_200600_302600_NS16discard_iteratorINSD_11use_defaultEEENSD_5minusIhEEEE10hipError_tPvRmT2_T3_mT4_P12ihipStream_tbEUlmE_hEESB_NS0_8identityIvEEEESJ_SM_SN_mSO_SQ_bEUlT_E_NS1_11comp_targetILNS1_3genE3ELNS1_11target_archE908ELNS1_3gpuE7ELNS1_3repE0EEENS1_30default_config_static_selectorELNS0_4arch9wavefront6targetE1EEEvT1_.kd
    .uniform_work_group_size: 1
    .uses_dynamic_stack: false
    .vgpr_count:     0
    .vgpr_spill_count: 0
    .wavefront_size: 64
  - .agpr_count:     0
    .args:
      - .offset:         0
        .size:           56
        .value_kind:     by_value
    .group_segment_fixed_size: 0
    .kernarg_segment_align: 8
    .kernarg_segment_size: 56
    .language:       OpenCL C
    .language_version:
      - 2
      - 0
    .max_flat_workgroup_size: 64
    .name:           _ZN7rocprim17ROCPRIM_400000_NS6detail17trampoline_kernelINS0_14default_configENS1_25transform_config_selectorIhLb0EEEZNS1_14transform_implILb0ES3_S5_NS0_18transform_iteratorINS0_17counting_iteratorImlEEZNS1_24adjacent_difference_implIS3_Lb1ELb0EPhN6thrust23THRUST_200600_302600_NS16discard_iteratorINSD_11use_defaultEEENSD_5minusIhEEEE10hipError_tPvRmT2_T3_mT4_P12ihipStream_tbEUlmE_hEESB_NS0_8identityIvEEEESJ_SM_SN_mSO_SQ_bEUlT_E_NS1_11comp_targetILNS1_3genE2ELNS1_11target_archE906ELNS1_3gpuE6ELNS1_3repE0EEENS1_30default_config_static_selectorELNS0_4arch9wavefront6targetE1EEEvT1_
    .private_segment_fixed_size: 0
    .sgpr_count:     6
    .sgpr_spill_count: 0
    .symbol:         _ZN7rocprim17ROCPRIM_400000_NS6detail17trampoline_kernelINS0_14default_configENS1_25transform_config_selectorIhLb0EEEZNS1_14transform_implILb0ES3_S5_NS0_18transform_iteratorINS0_17counting_iteratorImlEEZNS1_24adjacent_difference_implIS3_Lb1ELb0EPhN6thrust23THRUST_200600_302600_NS16discard_iteratorINSD_11use_defaultEEENSD_5minusIhEEEE10hipError_tPvRmT2_T3_mT4_P12ihipStream_tbEUlmE_hEESB_NS0_8identityIvEEEESJ_SM_SN_mSO_SQ_bEUlT_E_NS1_11comp_targetILNS1_3genE2ELNS1_11target_archE906ELNS1_3gpuE6ELNS1_3repE0EEENS1_30default_config_static_selectorELNS0_4arch9wavefront6targetE1EEEvT1_.kd
    .uniform_work_group_size: 1
    .uses_dynamic_stack: false
    .vgpr_count:     0
    .vgpr_spill_count: 0
    .wavefront_size: 64
  - .agpr_count:     0
    .args:
      - .offset:         0
        .size:           56
        .value_kind:     by_value
    .group_segment_fixed_size: 0
    .kernarg_segment_align: 8
    .kernarg_segment_size: 56
    .language:       OpenCL C
    .language_version:
      - 2
      - 0
    .max_flat_workgroup_size: 256
    .name:           _ZN7rocprim17ROCPRIM_400000_NS6detail17trampoline_kernelINS0_14default_configENS1_25transform_config_selectorIhLb0EEEZNS1_14transform_implILb0ES3_S5_NS0_18transform_iteratorINS0_17counting_iteratorImlEEZNS1_24adjacent_difference_implIS3_Lb1ELb0EPhN6thrust23THRUST_200600_302600_NS16discard_iteratorINSD_11use_defaultEEENSD_5minusIhEEEE10hipError_tPvRmT2_T3_mT4_P12ihipStream_tbEUlmE_hEESB_NS0_8identityIvEEEESJ_SM_SN_mSO_SQ_bEUlT_E_NS1_11comp_targetILNS1_3genE10ELNS1_11target_archE1201ELNS1_3gpuE5ELNS1_3repE0EEENS1_30default_config_static_selectorELNS0_4arch9wavefront6targetE1EEEvT1_
    .private_segment_fixed_size: 0
    .sgpr_count:     6
    .sgpr_spill_count: 0
    .symbol:         _ZN7rocprim17ROCPRIM_400000_NS6detail17trampoline_kernelINS0_14default_configENS1_25transform_config_selectorIhLb0EEEZNS1_14transform_implILb0ES3_S5_NS0_18transform_iteratorINS0_17counting_iteratorImlEEZNS1_24adjacent_difference_implIS3_Lb1ELb0EPhN6thrust23THRUST_200600_302600_NS16discard_iteratorINSD_11use_defaultEEENSD_5minusIhEEEE10hipError_tPvRmT2_T3_mT4_P12ihipStream_tbEUlmE_hEESB_NS0_8identityIvEEEESJ_SM_SN_mSO_SQ_bEUlT_E_NS1_11comp_targetILNS1_3genE10ELNS1_11target_archE1201ELNS1_3gpuE5ELNS1_3repE0EEENS1_30default_config_static_selectorELNS0_4arch9wavefront6targetE1EEEvT1_.kd
    .uniform_work_group_size: 1
    .uses_dynamic_stack: false
    .vgpr_count:     0
    .vgpr_spill_count: 0
    .wavefront_size: 64
  - .agpr_count:     0
    .args:
      - .offset:         0
        .size:           56
        .value_kind:     by_value
    .group_segment_fixed_size: 0
    .kernarg_segment_align: 8
    .kernarg_segment_size: 56
    .language:       OpenCL C
    .language_version:
      - 2
      - 0
    .max_flat_workgroup_size: 256
    .name:           _ZN7rocprim17ROCPRIM_400000_NS6detail17trampoline_kernelINS0_14default_configENS1_25transform_config_selectorIhLb0EEEZNS1_14transform_implILb0ES3_S5_NS0_18transform_iteratorINS0_17counting_iteratorImlEEZNS1_24adjacent_difference_implIS3_Lb1ELb0EPhN6thrust23THRUST_200600_302600_NS16discard_iteratorINSD_11use_defaultEEENSD_5minusIhEEEE10hipError_tPvRmT2_T3_mT4_P12ihipStream_tbEUlmE_hEESB_NS0_8identityIvEEEESJ_SM_SN_mSO_SQ_bEUlT_E_NS1_11comp_targetILNS1_3genE10ELNS1_11target_archE1200ELNS1_3gpuE4ELNS1_3repE0EEENS1_30default_config_static_selectorELNS0_4arch9wavefront6targetE1EEEvT1_
    .private_segment_fixed_size: 0
    .sgpr_count:     6
    .sgpr_spill_count: 0
    .symbol:         _ZN7rocprim17ROCPRIM_400000_NS6detail17trampoline_kernelINS0_14default_configENS1_25transform_config_selectorIhLb0EEEZNS1_14transform_implILb0ES3_S5_NS0_18transform_iteratorINS0_17counting_iteratorImlEEZNS1_24adjacent_difference_implIS3_Lb1ELb0EPhN6thrust23THRUST_200600_302600_NS16discard_iteratorINSD_11use_defaultEEENSD_5minusIhEEEE10hipError_tPvRmT2_T3_mT4_P12ihipStream_tbEUlmE_hEESB_NS0_8identityIvEEEESJ_SM_SN_mSO_SQ_bEUlT_E_NS1_11comp_targetILNS1_3genE10ELNS1_11target_archE1200ELNS1_3gpuE4ELNS1_3repE0EEENS1_30default_config_static_selectorELNS0_4arch9wavefront6targetE1EEEvT1_.kd
    .uniform_work_group_size: 1
    .uses_dynamic_stack: false
    .vgpr_count:     0
    .vgpr_spill_count: 0
    .wavefront_size: 64
  - .agpr_count:     0
    .args:
      - .offset:         0
        .size:           56
        .value_kind:     by_value
    .group_segment_fixed_size: 0
    .kernarg_segment_align: 8
    .kernarg_segment_size: 56
    .language:       OpenCL C
    .language_version:
      - 2
      - 0
    .max_flat_workgroup_size: 1024
    .name:           _ZN7rocprim17ROCPRIM_400000_NS6detail17trampoline_kernelINS0_14default_configENS1_25transform_config_selectorIhLb0EEEZNS1_14transform_implILb0ES3_S5_NS0_18transform_iteratorINS0_17counting_iteratorImlEEZNS1_24adjacent_difference_implIS3_Lb1ELb0EPhN6thrust23THRUST_200600_302600_NS16discard_iteratorINSD_11use_defaultEEENSD_5minusIhEEEE10hipError_tPvRmT2_T3_mT4_P12ihipStream_tbEUlmE_hEESB_NS0_8identityIvEEEESJ_SM_SN_mSO_SQ_bEUlT_E_NS1_11comp_targetILNS1_3genE9ELNS1_11target_archE1100ELNS1_3gpuE3ELNS1_3repE0EEENS1_30default_config_static_selectorELNS0_4arch9wavefront6targetE1EEEvT1_
    .private_segment_fixed_size: 0
    .sgpr_count:     6
    .sgpr_spill_count: 0
    .symbol:         _ZN7rocprim17ROCPRIM_400000_NS6detail17trampoline_kernelINS0_14default_configENS1_25transform_config_selectorIhLb0EEEZNS1_14transform_implILb0ES3_S5_NS0_18transform_iteratorINS0_17counting_iteratorImlEEZNS1_24adjacent_difference_implIS3_Lb1ELb0EPhN6thrust23THRUST_200600_302600_NS16discard_iteratorINSD_11use_defaultEEENSD_5minusIhEEEE10hipError_tPvRmT2_T3_mT4_P12ihipStream_tbEUlmE_hEESB_NS0_8identityIvEEEESJ_SM_SN_mSO_SQ_bEUlT_E_NS1_11comp_targetILNS1_3genE9ELNS1_11target_archE1100ELNS1_3gpuE3ELNS1_3repE0EEENS1_30default_config_static_selectorELNS0_4arch9wavefront6targetE1EEEvT1_.kd
    .uniform_work_group_size: 1
    .uses_dynamic_stack: false
    .vgpr_count:     0
    .vgpr_spill_count: 0
    .wavefront_size: 64
  - .agpr_count:     0
    .args:
      - .offset:         0
        .size:           56
        .value_kind:     by_value
    .group_segment_fixed_size: 0
    .kernarg_segment_align: 8
    .kernarg_segment_size: 56
    .language:       OpenCL C
    .language_version:
      - 2
      - 0
    .max_flat_workgroup_size: 128
    .name:           _ZN7rocprim17ROCPRIM_400000_NS6detail17trampoline_kernelINS0_14default_configENS1_25transform_config_selectorIhLb0EEEZNS1_14transform_implILb0ES3_S5_NS0_18transform_iteratorINS0_17counting_iteratorImlEEZNS1_24adjacent_difference_implIS3_Lb1ELb0EPhN6thrust23THRUST_200600_302600_NS16discard_iteratorINSD_11use_defaultEEENSD_5minusIhEEEE10hipError_tPvRmT2_T3_mT4_P12ihipStream_tbEUlmE_hEESB_NS0_8identityIvEEEESJ_SM_SN_mSO_SQ_bEUlT_E_NS1_11comp_targetILNS1_3genE8ELNS1_11target_archE1030ELNS1_3gpuE2ELNS1_3repE0EEENS1_30default_config_static_selectorELNS0_4arch9wavefront6targetE1EEEvT1_
    .private_segment_fixed_size: 0
    .sgpr_count:     6
    .sgpr_spill_count: 0
    .symbol:         _ZN7rocprim17ROCPRIM_400000_NS6detail17trampoline_kernelINS0_14default_configENS1_25transform_config_selectorIhLb0EEEZNS1_14transform_implILb0ES3_S5_NS0_18transform_iteratorINS0_17counting_iteratorImlEEZNS1_24adjacent_difference_implIS3_Lb1ELb0EPhN6thrust23THRUST_200600_302600_NS16discard_iteratorINSD_11use_defaultEEENSD_5minusIhEEEE10hipError_tPvRmT2_T3_mT4_P12ihipStream_tbEUlmE_hEESB_NS0_8identityIvEEEESJ_SM_SN_mSO_SQ_bEUlT_E_NS1_11comp_targetILNS1_3genE8ELNS1_11target_archE1030ELNS1_3gpuE2ELNS1_3repE0EEENS1_30default_config_static_selectorELNS0_4arch9wavefront6targetE1EEEvT1_.kd
    .uniform_work_group_size: 1
    .uses_dynamic_stack: false
    .vgpr_count:     0
    .vgpr_spill_count: 0
    .wavefront_size: 64
  - .agpr_count:     0
    .args:
      - .offset:         0
        .size:           64
        .value_kind:     by_value
    .group_segment_fixed_size: 0
    .kernarg_segment_align: 8
    .kernarg_segment_size: 64
    .language:       OpenCL C
    .language_version:
      - 2
      - 0
    .max_flat_workgroup_size: 64
    .name:           _ZN7rocprim17ROCPRIM_400000_NS6detail17trampoline_kernelINS0_14default_configENS1_35adjacent_difference_config_selectorILb1EhEEZNS1_24adjacent_difference_implIS3_Lb1ELb0EPhN6thrust23THRUST_200600_302600_NS16discard_iteratorINS9_11use_defaultEEENS9_5minusIhEEEE10hipError_tPvRmT2_T3_mT4_P12ihipStream_tbEUlT_E_NS1_11comp_targetILNS1_3genE0ELNS1_11target_archE4294967295ELNS1_3gpuE0ELNS1_3repE0EEENS1_30default_config_static_selectorELNS0_4arch9wavefront6targetE1EEEvT1_
    .private_segment_fixed_size: 0
    .sgpr_count:     6
    .sgpr_spill_count: 0
    .symbol:         _ZN7rocprim17ROCPRIM_400000_NS6detail17trampoline_kernelINS0_14default_configENS1_35adjacent_difference_config_selectorILb1EhEEZNS1_24adjacent_difference_implIS3_Lb1ELb0EPhN6thrust23THRUST_200600_302600_NS16discard_iteratorINS9_11use_defaultEEENS9_5minusIhEEEE10hipError_tPvRmT2_T3_mT4_P12ihipStream_tbEUlT_E_NS1_11comp_targetILNS1_3genE0ELNS1_11target_archE4294967295ELNS1_3gpuE0ELNS1_3repE0EEENS1_30default_config_static_selectorELNS0_4arch9wavefront6targetE1EEEvT1_.kd
    .uniform_work_group_size: 1
    .uses_dynamic_stack: false
    .vgpr_count:     0
    .vgpr_spill_count: 0
    .wavefront_size: 64
  - .agpr_count:     0
    .args:
      - .offset:         0
        .size:           64
        .value_kind:     by_value
    .group_segment_fixed_size: 0
    .kernarg_segment_align: 8
    .kernarg_segment_size: 64
    .language:       OpenCL C
    .language_version:
      - 2
      - 0
    .max_flat_workgroup_size: 128
    .name:           _ZN7rocprim17ROCPRIM_400000_NS6detail17trampoline_kernelINS0_14default_configENS1_35adjacent_difference_config_selectorILb1EhEEZNS1_24adjacent_difference_implIS3_Lb1ELb0EPhN6thrust23THRUST_200600_302600_NS16discard_iteratorINS9_11use_defaultEEENS9_5minusIhEEEE10hipError_tPvRmT2_T3_mT4_P12ihipStream_tbEUlT_E_NS1_11comp_targetILNS1_3genE10ELNS1_11target_archE1201ELNS1_3gpuE5ELNS1_3repE0EEENS1_30default_config_static_selectorELNS0_4arch9wavefront6targetE1EEEvT1_
    .private_segment_fixed_size: 0
    .sgpr_count:     6
    .sgpr_spill_count: 0
    .symbol:         _ZN7rocprim17ROCPRIM_400000_NS6detail17trampoline_kernelINS0_14default_configENS1_35adjacent_difference_config_selectorILb1EhEEZNS1_24adjacent_difference_implIS3_Lb1ELb0EPhN6thrust23THRUST_200600_302600_NS16discard_iteratorINS9_11use_defaultEEENS9_5minusIhEEEE10hipError_tPvRmT2_T3_mT4_P12ihipStream_tbEUlT_E_NS1_11comp_targetILNS1_3genE10ELNS1_11target_archE1201ELNS1_3gpuE5ELNS1_3repE0EEENS1_30default_config_static_selectorELNS0_4arch9wavefront6targetE1EEEvT1_.kd
    .uniform_work_group_size: 1
    .uses_dynamic_stack: false
    .vgpr_count:     0
    .vgpr_spill_count: 0
    .wavefront_size: 64
  - .agpr_count:     0
    .args:
      - .offset:         0
        .size:           64
        .value_kind:     by_value
    .group_segment_fixed_size: 2944
    .kernarg_segment_align: 8
    .kernarg_segment_size: 64
    .language:       OpenCL C
    .language_version:
      - 2
      - 0
    .max_flat_workgroup_size: 128
    .name:           _ZN7rocprim17ROCPRIM_400000_NS6detail17trampoline_kernelINS0_14default_configENS1_35adjacent_difference_config_selectorILb1EhEEZNS1_24adjacent_difference_implIS3_Lb1ELb0EPhN6thrust23THRUST_200600_302600_NS16discard_iteratorINS9_11use_defaultEEENS9_5minusIhEEEE10hipError_tPvRmT2_T3_mT4_P12ihipStream_tbEUlT_E_NS1_11comp_targetILNS1_3genE5ELNS1_11target_archE942ELNS1_3gpuE9ELNS1_3repE0EEENS1_30default_config_static_selectorELNS0_4arch9wavefront6targetE1EEEvT1_
    .private_segment_fixed_size: 0
    .sgpr_count:     27
    .sgpr_spill_count: 0
    .symbol:         _ZN7rocprim17ROCPRIM_400000_NS6detail17trampoline_kernelINS0_14default_configENS1_35adjacent_difference_config_selectorILb1EhEEZNS1_24adjacent_difference_implIS3_Lb1ELb0EPhN6thrust23THRUST_200600_302600_NS16discard_iteratorINS9_11use_defaultEEENS9_5minusIhEEEE10hipError_tPvRmT2_T3_mT4_P12ihipStream_tbEUlT_E_NS1_11comp_targetILNS1_3genE5ELNS1_11target_archE942ELNS1_3gpuE9ELNS1_3repE0EEENS1_30default_config_static_selectorELNS0_4arch9wavefront6targetE1EEEvT1_.kd
    .uniform_work_group_size: 1
    .uses_dynamic_stack: false
    .vgpr_count:     38
    .vgpr_spill_count: 0
    .wavefront_size: 64
  - .agpr_count:     0
    .args:
      - .offset:         0
        .size:           64
        .value_kind:     by_value
    .group_segment_fixed_size: 0
    .kernarg_segment_align: 8
    .kernarg_segment_size: 64
    .language:       OpenCL C
    .language_version:
      - 2
      - 0
    .max_flat_workgroup_size: 128
    .name:           _ZN7rocprim17ROCPRIM_400000_NS6detail17trampoline_kernelINS0_14default_configENS1_35adjacent_difference_config_selectorILb1EhEEZNS1_24adjacent_difference_implIS3_Lb1ELb0EPhN6thrust23THRUST_200600_302600_NS16discard_iteratorINS9_11use_defaultEEENS9_5minusIhEEEE10hipError_tPvRmT2_T3_mT4_P12ihipStream_tbEUlT_E_NS1_11comp_targetILNS1_3genE4ELNS1_11target_archE910ELNS1_3gpuE8ELNS1_3repE0EEENS1_30default_config_static_selectorELNS0_4arch9wavefront6targetE1EEEvT1_
    .private_segment_fixed_size: 0
    .sgpr_count:     6
    .sgpr_spill_count: 0
    .symbol:         _ZN7rocprim17ROCPRIM_400000_NS6detail17trampoline_kernelINS0_14default_configENS1_35adjacent_difference_config_selectorILb1EhEEZNS1_24adjacent_difference_implIS3_Lb1ELb0EPhN6thrust23THRUST_200600_302600_NS16discard_iteratorINS9_11use_defaultEEENS9_5minusIhEEEE10hipError_tPvRmT2_T3_mT4_P12ihipStream_tbEUlT_E_NS1_11comp_targetILNS1_3genE4ELNS1_11target_archE910ELNS1_3gpuE8ELNS1_3repE0EEENS1_30default_config_static_selectorELNS0_4arch9wavefront6targetE1EEEvT1_.kd
    .uniform_work_group_size: 1
    .uses_dynamic_stack: false
    .vgpr_count:     0
    .vgpr_spill_count: 0
    .wavefront_size: 64
  - .agpr_count:     0
    .args:
      - .offset:         0
        .size:           64
        .value_kind:     by_value
    .group_segment_fixed_size: 0
    .kernarg_segment_align: 8
    .kernarg_segment_size: 64
    .language:       OpenCL C
    .language_version:
      - 2
      - 0
    .max_flat_workgroup_size: 64
    .name:           _ZN7rocprim17ROCPRIM_400000_NS6detail17trampoline_kernelINS0_14default_configENS1_35adjacent_difference_config_selectorILb1EhEEZNS1_24adjacent_difference_implIS3_Lb1ELb0EPhN6thrust23THRUST_200600_302600_NS16discard_iteratorINS9_11use_defaultEEENS9_5minusIhEEEE10hipError_tPvRmT2_T3_mT4_P12ihipStream_tbEUlT_E_NS1_11comp_targetILNS1_3genE3ELNS1_11target_archE908ELNS1_3gpuE7ELNS1_3repE0EEENS1_30default_config_static_selectorELNS0_4arch9wavefront6targetE1EEEvT1_
    .private_segment_fixed_size: 0
    .sgpr_count:     6
    .sgpr_spill_count: 0
    .symbol:         _ZN7rocprim17ROCPRIM_400000_NS6detail17trampoline_kernelINS0_14default_configENS1_35adjacent_difference_config_selectorILb1EhEEZNS1_24adjacent_difference_implIS3_Lb1ELb0EPhN6thrust23THRUST_200600_302600_NS16discard_iteratorINS9_11use_defaultEEENS9_5minusIhEEEE10hipError_tPvRmT2_T3_mT4_P12ihipStream_tbEUlT_E_NS1_11comp_targetILNS1_3genE3ELNS1_11target_archE908ELNS1_3gpuE7ELNS1_3repE0EEENS1_30default_config_static_selectorELNS0_4arch9wavefront6targetE1EEEvT1_.kd
    .uniform_work_group_size: 1
    .uses_dynamic_stack: false
    .vgpr_count:     0
    .vgpr_spill_count: 0
    .wavefront_size: 64
  - .agpr_count:     0
    .args:
      - .offset:         0
        .size:           64
        .value_kind:     by_value
    .group_segment_fixed_size: 0
    .kernarg_segment_align: 8
    .kernarg_segment_size: 64
    .language:       OpenCL C
    .language_version:
      - 2
      - 0
    .max_flat_workgroup_size: 64
    .name:           _ZN7rocprim17ROCPRIM_400000_NS6detail17trampoline_kernelINS0_14default_configENS1_35adjacent_difference_config_selectorILb1EhEEZNS1_24adjacent_difference_implIS3_Lb1ELb0EPhN6thrust23THRUST_200600_302600_NS16discard_iteratorINS9_11use_defaultEEENS9_5minusIhEEEE10hipError_tPvRmT2_T3_mT4_P12ihipStream_tbEUlT_E_NS1_11comp_targetILNS1_3genE2ELNS1_11target_archE906ELNS1_3gpuE6ELNS1_3repE0EEENS1_30default_config_static_selectorELNS0_4arch9wavefront6targetE1EEEvT1_
    .private_segment_fixed_size: 0
    .sgpr_count:     6
    .sgpr_spill_count: 0
    .symbol:         _ZN7rocprim17ROCPRIM_400000_NS6detail17trampoline_kernelINS0_14default_configENS1_35adjacent_difference_config_selectorILb1EhEEZNS1_24adjacent_difference_implIS3_Lb1ELb0EPhN6thrust23THRUST_200600_302600_NS16discard_iteratorINS9_11use_defaultEEENS9_5minusIhEEEE10hipError_tPvRmT2_T3_mT4_P12ihipStream_tbEUlT_E_NS1_11comp_targetILNS1_3genE2ELNS1_11target_archE906ELNS1_3gpuE6ELNS1_3repE0EEENS1_30default_config_static_selectorELNS0_4arch9wavefront6targetE1EEEvT1_.kd
    .uniform_work_group_size: 1
    .uses_dynamic_stack: false
    .vgpr_count:     0
    .vgpr_spill_count: 0
    .wavefront_size: 64
  - .agpr_count:     0
    .args:
      - .offset:         0
        .size:           64
        .value_kind:     by_value
    .group_segment_fixed_size: 0
    .kernarg_segment_align: 8
    .kernarg_segment_size: 64
    .language:       OpenCL C
    .language_version:
      - 2
      - 0
    .max_flat_workgroup_size: 512
    .name:           _ZN7rocprim17ROCPRIM_400000_NS6detail17trampoline_kernelINS0_14default_configENS1_35adjacent_difference_config_selectorILb1EhEEZNS1_24adjacent_difference_implIS3_Lb1ELb0EPhN6thrust23THRUST_200600_302600_NS16discard_iteratorINS9_11use_defaultEEENS9_5minusIhEEEE10hipError_tPvRmT2_T3_mT4_P12ihipStream_tbEUlT_E_NS1_11comp_targetILNS1_3genE9ELNS1_11target_archE1100ELNS1_3gpuE3ELNS1_3repE0EEENS1_30default_config_static_selectorELNS0_4arch9wavefront6targetE1EEEvT1_
    .private_segment_fixed_size: 0
    .sgpr_count:     6
    .sgpr_spill_count: 0
    .symbol:         _ZN7rocprim17ROCPRIM_400000_NS6detail17trampoline_kernelINS0_14default_configENS1_35adjacent_difference_config_selectorILb1EhEEZNS1_24adjacent_difference_implIS3_Lb1ELb0EPhN6thrust23THRUST_200600_302600_NS16discard_iteratorINS9_11use_defaultEEENS9_5minusIhEEEE10hipError_tPvRmT2_T3_mT4_P12ihipStream_tbEUlT_E_NS1_11comp_targetILNS1_3genE9ELNS1_11target_archE1100ELNS1_3gpuE3ELNS1_3repE0EEENS1_30default_config_static_selectorELNS0_4arch9wavefront6targetE1EEEvT1_.kd
    .uniform_work_group_size: 1
    .uses_dynamic_stack: false
    .vgpr_count:     0
    .vgpr_spill_count: 0
    .wavefront_size: 64
  - .agpr_count:     0
    .args:
      - .offset:         0
        .size:           64
        .value_kind:     by_value
    .group_segment_fixed_size: 0
    .kernarg_segment_align: 8
    .kernarg_segment_size: 64
    .language:       OpenCL C
    .language_version:
      - 2
      - 0
    .max_flat_workgroup_size: 1024
    .name:           _ZN7rocprim17ROCPRIM_400000_NS6detail17trampoline_kernelINS0_14default_configENS1_35adjacent_difference_config_selectorILb1EhEEZNS1_24adjacent_difference_implIS3_Lb1ELb0EPhN6thrust23THRUST_200600_302600_NS16discard_iteratorINS9_11use_defaultEEENS9_5minusIhEEEE10hipError_tPvRmT2_T3_mT4_P12ihipStream_tbEUlT_E_NS1_11comp_targetILNS1_3genE8ELNS1_11target_archE1030ELNS1_3gpuE2ELNS1_3repE0EEENS1_30default_config_static_selectorELNS0_4arch9wavefront6targetE1EEEvT1_
    .private_segment_fixed_size: 0
    .sgpr_count:     6
    .sgpr_spill_count: 0
    .symbol:         _ZN7rocprim17ROCPRIM_400000_NS6detail17trampoline_kernelINS0_14default_configENS1_35adjacent_difference_config_selectorILb1EhEEZNS1_24adjacent_difference_implIS3_Lb1ELb0EPhN6thrust23THRUST_200600_302600_NS16discard_iteratorINS9_11use_defaultEEENS9_5minusIhEEEE10hipError_tPvRmT2_T3_mT4_P12ihipStream_tbEUlT_E_NS1_11comp_targetILNS1_3genE8ELNS1_11target_archE1030ELNS1_3gpuE2ELNS1_3repE0EEENS1_30default_config_static_selectorELNS0_4arch9wavefront6targetE1EEEvT1_.kd
    .uniform_work_group_size: 1
    .uses_dynamic_stack: false
    .vgpr_count:     0
    .vgpr_spill_count: 0
    .wavefront_size: 64
  - .agpr_count:     0
    .args:
      - .offset:         0
        .size:           56
        .value_kind:     by_value
    .group_segment_fixed_size: 0
    .kernarg_segment_align: 8
    .kernarg_segment_size: 56
    .language:       OpenCL C
    .language_version:
      - 2
      - 0
    .max_flat_workgroup_size: 128
    .name:           _ZN7rocprim17ROCPRIM_400000_NS6detail17trampoline_kernelINS0_14default_configENS1_25transform_config_selectorIsLb0EEEZNS1_14transform_implILb0ES3_S5_NS0_18transform_iteratorINS0_17counting_iteratorImlEEZNS1_24adjacent_difference_implIS3_Lb1ELb0EPsN6thrust23THRUST_200600_302600_NS16discard_iteratorINSD_11use_defaultEEENSD_5minusIsEEEE10hipError_tPvRmT2_T3_mT4_P12ihipStream_tbEUlmE_sEESB_NS0_8identityIvEEEESJ_SM_SN_mSO_SQ_bEUlT_E_NS1_11comp_targetILNS1_3genE0ELNS1_11target_archE4294967295ELNS1_3gpuE0ELNS1_3repE0EEENS1_30default_config_static_selectorELNS0_4arch9wavefront6targetE1EEEvT1_
    .private_segment_fixed_size: 0
    .sgpr_count:     6
    .sgpr_spill_count: 0
    .symbol:         _ZN7rocprim17ROCPRIM_400000_NS6detail17trampoline_kernelINS0_14default_configENS1_25transform_config_selectorIsLb0EEEZNS1_14transform_implILb0ES3_S5_NS0_18transform_iteratorINS0_17counting_iteratorImlEEZNS1_24adjacent_difference_implIS3_Lb1ELb0EPsN6thrust23THRUST_200600_302600_NS16discard_iteratorINSD_11use_defaultEEENSD_5minusIsEEEE10hipError_tPvRmT2_T3_mT4_P12ihipStream_tbEUlmE_sEESB_NS0_8identityIvEEEESJ_SM_SN_mSO_SQ_bEUlT_E_NS1_11comp_targetILNS1_3genE0ELNS1_11target_archE4294967295ELNS1_3gpuE0ELNS1_3repE0EEENS1_30default_config_static_selectorELNS0_4arch9wavefront6targetE1EEEvT1_.kd
    .uniform_work_group_size: 1
    .uses_dynamic_stack: false
    .vgpr_count:     0
    .vgpr_spill_count: 0
    .wavefront_size: 64
  - .agpr_count:     0
    .args:
      - .offset:         0
        .size:           56
        .value_kind:     by_value
      - .offset:         56
        .size:           4
        .value_kind:     hidden_block_count_x
      - .offset:         60
        .size:           4
        .value_kind:     hidden_block_count_y
      - .offset:         64
        .size:           4
        .value_kind:     hidden_block_count_z
      - .offset:         68
        .size:           2
        .value_kind:     hidden_group_size_x
      - .offset:         70
        .size:           2
        .value_kind:     hidden_group_size_y
      - .offset:         72
        .size:           2
        .value_kind:     hidden_group_size_z
      - .offset:         74
        .size:           2
        .value_kind:     hidden_remainder_x
      - .offset:         76
        .size:           2
        .value_kind:     hidden_remainder_y
      - .offset:         78
        .size:           2
        .value_kind:     hidden_remainder_z
      - .offset:         96
        .size:           8
        .value_kind:     hidden_global_offset_x
      - .offset:         104
        .size:           8
        .value_kind:     hidden_global_offset_y
      - .offset:         112
        .size:           8
        .value_kind:     hidden_global_offset_z
      - .offset:         120
        .size:           2
        .value_kind:     hidden_grid_dims
    .group_segment_fixed_size: 0
    .kernarg_segment_align: 8
    .kernarg_segment_size: 312
    .language:       OpenCL C
    .language_version:
      - 2
      - 0
    .max_flat_workgroup_size: 256
    .name:           _ZN7rocprim17ROCPRIM_400000_NS6detail17trampoline_kernelINS0_14default_configENS1_25transform_config_selectorIsLb0EEEZNS1_14transform_implILb0ES3_S5_NS0_18transform_iteratorINS0_17counting_iteratorImlEEZNS1_24adjacent_difference_implIS3_Lb1ELb0EPsN6thrust23THRUST_200600_302600_NS16discard_iteratorINSD_11use_defaultEEENSD_5minusIsEEEE10hipError_tPvRmT2_T3_mT4_P12ihipStream_tbEUlmE_sEESB_NS0_8identityIvEEEESJ_SM_SN_mSO_SQ_bEUlT_E_NS1_11comp_targetILNS1_3genE5ELNS1_11target_archE942ELNS1_3gpuE9ELNS1_3repE0EEENS1_30default_config_static_selectorELNS0_4arch9wavefront6targetE1EEEvT1_
    .private_segment_fixed_size: 0
    .sgpr_count:     34
    .sgpr_spill_count: 0
    .symbol:         _ZN7rocprim17ROCPRIM_400000_NS6detail17trampoline_kernelINS0_14default_configENS1_25transform_config_selectorIsLb0EEEZNS1_14transform_implILb0ES3_S5_NS0_18transform_iteratorINS0_17counting_iteratorImlEEZNS1_24adjacent_difference_implIS3_Lb1ELb0EPsN6thrust23THRUST_200600_302600_NS16discard_iteratorINSD_11use_defaultEEENSD_5minusIsEEEE10hipError_tPvRmT2_T3_mT4_P12ihipStream_tbEUlmE_sEESB_NS0_8identityIvEEEESJ_SM_SN_mSO_SQ_bEUlT_E_NS1_11comp_targetILNS1_3genE5ELNS1_11target_archE942ELNS1_3gpuE9ELNS1_3repE0EEENS1_30default_config_static_selectorELNS0_4arch9wavefront6targetE1EEEvT1_.kd
    .uniform_work_group_size: 1
    .uses_dynamic_stack: false
    .vgpr_count:     19
    .vgpr_spill_count: 0
    .wavefront_size: 64
  - .agpr_count:     0
    .args:
      - .offset:         0
        .size:           56
        .value_kind:     by_value
    .group_segment_fixed_size: 0
    .kernarg_segment_align: 8
    .kernarg_segment_size: 56
    .language:       OpenCL C
    .language_version:
      - 2
      - 0
    .max_flat_workgroup_size: 64
    .name:           _ZN7rocprim17ROCPRIM_400000_NS6detail17trampoline_kernelINS0_14default_configENS1_25transform_config_selectorIsLb0EEEZNS1_14transform_implILb0ES3_S5_NS0_18transform_iteratorINS0_17counting_iteratorImlEEZNS1_24adjacent_difference_implIS3_Lb1ELb0EPsN6thrust23THRUST_200600_302600_NS16discard_iteratorINSD_11use_defaultEEENSD_5minusIsEEEE10hipError_tPvRmT2_T3_mT4_P12ihipStream_tbEUlmE_sEESB_NS0_8identityIvEEEESJ_SM_SN_mSO_SQ_bEUlT_E_NS1_11comp_targetILNS1_3genE4ELNS1_11target_archE910ELNS1_3gpuE8ELNS1_3repE0EEENS1_30default_config_static_selectorELNS0_4arch9wavefront6targetE1EEEvT1_
    .private_segment_fixed_size: 0
    .sgpr_count:     6
    .sgpr_spill_count: 0
    .symbol:         _ZN7rocprim17ROCPRIM_400000_NS6detail17trampoline_kernelINS0_14default_configENS1_25transform_config_selectorIsLb0EEEZNS1_14transform_implILb0ES3_S5_NS0_18transform_iteratorINS0_17counting_iteratorImlEEZNS1_24adjacent_difference_implIS3_Lb1ELb0EPsN6thrust23THRUST_200600_302600_NS16discard_iteratorINSD_11use_defaultEEENSD_5minusIsEEEE10hipError_tPvRmT2_T3_mT4_P12ihipStream_tbEUlmE_sEESB_NS0_8identityIvEEEESJ_SM_SN_mSO_SQ_bEUlT_E_NS1_11comp_targetILNS1_3genE4ELNS1_11target_archE910ELNS1_3gpuE8ELNS1_3repE0EEENS1_30default_config_static_selectorELNS0_4arch9wavefront6targetE1EEEvT1_.kd
    .uniform_work_group_size: 1
    .uses_dynamic_stack: false
    .vgpr_count:     0
    .vgpr_spill_count: 0
    .wavefront_size: 64
  - .agpr_count:     0
    .args:
      - .offset:         0
        .size:           56
        .value_kind:     by_value
    .group_segment_fixed_size: 0
    .kernarg_segment_align: 8
    .kernarg_segment_size: 56
    .language:       OpenCL C
    .language_version:
      - 2
      - 0
    .max_flat_workgroup_size: 128
    .name:           _ZN7rocprim17ROCPRIM_400000_NS6detail17trampoline_kernelINS0_14default_configENS1_25transform_config_selectorIsLb0EEEZNS1_14transform_implILb0ES3_S5_NS0_18transform_iteratorINS0_17counting_iteratorImlEEZNS1_24adjacent_difference_implIS3_Lb1ELb0EPsN6thrust23THRUST_200600_302600_NS16discard_iteratorINSD_11use_defaultEEENSD_5minusIsEEEE10hipError_tPvRmT2_T3_mT4_P12ihipStream_tbEUlmE_sEESB_NS0_8identityIvEEEESJ_SM_SN_mSO_SQ_bEUlT_E_NS1_11comp_targetILNS1_3genE3ELNS1_11target_archE908ELNS1_3gpuE7ELNS1_3repE0EEENS1_30default_config_static_selectorELNS0_4arch9wavefront6targetE1EEEvT1_
    .private_segment_fixed_size: 0
    .sgpr_count:     6
    .sgpr_spill_count: 0
    .symbol:         _ZN7rocprim17ROCPRIM_400000_NS6detail17trampoline_kernelINS0_14default_configENS1_25transform_config_selectorIsLb0EEEZNS1_14transform_implILb0ES3_S5_NS0_18transform_iteratorINS0_17counting_iteratorImlEEZNS1_24adjacent_difference_implIS3_Lb1ELb0EPsN6thrust23THRUST_200600_302600_NS16discard_iteratorINSD_11use_defaultEEENSD_5minusIsEEEE10hipError_tPvRmT2_T3_mT4_P12ihipStream_tbEUlmE_sEESB_NS0_8identityIvEEEESJ_SM_SN_mSO_SQ_bEUlT_E_NS1_11comp_targetILNS1_3genE3ELNS1_11target_archE908ELNS1_3gpuE7ELNS1_3repE0EEENS1_30default_config_static_selectorELNS0_4arch9wavefront6targetE1EEEvT1_.kd
    .uniform_work_group_size: 1
    .uses_dynamic_stack: false
    .vgpr_count:     0
    .vgpr_spill_count: 0
    .wavefront_size: 64
  - .agpr_count:     0
    .args:
      - .offset:         0
        .size:           56
        .value_kind:     by_value
    .group_segment_fixed_size: 0
    .kernarg_segment_align: 8
    .kernarg_segment_size: 56
    .language:       OpenCL C
    .language_version:
      - 2
      - 0
    .max_flat_workgroup_size: 512
    .name:           _ZN7rocprim17ROCPRIM_400000_NS6detail17trampoline_kernelINS0_14default_configENS1_25transform_config_selectorIsLb0EEEZNS1_14transform_implILb0ES3_S5_NS0_18transform_iteratorINS0_17counting_iteratorImlEEZNS1_24adjacent_difference_implIS3_Lb1ELb0EPsN6thrust23THRUST_200600_302600_NS16discard_iteratorINSD_11use_defaultEEENSD_5minusIsEEEE10hipError_tPvRmT2_T3_mT4_P12ihipStream_tbEUlmE_sEESB_NS0_8identityIvEEEESJ_SM_SN_mSO_SQ_bEUlT_E_NS1_11comp_targetILNS1_3genE2ELNS1_11target_archE906ELNS1_3gpuE6ELNS1_3repE0EEENS1_30default_config_static_selectorELNS0_4arch9wavefront6targetE1EEEvT1_
    .private_segment_fixed_size: 0
    .sgpr_count:     6
    .sgpr_spill_count: 0
    .symbol:         _ZN7rocprim17ROCPRIM_400000_NS6detail17trampoline_kernelINS0_14default_configENS1_25transform_config_selectorIsLb0EEEZNS1_14transform_implILb0ES3_S5_NS0_18transform_iteratorINS0_17counting_iteratorImlEEZNS1_24adjacent_difference_implIS3_Lb1ELb0EPsN6thrust23THRUST_200600_302600_NS16discard_iteratorINSD_11use_defaultEEENSD_5minusIsEEEE10hipError_tPvRmT2_T3_mT4_P12ihipStream_tbEUlmE_sEESB_NS0_8identityIvEEEESJ_SM_SN_mSO_SQ_bEUlT_E_NS1_11comp_targetILNS1_3genE2ELNS1_11target_archE906ELNS1_3gpuE6ELNS1_3repE0EEENS1_30default_config_static_selectorELNS0_4arch9wavefront6targetE1EEEvT1_.kd
    .uniform_work_group_size: 1
    .uses_dynamic_stack: false
    .vgpr_count:     0
    .vgpr_spill_count: 0
    .wavefront_size: 64
  - .agpr_count:     0
    .args:
      - .offset:         0
        .size:           56
        .value_kind:     by_value
    .group_segment_fixed_size: 0
    .kernarg_segment_align: 8
    .kernarg_segment_size: 56
    .language:       OpenCL C
    .language_version:
      - 2
      - 0
    .max_flat_workgroup_size: 1024
    .name:           _ZN7rocprim17ROCPRIM_400000_NS6detail17trampoline_kernelINS0_14default_configENS1_25transform_config_selectorIsLb0EEEZNS1_14transform_implILb0ES3_S5_NS0_18transform_iteratorINS0_17counting_iteratorImlEEZNS1_24adjacent_difference_implIS3_Lb1ELb0EPsN6thrust23THRUST_200600_302600_NS16discard_iteratorINSD_11use_defaultEEENSD_5minusIsEEEE10hipError_tPvRmT2_T3_mT4_P12ihipStream_tbEUlmE_sEESB_NS0_8identityIvEEEESJ_SM_SN_mSO_SQ_bEUlT_E_NS1_11comp_targetILNS1_3genE10ELNS1_11target_archE1201ELNS1_3gpuE5ELNS1_3repE0EEENS1_30default_config_static_selectorELNS0_4arch9wavefront6targetE1EEEvT1_
    .private_segment_fixed_size: 0
    .sgpr_count:     6
    .sgpr_spill_count: 0
    .symbol:         _ZN7rocprim17ROCPRIM_400000_NS6detail17trampoline_kernelINS0_14default_configENS1_25transform_config_selectorIsLb0EEEZNS1_14transform_implILb0ES3_S5_NS0_18transform_iteratorINS0_17counting_iteratorImlEEZNS1_24adjacent_difference_implIS3_Lb1ELb0EPsN6thrust23THRUST_200600_302600_NS16discard_iteratorINSD_11use_defaultEEENSD_5minusIsEEEE10hipError_tPvRmT2_T3_mT4_P12ihipStream_tbEUlmE_sEESB_NS0_8identityIvEEEESJ_SM_SN_mSO_SQ_bEUlT_E_NS1_11comp_targetILNS1_3genE10ELNS1_11target_archE1201ELNS1_3gpuE5ELNS1_3repE0EEENS1_30default_config_static_selectorELNS0_4arch9wavefront6targetE1EEEvT1_.kd
    .uniform_work_group_size: 1
    .uses_dynamic_stack: false
    .vgpr_count:     0
    .vgpr_spill_count: 0
    .wavefront_size: 64
  - .agpr_count:     0
    .args:
      - .offset:         0
        .size:           56
        .value_kind:     by_value
    .group_segment_fixed_size: 0
    .kernarg_segment_align: 8
    .kernarg_segment_size: 56
    .language:       OpenCL C
    .language_version:
      - 2
      - 0
    .max_flat_workgroup_size: 512
    .name:           _ZN7rocprim17ROCPRIM_400000_NS6detail17trampoline_kernelINS0_14default_configENS1_25transform_config_selectorIsLb0EEEZNS1_14transform_implILb0ES3_S5_NS0_18transform_iteratorINS0_17counting_iteratorImlEEZNS1_24adjacent_difference_implIS3_Lb1ELb0EPsN6thrust23THRUST_200600_302600_NS16discard_iteratorINSD_11use_defaultEEENSD_5minusIsEEEE10hipError_tPvRmT2_T3_mT4_P12ihipStream_tbEUlmE_sEESB_NS0_8identityIvEEEESJ_SM_SN_mSO_SQ_bEUlT_E_NS1_11comp_targetILNS1_3genE10ELNS1_11target_archE1200ELNS1_3gpuE4ELNS1_3repE0EEENS1_30default_config_static_selectorELNS0_4arch9wavefront6targetE1EEEvT1_
    .private_segment_fixed_size: 0
    .sgpr_count:     6
    .sgpr_spill_count: 0
    .symbol:         _ZN7rocprim17ROCPRIM_400000_NS6detail17trampoline_kernelINS0_14default_configENS1_25transform_config_selectorIsLb0EEEZNS1_14transform_implILb0ES3_S5_NS0_18transform_iteratorINS0_17counting_iteratorImlEEZNS1_24adjacent_difference_implIS3_Lb1ELb0EPsN6thrust23THRUST_200600_302600_NS16discard_iteratorINSD_11use_defaultEEENSD_5minusIsEEEE10hipError_tPvRmT2_T3_mT4_P12ihipStream_tbEUlmE_sEESB_NS0_8identityIvEEEESJ_SM_SN_mSO_SQ_bEUlT_E_NS1_11comp_targetILNS1_3genE10ELNS1_11target_archE1200ELNS1_3gpuE4ELNS1_3repE0EEENS1_30default_config_static_selectorELNS0_4arch9wavefront6targetE1EEEvT1_.kd
    .uniform_work_group_size: 1
    .uses_dynamic_stack: false
    .vgpr_count:     0
    .vgpr_spill_count: 0
    .wavefront_size: 64
  - .agpr_count:     0
    .args:
      - .offset:         0
        .size:           56
        .value_kind:     by_value
    .group_segment_fixed_size: 0
    .kernarg_segment_align: 8
    .kernarg_segment_size: 56
    .language:       OpenCL C
    .language_version:
      - 2
      - 0
    .max_flat_workgroup_size: 1024
    .name:           _ZN7rocprim17ROCPRIM_400000_NS6detail17trampoline_kernelINS0_14default_configENS1_25transform_config_selectorIsLb0EEEZNS1_14transform_implILb0ES3_S5_NS0_18transform_iteratorINS0_17counting_iteratorImlEEZNS1_24adjacent_difference_implIS3_Lb1ELb0EPsN6thrust23THRUST_200600_302600_NS16discard_iteratorINSD_11use_defaultEEENSD_5minusIsEEEE10hipError_tPvRmT2_T3_mT4_P12ihipStream_tbEUlmE_sEESB_NS0_8identityIvEEEESJ_SM_SN_mSO_SQ_bEUlT_E_NS1_11comp_targetILNS1_3genE9ELNS1_11target_archE1100ELNS1_3gpuE3ELNS1_3repE0EEENS1_30default_config_static_selectorELNS0_4arch9wavefront6targetE1EEEvT1_
    .private_segment_fixed_size: 0
    .sgpr_count:     6
    .sgpr_spill_count: 0
    .symbol:         _ZN7rocprim17ROCPRIM_400000_NS6detail17trampoline_kernelINS0_14default_configENS1_25transform_config_selectorIsLb0EEEZNS1_14transform_implILb0ES3_S5_NS0_18transform_iteratorINS0_17counting_iteratorImlEEZNS1_24adjacent_difference_implIS3_Lb1ELb0EPsN6thrust23THRUST_200600_302600_NS16discard_iteratorINSD_11use_defaultEEENSD_5minusIsEEEE10hipError_tPvRmT2_T3_mT4_P12ihipStream_tbEUlmE_sEESB_NS0_8identityIvEEEESJ_SM_SN_mSO_SQ_bEUlT_E_NS1_11comp_targetILNS1_3genE9ELNS1_11target_archE1100ELNS1_3gpuE3ELNS1_3repE0EEENS1_30default_config_static_selectorELNS0_4arch9wavefront6targetE1EEEvT1_.kd
    .uniform_work_group_size: 1
    .uses_dynamic_stack: false
    .vgpr_count:     0
    .vgpr_spill_count: 0
    .wavefront_size: 64
  - .agpr_count:     0
    .args:
      - .offset:         0
        .size:           56
        .value_kind:     by_value
    .group_segment_fixed_size: 0
    .kernarg_segment_align: 8
    .kernarg_segment_size: 56
    .language:       OpenCL C
    .language_version:
      - 2
      - 0
    .max_flat_workgroup_size: 1024
    .name:           _ZN7rocprim17ROCPRIM_400000_NS6detail17trampoline_kernelINS0_14default_configENS1_25transform_config_selectorIsLb0EEEZNS1_14transform_implILb0ES3_S5_NS0_18transform_iteratorINS0_17counting_iteratorImlEEZNS1_24adjacent_difference_implIS3_Lb1ELb0EPsN6thrust23THRUST_200600_302600_NS16discard_iteratorINSD_11use_defaultEEENSD_5minusIsEEEE10hipError_tPvRmT2_T3_mT4_P12ihipStream_tbEUlmE_sEESB_NS0_8identityIvEEEESJ_SM_SN_mSO_SQ_bEUlT_E_NS1_11comp_targetILNS1_3genE8ELNS1_11target_archE1030ELNS1_3gpuE2ELNS1_3repE0EEENS1_30default_config_static_selectorELNS0_4arch9wavefront6targetE1EEEvT1_
    .private_segment_fixed_size: 0
    .sgpr_count:     6
    .sgpr_spill_count: 0
    .symbol:         _ZN7rocprim17ROCPRIM_400000_NS6detail17trampoline_kernelINS0_14default_configENS1_25transform_config_selectorIsLb0EEEZNS1_14transform_implILb0ES3_S5_NS0_18transform_iteratorINS0_17counting_iteratorImlEEZNS1_24adjacent_difference_implIS3_Lb1ELb0EPsN6thrust23THRUST_200600_302600_NS16discard_iteratorINSD_11use_defaultEEENSD_5minusIsEEEE10hipError_tPvRmT2_T3_mT4_P12ihipStream_tbEUlmE_sEESB_NS0_8identityIvEEEESJ_SM_SN_mSO_SQ_bEUlT_E_NS1_11comp_targetILNS1_3genE8ELNS1_11target_archE1030ELNS1_3gpuE2ELNS1_3repE0EEENS1_30default_config_static_selectorELNS0_4arch9wavefront6targetE1EEEvT1_.kd
    .uniform_work_group_size: 1
    .uses_dynamic_stack: false
    .vgpr_count:     0
    .vgpr_spill_count: 0
    .wavefront_size: 64
  - .agpr_count:     0
    .args:
      - .offset:         0
        .size:           64
        .value_kind:     by_value
    .group_segment_fixed_size: 0
    .kernarg_segment_align: 8
    .kernarg_segment_size: 64
    .language:       OpenCL C
    .language_version:
      - 2
      - 0
    .max_flat_workgroup_size: 32
    .name:           _ZN7rocprim17ROCPRIM_400000_NS6detail17trampoline_kernelINS0_14default_configENS1_35adjacent_difference_config_selectorILb1EsEEZNS1_24adjacent_difference_implIS3_Lb1ELb0EPsN6thrust23THRUST_200600_302600_NS16discard_iteratorINS9_11use_defaultEEENS9_5minusIsEEEE10hipError_tPvRmT2_T3_mT4_P12ihipStream_tbEUlT_E_NS1_11comp_targetILNS1_3genE0ELNS1_11target_archE4294967295ELNS1_3gpuE0ELNS1_3repE0EEENS1_30default_config_static_selectorELNS0_4arch9wavefront6targetE1EEEvT1_
    .private_segment_fixed_size: 0
    .sgpr_count:     6
    .sgpr_spill_count: 0
    .symbol:         _ZN7rocprim17ROCPRIM_400000_NS6detail17trampoline_kernelINS0_14default_configENS1_35adjacent_difference_config_selectorILb1EsEEZNS1_24adjacent_difference_implIS3_Lb1ELb0EPsN6thrust23THRUST_200600_302600_NS16discard_iteratorINS9_11use_defaultEEENS9_5minusIsEEEE10hipError_tPvRmT2_T3_mT4_P12ihipStream_tbEUlT_E_NS1_11comp_targetILNS1_3genE0ELNS1_11target_archE4294967295ELNS1_3gpuE0ELNS1_3repE0EEENS1_30default_config_static_selectorELNS0_4arch9wavefront6targetE1EEEvT1_.kd
    .uniform_work_group_size: 1
    .uses_dynamic_stack: false
    .vgpr_count:     0
    .vgpr_spill_count: 0
    .wavefront_size: 64
  - .agpr_count:     0
    .args:
      - .offset:         0
        .size:           64
        .value_kind:     by_value
    .group_segment_fixed_size: 0
    .kernarg_segment_align: 8
    .kernarg_segment_size: 64
    .language:       OpenCL C
    .language_version:
      - 2
      - 0
    .max_flat_workgroup_size: 512
    .name:           _ZN7rocprim17ROCPRIM_400000_NS6detail17trampoline_kernelINS0_14default_configENS1_35adjacent_difference_config_selectorILb1EsEEZNS1_24adjacent_difference_implIS3_Lb1ELb0EPsN6thrust23THRUST_200600_302600_NS16discard_iteratorINS9_11use_defaultEEENS9_5minusIsEEEE10hipError_tPvRmT2_T3_mT4_P12ihipStream_tbEUlT_E_NS1_11comp_targetILNS1_3genE10ELNS1_11target_archE1201ELNS1_3gpuE5ELNS1_3repE0EEENS1_30default_config_static_selectorELNS0_4arch9wavefront6targetE1EEEvT1_
    .private_segment_fixed_size: 0
    .sgpr_count:     6
    .sgpr_spill_count: 0
    .symbol:         _ZN7rocprim17ROCPRIM_400000_NS6detail17trampoline_kernelINS0_14default_configENS1_35adjacent_difference_config_selectorILb1EsEEZNS1_24adjacent_difference_implIS3_Lb1ELb0EPsN6thrust23THRUST_200600_302600_NS16discard_iteratorINS9_11use_defaultEEENS9_5minusIsEEEE10hipError_tPvRmT2_T3_mT4_P12ihipStream_tbEUlT_E_NS1_11comp_targetILNS1_3genE10ELNS1_11target_archE1201ELNS1_3gpuE5ELNS1_3repE0EEENS1_30default_config_static_selectorELNS0_4arch9wavefront6targetE1EEEvT1_.kd
    .uniform_work_group_size: 1
    .uses_dynamic_stack: false
    .vgpr_count:     0
    .vgpr_spill_count: 0
    .wavefront_size: 64
  - .agpr_count:     0
    .args:
      - .offset:         0
        .size:           64
        .value_kind:     by_value
    .group_segment_fixed_size: 3968
    .kernarg_segment_align: 8
    .kernarg_segment_size: 64
    .language:       OpenCL C
    .language_version:
      - 2
      - 0
    .max_flat_workgroup_size: 64
    .name:           _ZN7rocprim17ROCPRIM_400000_NS6detail17trampoline_kernelINS0_14default_configENS1_35adjacent_difference_config_selectorILb1EsEEZNS1_24adjacent_difference_implIS3_Lb1ELb0EPsN6thrust23THRUST_200600_302600_NS16discard_iteratorINS9_11use_defaultEEENS9_5minusIsEEEE10hipError_tPvRmT2_T3_mT4_P12ihipStream_tbEUlT_E_NS1_11comp_targetILNS1_3genE5ELNS1_11target_archE942ELNS1_3gpuE9ELNS1_3repE0EEENS1_30default_config_static_selectorELNS0_4arch9wavefront6targetE1EEEvT1_
    .private_segment_fixed_size: 0
    .sgpr_count:     27
    .sgpr_spill_count: 0
    .symbol:         _ZN7rocprim17ROCPRIM_400000_NS6detail17trampoline_kernelINS0_14default_configENS1_35adjacent_difference_config_selectorILb1EsEEZNS1_24adjacent_difference_implIS3_Lb1ELb0EPsN6thrust23THRUST_200600_302600_NS16discard_iteratorINS9_11use_defaultEEENS9_5minusIsEEEE10hipError_tPvRmT2_T3_mT4_P12ihipStream_tbEUlT_E_NS1_11comp_targetILNS1_3genE5ELNS1_11target_archE942ELNS1_3gpuE9ELNS1_3repE0EEENS1_30default_config_static_selectorELNS0_4arch9wavefront6targetE1EEEvT1_.kd
    .uniform_work_group_size: 1
    .uses_dynamic_stack: false
    .vgpr_count:     56
    .vgpr_spill_count: 0
    .wavefront_size: 64
  - .agpr_count:     0
    .args:
      - .offset:         0
        .size:           64
        .value_kind:     by_value
    .group_segment_fixed_size: 0
    .kernarg_segment_align: 8
    .kernarg_segment_size: 64
    .language:       OpenCL C
    .language_version:
      - 2
      - 0
    .max_flat_workgroup_size: 64
    .name:           _ZN7rocprim17ROCPRIM_400000_NS6detail17trampoline_kernelINS0_14default_configENS1_35adjacent_difference_config_selectorILb1EsEEZNS1_24adjacent_difference_implIS3_Lb1ELb0EPsN6thrust23THRUST_200600_302600_NS16discard_iteratorINS9_11use_defaultEEENS9_5minusIsEEEE10hipError_tPvRmT2_T3_mT4_P12ihipStream_tbEUlT_E_NS1_11comp_targetILNS1_3genE4ELNS1_11target_archE910ELNS1_3gpuE8ELNS1_3repE0EEENS1_30default_config_static_selectorELNS0_4arch9wavefront6targetE1EEEvT1_
    .private_segment_fixed_size: 0
    .sgpr_count:     6
    .sgpr_spill_count: 0
    .symbol:         _ZN7rocprim17ROCPRIM_400000_NS6detail17trampoline_kernelINS0_14default_configENS1_35adjacent_difference_config_selectorILb1EsEEZNS1_24adjacent_difference_implIS3_Lb1ELb0EPsN6thrust23THRUST_200600_302600_NS16discard_iteratorINS9_11use_defaultEEENS9_5minusIsEEEE10hipError_tPvRmT2_T3_mT4_P12ihipStream_tbEUlT_E_NS1_11comp_targetILNS1_3genE4ELNS1_11target_archE910ELNS1_3gpuE8ELNS1_3repE0EEENS1_30default_config_static_selectorELNS0_4arch9wavefront6targetE1EEEvT1_.kd
    .uniform_work_group_size: 1
    .uses_dynamic_stack: false
    .vgpr_count:     0
    .vgpr_spill_count: 0
    .wavefront_size: 64
  - .agpr_count:     0
    .args:
      - .offset:         0
        .size:           64
        .value_kind:     by_value
    .group_segment_fixed_size: 0
    .kernarg_segment_align: 8
    .kernarg_segment_size: 64
    .language:       OpenCL C
    .language_version:
      - 2
      - 0
    .max_flat_workgroup_size: 32
    .name:           _ZN7rocprim17ROCPRIM_400000_NS6detail17trampoline_kernelINS0_14default_configENS1_35adjacent_difference_config_selectorILb1EsEEZNS1_24adjacent_difference_implIS3_Lb1ELb0EPsN6thrust23THRUST_200600_302600_NS16discard_iteratorINS9_11use_defaultEEENS9_5minusIsEEEE10hipError_tPvRmT2_T3_mT4_P12ihipStream_tbEUlT_E_NS1_11comp_targetILNS1_3genE3ELNS1_11target_archE908ELNS1_3gpuE7ELNS1_3repE0EEENS1_30default_config_static_selectorELNS0_4arch9wavefront6targetE1EEEvT1_
    .private_segment_fixed_size: 0
    .sgpr_count:     6
    .sgpr_spill_count: 0
    .symbol:         _ZN7rocprim17ROCPRIM_400000_NS6detail17trampoline_kernelINS0_14default_configENS1_35adjacent_difference_config_selectorILb1EsEEZNS1_24adjacent_difference_implIS3_Lb1ELb0EPsN6thrust23THRUST_200600_302600_NS16discard_iteratorINS9_11use_defaultEEENS9_5minusIsEEEE10hipError_tPvRmT2_T3_mT4_P12ihipStream_tbEUlT_E_NS1_11comp_targetILNS1_3genE3ELNS1_11target_archE908ELNS1_3gpuE7ELNS1_3repE0EEENS1_30default_config_static_selectorELNS0_4arch9wavefront6targetE1EEEvT1_.kd
    .uniform_work_group_size: 1
    .uses_dynamic_stack: false
    .vgpr_count:     0
    .vgpr_spill_count: 0
    .wavefront_size: 64
  - .agpr_count:     0
    .args:
      - .offset:         0
        .size:           64
        .value_kind:     by_value
    .group_segment_fixed_size: 0
    .kernarg_segment_align: 8
    .kernarg_segment_size: 64
    .language:       OpenCL C
    .language_version:
      - 2
      - 0
    .max_flat_workgroup_size: 64
    .name:           _ZN7rocprim17ROCPRIM_400000_NS6detail17trampoline_kernelINS0_14default_configENS1_35adjacent_difference_config_selectorILb1EsEEZNS1_24adjacent_difference_implIS3_Lb1ELb0EPsN6thrust23THRUST_200600_302600_NS16discard_iteratorINS9_11use_defaultEEENS9_5minusIsEEEE10hipError_tPvRmT2_T3_mT4_P12ihipStream_tbEUlT_E_NS1_11comp_targetILNS1_3genE2ELNS1_11target_archE906ELNS1_3gpuE6ELNS1_3repE0EEENS1_30default_config_static_selectorELNS0_4arch9wavefront6targetE1EEEvT1_
    .private_segment_fixed_size: 0
    .sgpr_count:     6
    .sgpr_spill_count: 0
    .symbol:         _ZN7rocprim17ROCPRIM_400000_NS6detail17trampoline_kernelINS0_14default_configENS1_35adjacent_difference_config_selectorILb1EsEEZNS1_24adjacent_difference_implIS3_Lb1ELb0EPsN6thrust23THRUST_200600_302600_NS16discard_iteratorINS9_11use_defaultEEENS9_5minusIsEEEE10hipError_tPvRmT2_T3_mT4_P12ihipStream_tbEUlT_E_NS1_11comp_targetILNS1_3genE2ELNS1_11target_archE906ELNS1_3gpuE6ELNS1_3repE0EEENS1_30default_config_static_selectorELNS0_4arch9wavefront6targetE1EEEvT1_.kd
    .uniform_work_group_size: 1
    .uses_dynamic_stack: false
    .vgpr_count:     0
    .vgpr_spill_count: 0
    .wavefront_size: 64
  - .agpr_count:     0
    .args:
      - .offset:         0
        .size:           64
        .value_kind:     by_value
    .group_segment_fixed_size: 0
    .kernarg_segment_align: 8
    .kernarg_segment_size: 64
    .language:       OpenCL C
    .language_version:
      - 2
      - 0
    .max_flat_workgroup_size: 128
    .name:           _ZN7rocprim17ROCPRIM_400000_NS6detail17trampoline_kernelINS0_14default_configENS1_35adjacent_difference_config_selectorILb1EsEEZNS1_24adjacent_difference_implIS3_Lb1ELb0EPsN6thrust23THRUST_200600_302600_NS16discard_iteratorINS9_11use_defaultEEENS9_5minusIsEEEE10hipError_tPvRmT2_T3_mT4_P12ihipStream_tbEUlT_E_NS1_11comp_targetILNS1_3genE9ELNS1_11target_archE1100ELNS1_3gpuE3ELNS1_3repE0EEENS1_30default_config_static_selectorELNS0_4arch9wavefront6targetE1EEEvT1_
    .private_segment_fixed_size: 0
    .sgpr_count:     6
    .sgpr_spill_count: 0
    .symbol:         _ZN7rocprim17ROCPRIM_400000_NS6detail17trampoline_kernelINS0_14default_configENS1_35adjacent_difference_config_selectorILb1EsEEZNS1_24adjacent_difference_implIS3_Lb1ELb0EPsN6thrust23THRUST_200600_302600_NS16discard_iteratorINS9_11use_defaultEEENS9_5minusIsEEEE10hipError_tPvRmT2_T3_mT4_P12ihipStream_tbEUlT_E_NS1_11comp_targetILNS1_3genE9ELNS1_11target_archE1100ELNS1_3gpuE3ELNS1_3repE0EEENS1_30default_config_static_selectorELNS0_4arch9wavefront6targetE1EEEvT1_.kd
    .uniform_work_group_size: 1
    .uses_dynamic_stack: false
    .vgpr_count:     0
    .vgpr_spill_count: 0
    .wavefront_size: 64
  - .agpr_count:     0
    .args:
      - .offset:         0
        .size:           64
        .value_kind:     by_value
    .group_segment_fixed_size: 0
    .kernarg_segment_align: 8
    .kernarg_segment_size: 64
    .language:       OpenCL C
    .language_version:
      - 2
      - 0
    .max_flat_workgroup_size: 512
    .name:           _ZN7rocprim17ROCPRIM_400000_NS6detail17trampoline_kernelINS0_14default_configENS1_35adjacent_difference_config_selectorILb1EsEEZNS1_24adjacent_difference_implIS3_Lb1ELb0EPsN6thrust23THRUST_200600_302600_NS16discard_iteratorINS9_11use_defaultEEENS9_5minusIsEEEE10hipError_tPvRmT2_T3_mT4_P12ihipStream_tbEUlT_E_NS1_11comp_targetILNS1_3genE8ELNS1_11target_archE1030ELNS1_3gpuE2ELNS1_3repE0EEENS1_30default_config_static_selectorELNS0_4arch9wavefront6targetE1EEEvT1_
    .private_segment_fixed_size: 0
    .sgpr_count:     6
    .sgpr_spill_count: 0
    .symbol:         _ZN7rocprim17ROCPRIM_400000_NS6detail17trampoline_kernelINS0_14default_configENS1_35adjacent_difference_config_selectorILb1EsEEZNS1_24adjacent_difference_implIS3_Lb1ELb0EPsN6thrust23THRUST_200600_302600_NS16discard_iteratorINS9_11use_defaultEEENS9_5minusIsEEEE10hipError_tPvRmT2_T3_mT4_P12ihipStream_tbEUlT_E_NS1_11comp_targetILNS1_3genE8ELNS1_11target_archE1030ELNS1_3gpuE2ELNS1_3repE0EEENS1_30default_config_static_selectorELNS0_4arch9wavefront6targetE1EEEvT1_.kd
    .uniform_work_group_size: 1
    .uses_dynamic_stack: false
    .vgpr_count:     0
    .vgpr_spill_count: 0
    .wavefront_size: 64
  - .agpr_count:     0
    .args:
      - .offset:         0
        .size:           56
        .value_kind:     by_value
    .group_segment_fixed_size: 0
    .kernarg_segment_align: 8
    .kernarg_segment_size: 56
    .language:       OpenCL C
    .language_version:
      - 2
      - 0
    .max_flat_workgroup_size: 128
    .name:           _ZN7rocprim17ROCPRIM_400000_NS6detail17trampoline_kernelINS0_14default_configENS1_25transform_config_selectorItLb0EEEZNS1_14transform_implILb0ES3_S5_NS0_18transform_iteratorINS0_17counting_iteratorImlEEZNS1_24adjacent_difference_implIS3_Lb1ELb0EPtN6thrust23THRUST_200600_302600_NS16discard_iteratorINSD_11use_defaultEEENSD_5minusItEEEE10hipError_tPvRmT2_T3_mT4_P12ihipStream_tbEUlmE_tEESB_NS0_8identityIvEEEESJ_SM_SN_mSO_SQ_bEUlT_E_NS1_11comp_targetILNS1_3genE0ELNS1_11target_archE4294967295ELNS1_3gpuE0ELNS1_3repE0EEENS1_30default_config_static_selectorELNS0_4arch9wavefront6targetE1EEEvT1_
    .private_segment_fixed_size: 0
    .sgpr_count:     6
    .sgpr_spill_count: 0
    .symbol:         _ZN7rocprim17ROCPRIM_400000_NS6detail17trampoline_kernelINS0_14default_configENS1_25transform_config_selectorItLb0EEEZNS1_14transform_implILb0ES3_S5_NS0_18transform_iteratorINS0_17counting_iteratorImlEEZNS1_24adjacent_difference_implIS3_Lb1ELb0EPtN6thrust23THRUST_200600_302600_NS16discard_iteratorINSD_11use_defaultEEENSD_5minusItEEEE10hipError_tPvRmT2_T3_mT4_P12ihipStream_tbEUlmE_tEESB_NS0_8identityIvEEEESJ_SM_SN_mSO_SQ_bEUlT_E_NS1_11comp_targetILNS1_3genE0ELNS1_11target_archE4294967295ELNS1_3gpuE0ELNS1_3repE0EEENS1_30default_config_static_selectorELNS0_4arch9wavefront6targetE1EEEvT1_.kd
    .uniform_work_group_size: 1
    .uses_dynamic_stack: false
    .vgpr_count:     0
    .vgpr_spill_count: 0
    .wavefront_size: 64
  - .agpr_count:     0
    .args:
      - .offset:         0
        .size:           56
        .value_kind:     by_value
      - .offset:         56
        .size:           4
        .value_kind:     hidden_block_count_x
      - .offset:         60
        .size:           4
        .value_kind:     hidden_block_count_y
      - .offset:         64
        .size:           4
        .value_kind:     hidden_block_count_z
      - .offset:         68
        .size:           2
        .value_kind:     hidden_group_size_x
      - .offset:         70
        .size:           2
        .value_kind:     hidden_group_size_y
      - .offset:         72
        .size:           2
        .value_kind:     hidden_group_size_z
      - .offset:         74
        .size:           2
        .value_kind:     hidden_remainder_x
      - .offset:         76
        .size:           2
        .value_kind:     hidden_remainder_y
      - .offset:         78
        .size:           2
        .value_kind:     hidden_remainder_z
      - .offset:         96
        .size:           8
        .value_kind:     hidden_global_offset_x
      - .offset:         104
        .size:           8
        .value_kind:     hidden_global_offset_y
      - .offset:         112
        .size:           8
        .value_kind:     hidden_global_offset_z
      - .offset:         120
        .size:           2
        .value_kind:     hidden_grid_dims
    .group_segment_fixed_size: 0
    .kernarg_segment_align: 8
    .kernarg_segment_size: 312
    .language:       OpenCL C
    .language_version:
      - 2
      - 0
    .max_flat_workgroup_size: 256
    .name:           _ZN7rocprim17ROCPRIM_400000_NS6detail17trampoline_kernelINS0_14default_configENS1_25transform_config_selectorItLb0EEEZNS1_14transform_implILb0ES3_S5_NS0_18transform_iteratorINS0_17counting_iteratorImlEEZNS1_24adjacent_difference_implIS3_Lb1ELb0EPtN6thrust23THRUST_200600_302600_NS16discard_iteratorINSD_11use_defaultEEENSD_5minusItEEEE10hipError_tPvRmT2_T3_mT4_P12ihipStream_tbEUlmE_tEESB_NS0_8identityIvEEEESJ_SM_SN_mSO_SQ_bEUlT_E_NS1_11comp_targetILNS1_3genE5ELNS1_11target_archE942ELNS1_3gpuE9ELNS1_3repE0EEENS1_30default_config_static_selectorELNS0_4arch9wavefront6targetE1EEEvT1_
    .private_segment_fixed_size: 0
    .sgpr_count:     34
    .sgpr_spill_count: 0
    .symbol:         _ZN7rocprim17ROCPRIM_400000_NS6detail17trampoline_kernelINS0_14default_configENS1_25transform_config_selectorItLb0EEEZNS1_14transform_implILb0ES3_S5_NS0_18transform_iteratorINS0_17counting_iteratorImlEEZNS1_24adjacent_difference_implIS3_Lb1ELb0EPtN6thrust23THRUST_200600_302600_NS16discard_iteratorINSD_11use_defaultEEENSD_5minusItEEEE10hipError_tPvRmT2_T3_mT4_P12ihipStream_tbEUlmE_tEESB_NS0_8identityIvEEEESJ_SM_SN_mSO_SQ_bEUlT_E_NS1_11comp_targetILNS1_3genE5ELNS1_11target_archE942ELNS1_3gpuE9ELNS1_3repE0EEENS1_30default_config_static_selectorELNS0_4arch9wavefront6targetE1EEEvT1_.kd
    .uniform_work_group_size: 1
    .uses_dynamic_stack: false
    .vgpr_count:     19
    .vgpr_spill_count: 0
    .wavefront_size: 64
  - .agpr_count:     0
    .args:
      - .offset:         0
        .size:           56
        .value_kind:     by_value
    .group_segment_fixed_size: 0
    .kernarg_segment_align: 8
    .kernarg_segment_size: 56
    .language:       OpenCL C
    .language_version:
      - 2
      - 0
    .max_flat_workgroup_size: 64
    .name:           _ZN7rocprim17ROCPRIM_400000_NS6detail17trampoline_kernelINS0_14default_configENS1_25transform_config_selectorItLb0EEEZNS1_14transform_implILb0ES3_S5_NS0_18transform_iteratorINS0_17counting_iteratorImlEEZNS1_24adjacent_difference_implIS3_Lb1ELb0EPtN6thrust23THRUST_200600_302600_NS16discard_iteratorINSD_11use_defaultEEENSD_5minusItEEEE10hipError_tPvRmT2_T3_mT4_P12ihipStream_tbEUlmE_tEESB_NS0_8identityIvEEEESJ_SM_SN_mSO_SQ_bEUlT_E_NS1_11comp_targetILNS1_3genE4ELNS1_11target_archE910ELNS1_3gpuE8ELNS1_3repE0EEENS1_30default_config_static_selectorELNS0_4arch9wavefront6targetE1EEEvT1_
    .private_segment_fixed_size: 0
    .sgpr_count:     6
    .sgpr_spill_count: 0
    .symbol:         _ZN7rocprim17ROCPRIM_400000_NS6detail17trampoline_kernelINS0_14default_configENS1_25transform_config_selectorItLb0EEEZNS1_14transform_implILb0ES3_S5_NS0_18transform_iteratorINS0_17counting_iteratorImlEEZNS1_24adjacent_difference_implIS3_Lb1ELb0EPtN6thrust23THRUST_200600_302600_NS16discard_iteratorINSD_11use_defaultEEENSD_5minusItEEEE10hipError_tPvRmT2_T3_mT4_P12ihipStream_tbEUlmE_tEESB_NS0_8identityIvEEEESJ_SM_SN_mSO_SQ_bEUlT_E_NS1_11comp_targetILNS1_3genE4ELNS1_11target_archE910ELNS1_3gpuE8ELNS1_3repE0EEENS1_30default_config_static_selectorELNS0_4arch9wavefront6targetE1EEEvT1_.kd
    .uniform_work_group_size: 1
    .uses_dynamic_stack: false
    .vgpr_count:     0
    .vgpr_spill_count: 0
    .wavefront_size: 64
  - .agpr_count:     0
    .args:
      - .offset:         0
        .size:           56
        .value_kind:     by_value
    .group_segment_fixed_size: 0
    .kernarg_segment_align: 8
    .kernarg_segment_size: 56
    .language:       OpenCL C
    .language_version:
      - 2
      - 0
    .max_flat_workgroup_size: 128
    .name:           _ZN7rocprim17ROCPRIM_400000_NS6detail17trampoline_kernelINS0_14default_configENS1_25transform_config_selectorItLb0EEEZNS1_14transform_implILb0ES3_S5_NS0_18transform_iteratorINS0_17counting_iteratorImlEEZNS1_24adjacent_difference_implIS3_Lb1ELb0EPtN6thrust23THRUST_200600_302600_NS16discard_iteratorINSD_11use_defaultEEENSD_5minusItEEEE10hipError_tPvRmT2_T3_mT4_P12ihipStream_tbEUlmE_tEESB_NS0_8identityIvEEEESJ_SM_SN_mSO_SQ_bEUlT_E_NS1_11comp_targetILNS1_3genE3ELNS1_11target_archE908ELNS1_3gpuE7ELNS1_3repE0EEENS1_30default_config_static_selectorELNS0_4arch9wavefront6targetE1EEEvT1_
    .private_segment_fixed_size: 0
    .sgpr_count:     6
    .sgpr_spill_count: 0
    .symbol:         _ZN7rocprim17ROCPRIM_400000_NS6detail17trampoline_kernelINS0_14default_configENS1_25transform_config_selectorItLb0EEEZNS1_14transform_implILb0ES3_S5_NS0_18transform_iteratorINS0_17counting_iteratorImlEEZNS1_24adjacent_difference_implIS3_Lb1ELb0EPtN6thrust23THRUST_200600_302600_NS16discard_iteratorINSD_11use_defaultEEENSD_5minusItEEEE10hipError_tPvRmT2_T3_mT4_P12ihipStream_tbEUlmE_tEESB_NS0_8identityIvEEEESJ_SM_SN_mSO_SQ_bEUlT_E_NS1_11comp_targetILNS1_3genE3ELNS1_11target_archE908ELNS1_3gpuE7ELNS1_3repE0EEENS1_30default_config_static_selectorELNS0_4arch9wavefront6targetE1EEEvT1_.kd
    .uniform_work_group_size: 1
    .uses_dynamic_stack: false
    .vgpr_count:     0
    .vgpr_spill_count: 0
    .wavefront_size: 64
  - .agpr_count:     0
    .args:
      - .offset:         0
        .size:           56
        .value_kind:     by_value
    .group_segment_fixed_size: 0
    .kernarg_segment_align: 8
    .kernarg_segment_size: 56
    .language:       OpenCL C
    .language_version:
      - 2
      - 0
    .max_flat_workgroup_size: 512
    .name:           _ZN7rocprim17ROCPRIM_400000_NS6detail17trampoline_kernelINS0_14default_configENS1_25transform_config_selectorItLb0EEEZNS1_14transform_implILb0ES3_S5_NS0_18transform_iteratorINS0_17counting_iteratorImlEEZNS1_24adjacent_difference_implIS3_Lb1ELb0EPtN6thrust23THRUST_200600_302600_NS16discard_iteratorINSD_11use_defaultEEENSD_5minusItEEEE10hipError_tPvRmT2_T3_mT4_P12ihipStream_tbEUlmE_tEESB_NS0_8identityIvEEEESJ_SM_SN_mSO_SQ_bEUlT_E_NS1_11comp_targetILNS1_3genE2ELNS1_11target_archE906ELNS1_3gpuE6ELNS1_3repE0EEENS1_30default_config_static_selectorELNS0_4arch9wavefront6targetE1EEEvT1_
    .private_segment_fixed_size: 0
    .sgpr_count:     6
    .sgpr_spill_count: 0
    .symbol:         _ZN7rocprim17ROCPRIM_400000_NS6detail17trampoline_kernelINS0_14default_configENS1_25transform_config_selectorItLb0EEEZNS1_14transform_implILb0ES3_S5_NS0_18transform_iteratorINS0_17counting_iteratorImlEEZNS1_24adjacent_difference_implIS3_Lb1ELb0EPtN6thrust23THRUST_200600_302600_NS16discard_iteratorINSD_11use_defaultEEENSD_5minusItEEEE10hipError_tPvRmT2_T3_mT4_P12ihipStream_tbEUlmE_tEESB_NS0_8identityIvEEEESJ_SM_SN_mSO_SQ_bEUlT_E_NS1_11comp_targetILNS1_3genE2ELNS1_11target_archE906ELNS1_3gpuE6ELNS1_3repE0EEENS1_30default_config_static_selectorELNS0_4arch9wavefront6targetE1EEEvT1_.kd
    .uniform_work_group_size: 1
    .uses_dynamic_stack: false
    .vgpr_count:     0
    .vgpr_spill_count: 0
    .wavefront_size: 64
  - .agpr_count:     0
    .args:
      - .offset:         0
        .size:           56
        .value_kind:     by_value
    .group_segment_fixed_size: 0
    .kernarg_segment_align: 8
    .kernarg_segment_size: 56
    .language:       OpenCL C
    .language_version:
      - 2
      - 0
    .max_flat_workgroup_size: 1024
    .name:           _ZN7rocprim17ROCPRIM_400000_NS6detail17trampoline_kernelINS0_14default_configENS1_25transform_config_selectorItLb0EEEZNS1_14transform_implILb0ES3_S5_NS0_18transform_iteratorINS0_17counting_iteratorImlEEZNS1_24adjacent_difference_implIS3_Lb1ELb0EPtN6thrust23THRUST_200600_302600_NS16discard_iteratorINSD_11use_defaultEEENSD_5minusItEEEE10hipError_tPvRmT2_T3_mT4_P12ihipStream_tbEUlmE_tEESB_NS0_8identityIvEEEESJ_SM_SN_mSO_SQ_bEUlT_E_NS1_11comp_targetILNS1_3genE10ELNS1_11target_archE1201ELNS1_3gpuE5ELNS1_3repE0EEENS1_30default_config_static_selectorELNS0_4arch9wavefront6targetE1EEEvT1_
    .private_segment_fixed_size: 0
    .sgpr_count:     6
    .sgpr_spill_count: 0
    .symbol:         _ZN7rocprim17ROCPRIM_400000_NS6detail17trampoline_kernelINS0_14default_configENS1_25transform_config_selectorItLb0EEEZNS1_14transform_implILb0ES3_S5_NS0_18transform_iteratorINS0_17counting_iteratorImlEEZNS1_24adjacent_difference_implIS3_Lb1ELb0EPtN6thrust23THRUST_200600_302600_NS16discard_iteratorINSD_11use_defaultEEENSD_5minusItEEEE10hipError_tPvRmT2_T3_mT4_P12ihipStream_tbEUlmE_tEESB_NS0_8identityIvEEEESJ_SM_SN_mSO_SQ_bEUlT_E_NS1_11comp_targetILNS1_3genE10ELNS1_11target_archE1201ELNS1_3gpuE5ELNS1_3repE0EEENS1_30default_config_static_selectorELNS0_4arch9wavefront6targetE1EEEvT1_.kd
    .uniform_work_group_size: 1
    .uses_dynamic_stack: false
    .vgpr_count:     0
    .vgpr_spill_count: 0
    .wavefront_size: 64
  - .agpr_count:     0
    .args:
      - .offset:         0
        .size:           56
        .value_kind:     by_value
    .group_segment_fixed_size: 0
    .kernarg_segment_align: 8
    .kernarg_segment_size: 56
    .language:       OpenCL C
    .language_version:
      - 2
      - 0
    .max_flat_workgroup_size: 512
    .name:           _ZN7rocprim17ROCPRIM_400000_NS6detail17trampoline_kernelINS0_14default_configENS1_25transform_config_selectorItLb0EEEZNS1_14transform_implILb0ES3_S5_NS0_18transform_iteratorINS0_17counting_iteratorImlEEZNS1_24adjacent_difference_implIS3_Lb1ELb0EPtN6thrust23THRUST_200600_302600_NS16discard_iteratorINSD_11use_defaultEEENSD_5minusItEEEE10hipError_tPvRmT2_T3_mT4_P12ihipStream_tbEUlmE_tEESB_NS0_8identityIvEEEESJ_SM_SN_mSO_SQ_bEUlT_E_NS1_11comp_targetILNS1_3genE10ELNS1_11target_archE1200ELNS1_3gpuE4ELNS1_3repE0EEENS1_30default_config_static_selectorELNS0_4arch9wavefront6targetE1EEEvT1_
    .private_segment_fixed_size: 0
    .sgpr_count:     6
    .sgpr_spill_count: 0
    .symbol:         _ZN7rocprim17ROCPRIM_400000_NS6detail17trampoline_kernelINS0_14default_configENS1_25transform_config_selectorItLb0EEEZNS1_14transform_implILb0ES3_S5_NS0_18transform_iteratorINS0_17counting_iteratorImlEEZNS1_24adjacent_difference_implIS3_Lb1ELb0EPtN6thrust23THRUST_200600_302600_NS16discard_iteratorINSD_11use_defaultEEENSD_5minusItEEEE10hipError_tPvRmT2_T3_mT4_P12ihipStream_tbEUlmE_tEESB_NS0_8identityIvEEEESJ_SM_SN_mSO_SQ_bEUlT_E_NS1_11comp_targetILNS1_3genE10ELNS1_11target_archE1200ELNS1_3gpuE4ELNS1_3repE0EEENS1_30default_config_static_selectorELNS0_4arch9wavefront6targetE1EEEvT1_.kd
    .uniform_work_group_size: 1
    .uses_dynamic_stack: false
    .vgpr_count:     0
    .vgpr_spill_count: 0
    .wavefront_size: 64
  - .agpr_count:     0
    .args:
      - .offset:         0
        .size:           56
        .value_kind:     by_value
    .group_segment_fixed_size: 0
    .kernarg_segment_align: 8
    .kernarg_segment_size: 56
    .language:       OpenCL C
    .language_version:
      - 2
      - 0
    .max_flat_workgroup_size: 1024
    .name:           _ZN7rocprim17ROCPRIM_400000_NS6detail17trampoline_kernelINS0_14default_configENS1_25transform_config_selectorItLb0EEEZNS1_14transform_implILb0ES3_S5_NS0_18transform_iteratorINS0_17counting_iteratorImlEEZNS1_24adjacent_difference_implIS3_Lb1ELb0EPtN6thrust23THRUST_200600_302600_NS16discard_iteratorINSD_11use_defaultEEENSD_5minusItEEEE10hipError_tPvRmT2_T3_mT4_P12ihipStream_tbEUlmE_tEESB_NS0_8identityIvEEEESJ_SM_SN_mSO_SQ_bEUlT_E_NS1_11comp_targetILNS1_3genE9ELNS1_11target_archE1100ELNS1_3gpuE3ELNS1_3repE0EEENS1_30default_config_static_selectorELNS0_4arch9wavefront6targetE1EEEvT1_
    .private_segment_fixed_size: 0
    .sgpr_count:     6
    .sgpr_spill_count: 0
    .symbol:         _ZN7rocprim17ROCPRIM_400000_NS6detail17trampoline_kernelINS0_14default_configENS1_25transform_config_selectorItLb0EEEZNS1_14transform_implILb0ES3_S5_NS0_18transform_iteratorINS0_17counting_iteratorImlEEZNS1_24adjacent_difference_implIS3_Lb1ELb0EPtN6thrust23THRUST_200600_302600_NS16discard_iteratorINSD_11use_defaultEEENSD_5minusItEEEE10hipError_tPvRmT2_T3_mT4_P12ihipStream_tbEUlmE_tEESB_NS0_8identityIvEEEESJ_SM_SN_mSO_SQ_bEUlT_E_NS1_11comp_targetILNS1_3genE9ELNS1_11target_archE1100ELNS1_3gpuE3ELNS1_3repE0EEENS1_30default_config_static_selectorELNS0_4arch9wavefront6targetE1EEEvT1_.kd
    .uniform_work_group_size: 1
    .uses_dynamic_stack: false
    .vgpr_count:     0
    .vgpr_spill_count: 0
    .wavefront_size: 64
  - .agpr_count:     0
    .args:
      - .offset:         0
        .size:           56
        .value_kind:     by_value
    .group_segment_fixed_size: 0
    .kernarg_segment_align: 8
    .kernarg_segment_size: 56
    .language:       OpenCL C
    .language_version:
      - 2
      - 0
    .max_flat_workgroup_size: 1024
    .name:           _ZN7rocprim17ROCPRIM_400000_NS6detail17trampoline_kernelINS0_14default_configENS1_25transform_config_selectorItLb0EEEZNS1_14transform_implILb0ES3_S5_NS0_18transform_iteratorINS0_17counting_iteratorImlEEZNS1_24adjacent_difference_implIS3_Lb1ELb0EPtN6thrust23THRUST_200600_302600_NS16discard_iteratorINSD_11use_defaultEEENSD_5minusItEEEE10hipError_tPvRmT2_T3_mT4_P12ihipStream_tbEUlmE_tEESB_NS0_8identityIvEEEESJ_SM_SN_mSO_SQ_bEUlT_E_NS1_11comp_targetILNS1_3genE8ELNS1_11target_archE1030ELNS1_3gpuE2ELNS1_3repE0EEENS1_30default_config_static_selectorELNS0_4arch9wavefront6targetE1EEEvT1_
    .private_segment_fixed_size: 0
    .sgpr_count:     6
    .sgpr_spill_count: 0
    .symbol:         _ZN7rocprim17ROCPRIM_400000_NS6detail17trampoline_kernelINS0_14default_configENS1_25transform_config_selectorItLb0EEEZNS1_14transform_implILb0ES3_S5_NS0_18transform_iteratorINS0_17counting_iteratorImlEEZNS1_24adjacent_difference_implIS3_Lb1ELb0EPtN6thrust23THRUST_200600_302600_NS16discard_iteratorINSD_11use_defaultEEENSD_5minusItEEEE10hipError_tPvRmT2_T3_mT4_P12ihipStream_tbEUlmE_tEESB_NS0_8identityIvEEEESJ_SM_SN_mSO_SQ_bEUlT_E_NS1_11comp_targetILNS1_3genE8ELNS1_11target_archE1030ELNS1_3gpuE2ELNS1_3repE0EEENS1_30default_config_static_selectorELNS0_4arch9wavefront6targetE1EEEvT1_.kd
    .uniform_work_group_size: 1
    .uses_dynamic_stack: false
    .vgpr_count:     0
    .vgpr_spill_count: 0
    .wavefront_size: 64
  - .agpr_count:     0
    .args:
      - .offset:         0
        .size:           64
        .value_kind:     by_value
    .group_segment_fixed_size: 0
    .kernarg_segment_align: 8
    .kernarg_segment_size: 64
    .language:       OpenCL C
    .language_version:
      - 2
      - 0
    .max_flat_workgroup_size: 32
    .name:           _ZN7rocprim17ROCPRIM_400000_NS6detail17trampoline_kernelINS0_14default_configENS1_35adjacent_difference_config_selectorILb1EtEEZNS1_24adjacent_difference_implIS3_Lb1ELb0EPtN6thrust23THRUST_200600_302600_NS16discard_iteratorINS9_11use_defaultEEENS9_5minusItEEEE10hipError_tPvRmT2_T3_mT4_P12ihipStream_tbEUlT_E_NS1_11comp_targetILNS1_3genE0ELNS1_11target_archE4294967295ELNS1_3gpuE0ELNS1_3repE0EEENS1_30default_config_static_selectorELNS0_4arch9wavefront6targetE1EEEvT1_
    .private_segment_fixed_size: 0
    .sgpr_count:     6
    .sgpr_spill_count: 0
    .symbol:         _ZN7rocprim17ROCPRIM_400000_NS6detail17trampoline_kernelINS0_14default_configENS1_35adjacent_difference_config_selectorILb1EtEEZNS1_24adjacent_difference_implIS3_Lb1ELb0EPtN6thrust23THRUST_200600_302600_NS16discard_iteratorINS9_11use_defaultEEENS9_5minusItEEEE10hipError_tPvRmT2_T3_mT4_P12ihipStream_tbEUlT_E_NS1_11comp_targetILNS1_3genE0ELNS1_11target_archE4294967295ELNS1_3gpuE0ELNS1_3repE0EEENS1_30default_config_static_selectorELNS0_4arch9wavefront6targetE1EEEvT1_.kd
    .uniform_work_group_size: 1
    .uses_dynamic_stack: false
    .vgpr_count:     0
    .vgpr_spill_count: 0
    .wavefront_size: 64
  - .agpr_count:     0
    .args:
      - .offset:         0
        .size:           64
        .value_kind:     by_value
    .group_segment_fixed_size: 0
    .kernarg_segment_align: 8
    .kernarg_segment_size: 64
    .language:       OpenCL C
    .language_version:
      - 2
      - 0
    .max_flat_workgroup_size: 512
    .name:           _ZN7rocprim17ROCPRIM_400000_NS6detail17trampoline_kernelINS0_14default_configENS1_35adjacent_difference_config_selectorILb1EtEEZNS1_24adjacent_difference_implIS3_Lb1ELb0EPtN6thrust23THRUST_200600_302600_NS16discard_iteratorINS9_11use_defaultEEENS9_5minusItEEEE10hipError_tPvRmT2_T3_mT4_P12ihipStream_tbEUlT_E_NS1_11comp_targetILNS1_3genE10ELNS1_11target_archE1201ELNS1_3gpuE5ELNS1_3repE0EEENS1_30default_config_static_selectorELNS0_4arch9wavefront6targetE1EEEvT1_
    .private_segment_fixed_size: 0
    .sgpr_count:     6
    .sgpr_spill_count: 0
    .symbol:         _ZN7rocprim17ROCPRIM_400000_NS6detail17trampoline_kernelINS0_14default_configENS1_35adjacent_difference_config_selectorILb1EtEEZNS1_24adjacent_difference_implIS3_Lb1ELb0EPtN6thrust23THRUST_200600_302600_NS16discard_iteratorINS9_11use_defaultEEENS9_5minusItEEEE10hipError_tPvRmT2_T3_mT4_P12ihipStream_tbEUlT_E_NS1_11comp_targetILNS1_3genE10ELNS1_11target_archE1201ELNS1_3gpuE5ELNS1_3repE0EEENS1_30default_config_static_selectorELNS0_4arch9wavefront6targetE1EEEvT1_.kd
    .uniform_work_group_size: 1
    .uses_dynamic_stack: false
    .vgpr_count:     0
    .vgpr_spill_count: 0
    .wavefront_size: 64
  - .agpr_count:     0
    .args:
      - .offset:         0
        .size:           64
        .value_kind:     by_value
    .group_segment_fixed_size: 3968
    .kernarg_segment_align: 8
    .kernarg_segment_size: 64
    .language:       OpenCL C
    .language_version:
      - 2
      - 0
    .max_flat_workgroup_size: 64
    .name:           _ZN7rocprim17ROCPRIM_400000_NS6detail17trampoline_kernelINS0_14default_configENS1_35adjacent_difference_config_selectorILb1EtEEZNS1_24adjacent_difference_implIS3_Lb1ELb0EPtN6thrust23THRUST_200600_302600_NS16discard_iteratorINS9_11use_defaultEEENS9_5minusItEEEE10hipError_tPvRmT2_T3_mT4_P12ihipStream_tbEUlT_E_NS1_11comp_targetILNS1_3genE5ELNS1_11target_archE942ELNS1_3gpuE9ELNS1_3repE0EEENS1_30default_config_static_selectorELNS0_4arch9wavefront6targetE1EEEvT1_
    .private_segment_fixed_size: 0
    .sgpr_count:     27
    .sgpr_spill_count: 0
    .symbol:         _ZN7rocprim17ROCPRIM_400000_NS6detail17trampoline_kernelINS0_14default_configENS1_35adjacent_difference_config_selectorILb1EtEEZNS1_24adjacent_difference_implIS3_Lb1ELb0EPtN6thrust23THRUST_200600_302600_NS16discard_iteratorINS9_11use_defaultEEENS9_5minusItEEEE10hipError_tPvRmT2_T3_mT4_P12ihipStream_tbEUlT_E_NS1_11comp_targetILNS1_3genE5ELNS1_11target_archE942ELNS1_3gpuE9ELNS1_3repE0EEENS1_30default_config_static_selectorELNS0_4arch9wavefront6targetE1EEEvT1_.kd
    .uniform_work_group_size: 1
    .uses_dynamic_stack: false
    .vgpr_count:     56
    .vgpr_spill_count: 0
    .wavefront_size: 64
  - .agpr_count:     0
    .args:
      - .offset:         0
        .size:           64
        .value_kind:     by_value
    .group_segment_fixed_size: 0
    .kernarg_segment_align: 8
    .kernarg_segment_size: 64
    .language:       OpenCL C
    .language_version:
      - 2
      - 0
    .max_flat_workgroup_size: 64
    .name:           _ZN7rocprim17ROCPRIM_400000_NS6detail17trampoline_kernelINS0_14default_configENS1_35adjacent_difference_config_selectorILb1EtEEZNS1_24adjacent_difference_implIS3_Lb1ELb0EPtN6thrust23THRUST_200600_302600_NS16discard_iteratorINS9_11use_defaultEEENS9_5minusItEEEE10hipError_tPvRmT2_T3_mT4_P12ihipStream_tbEUlT_E_NS1_11comp_targetILNS1_3genE4ELNS1_11target_archE910ELNS1_3gpuE8ELNS1_3repE0EEENS1_30default_config_static_selectorELNS0_4arch9wavefront6targetE1EEEvT1_
    .private_segment_fixed_size: 0
    .sgpr_count:     6
    .sgpr_spill_count: 0
    .symbol:         _ZN7rocprim17ROCPRIM_400000_NS6detail17trampoline_kernelINS0_14default_configENS1_35adjacent_difference_config_selectorILb1EtEEZNS1_24adjacent_difference_implIS3_Lb1ELb0EPtN6thrust23THRUST_200600_302600_NS16discard_iteratorINS9_11use_defaultEEENS9_5minusItEEEE10hipError_tPvRmT2_T3_mT4_P12ihipStream_tbEUlT_E_NS1_11comp_targetILNS1_3genE4ELNS1_11target_archE910ELNS1_3gpuE8ELNS1_3repE0EEENS1_30default_config_static_selectorELNS0_4arch9wavefront6targetE1EEEvT1_.kd
    .uniform_work_group_size: 1
    .uses_dynamic_stack: false
    .vgpr_count:     0
    .vgpr_spill_count: 0
    .wavefront_size: 64
  - .agpr_count:     0
    .args:
      - .offset:         0
        .size:           64
        .value_kind:     by_value
    .group_segment_fixed_size: 0
    .kernarg_segment_align: 8
    .kernarg_segment_size: 64
    .language:       OpenCL C
    .language_version:
      - 2
      - 0
    .max_flat_workgroup_size: 32
    .name:           _ZN7rocprim17ROCPRIM_400000_NS6detail17trampoline_kernelINS0_14default_configENS1_35adjacent_difference_config_selectorILb1EtEEZNS1_24adjacent_difference_implIS3_Lb1ELb0EPtN6thrust23THRUST_200600_302600_NS16discard_iteratorINS9_11use_defaultEEENS9_5minusItEEEE10hipError_tPvRmT2_T3_mT4_P12ihipStream_tbEUlT_E_NS1_11comp_targetILNS1_3genE3ELNS1_11target_archE908ELNS1_3gpuE7ELNS1_3repE0EEENS1_30default_config_static_selectorELNS0_4arch9wavefront6targetE1EEEvT1_
    .private_segment_fixed_size: 0
    .sgpr_count:     6
    .sgpr_spill_count: 0
    .symbol:         _ZN7rocprim17ROCPRIM_400000_NS6detail17trampoline_kernelINS0_14default_configENS1_35adjacent_difference_config_selectorILb1EtEEZNS1_24adjacent_difference_implIS3_Lb1ELb0EPtN6thrust23THRUST_200600_302600_NS16discard_iteratorINS9_11use_defaultEEENS9_5minusItEEEE10hipError_tPvRmT2_T3_mT4_P12ihipStream_tbEUlT_E_NS1_11comp_targetILNS1_3genE3ELNS1_11target_archE908ELNS1_3gpuE7ELNS1_3repE0EEENS1_30default_config_static_selectorELNS0_4arch9wavefront6targetE1EEEvT1_.kd
    .uniform_work_group_size: 1
    .uses_dynamic_stack: false
    .vgpr_count:     0
    .vgpr_spill_count: 0
    .wavefront_size: 64
  - .agpr_count:     0
    .args:
      - .offset:         0
        .size:           64
        .value_kind:     by_value
    .group_segment_fixed_size: 0
    .kernarg_segment_align: 8
    .kernarg_segment_size: 64
    .language:       OpenCL C
    .language_version:
      - 2
      - 0
    .max_flat_workgroup_size: 64
    .name:           _ZN7rocprim17ROCPRIM_400000_NS6detail17trampoline_kernelINS0_14default_configENS1_35adjacent_difference_config_selectorILb1EtEEZNS1_24adjacent_difference_implIS3_Lb1ELb0EPtN6thrust23THRUST_200600_302600_NS16discard_iteratorINS9_11use_defaultEEENS9_5minusItEEEE10hipError_tPvRmT2_T3_mT4_P12ihipStream_tbEUlT_E_NS1_11comp_targetILNS1_3genE2ELNS1_11target_archE906ELNS1_3gpuE6ELNS1_3repE0EEENS1_30default_config_static_selectorELNS0_4arch9wavefront6targetE1EEEvT1_
    .private_segment_fixed_size: 0
    .sgpr_count:     6
    .sgpr_spill_count: 0
    .symbol:         _ZN7rocprim17ROCPRIM_400000_NS6detail17trampoline_kernelINS0_14default_configENS1_35adjacent_difference_config_selectorILb1EtEEZNS1_24adjacent_difference_implIS3_Lb1ELb0EPtN6thrust23THRUST_200600_302600_NS16discard_iteratorINS9_11use_defaultEEENS9_5minusItEEEE10hipError_tPvRmT2_T3_mT4_P12ihipStream_tbEUlT_E_NS1_11comp_targetILNS1_3genE2ELNS1_11target_archE906ELNS1_3gpuE6ELNS1_3repE0EEENS1_30default_config_static_selectorELNS0_4arch9wavefront6targetE1EEEvT1_.kd
    .uniform_work_group_size: 1
    .uses_dynamic_stack: false
    .vgpr_count:     0
    .vgpr_spill_count: 0
    .wavefront_size: 64
  - .agpr_count:     0
    .args:
      - .offset:         0
        .size:           64
        .value_kind:     by_value
    .group_segment_fixed_size: 0
    .kernarg_segment_align: 8
    .kernarg_segment_size: 64
    .language:       OpenCL C
    .language_version:
      - 2
      - 0
    .max_flat_workgroup_size: 128
    .name:           _ZN7rocprim17ROCPRIM_400000_NS6detail17trampoline_kernelINS0_14default_configENS1_35adjacent_difference_config_selectorILb1EtEEZNS1_24adjacent_difference_implIS3_Lb1ELb0EPtN6thrust23THRUST_200600_302600_NS16discard_iteratorINS9_11use_defaultEEENS9_5minusItEEEE10hipError_tPvRmT2_T3_mT4_P12ihipStream_tbEUlT_E_NS1_11comp_targetILNS1_3genE9ELNS1_11target_archE1100ELNS1_3gpuE3ELNS1_3repE0EEENS1_30default_config_static_selectorELNS0_4arch9wavefront6targetE1EEEvT1_
    .private_segment_fixed_size: 0
    .sgpr_count:     6
    .sgpr_spill_count: 0
    .symbol:         _ZN7rocprim17ROCPRIM_400000_NS6detail17trampoline_kernelINS0_14default_configENS1_35adjacent_difference_config_selectorILb1EtEEZNS1_24adjacent_difference_implIS3_Lb1ELb0EPtN6thrust23THRUST_200600_302600_NS16discard_iteratorINS9_11use_defaultEEENS9_5minusItEEEE10hipError_tPvRmT2_T3_mT4_P12ihipStream_tbEUlT_E_NS1_11comp_targetILNS1_3genE9ELNS1_11target_archE1100ELNS1_3gpuE3ELNS1_3repE0EEENS1_30default_config_static_selectorELNS0_4arch9wavefront6targetE1EEEvT1_.kd
    .uniform_work_group_size: 1
    .uses_dynamic_stack: false
    .vgpr_count:     0
    .vgpr_spill_count: 0
    .wavefront_size: 64
  - .agpr_count:     0
    .args:
      - .offset:         0
        .size:           64
        .value_kind:     by_value
    .group_segment_fixed_size: 0
    .kernarg_segment_align: 8
    .kernarg_segment_size: 64
    .language:       OpenCL C
    .language_version:
      - 2
      - 0
    .max_flat_workgroup_size: 512
    .name:           _ZN7rocprim17ROCPRIM_400000_NS6detail17trampoline_kernelINS0_14default_configENS1_35adjacent_difference_config_selectorILb1EtEEZNS1_24adjacent_difference_implIS3_Lb1ELb0EPtN6thrust23THRUST_200600_302600_NS16discard_iteratorINS9_11use_defaultEEENS9_5minusItEEEE10hipError_tPvRmT2_T3_mT4_P12ihipStream_tbEUlT_E_NS1_11comp_targetILNS1_3genE8ELNS1_11target_archE1030ELNS1_3gpuE2ELNS1_3repE0EEENS1_30default_config_static_selectorELNS0_4arch9wavefront6targetE1EEEvT1_
    .private_segment_fixed_size: 0
    .sgpr_count:     6
    .sgpr_spill_count: 0
    .symbol:         _ZN7rocprim17ROCPRIM_400000_NS6detail17trampoline_kernelINS0_14default_configENS1_35adjacent_difference_config_selectorILb1EtEEZNS1_24adjacent_difference_implIS3_Lb1ELb0EPtN6thrust23THRUST_200600_302600_NS16discard_iteratorINS9_11use_defaultEEENS9_5minusItEEEE10hipError_tPvRmT2_T3_mT4_P12ihipStream_tbEUlT_E_NS1_11comp_targetILNS1_3genE8ELNS1_11target_archE1030ELNS1_3gpuE2ELNS1_3repE0EEENS1_30default_config_static_selectorELNS0_4arch9wavefront6targetE1EEEvT1_.kd
    .uniform_work_group_size: 1
    .uses_dynamic_stack: false
    .vgpr_count:     0
    .vgpr_spill_count: 0
    .wavefront_size: 64
  - .agpr_count:     0
    .args:
      - .offset:         0
        .size:           56
        .value_kind:     by_value
    .group_segment_fixed_size: 0
    .kernarg_segment_align: 8
    .kernarg_segment_size: 56
    .language:       OpenCL C
    .language_version:
      - 2
      - 0
    .max_flat_workgroup_size: 128
    .name:           _ZN7rocprim17ROCPRIM_400000_NS6detail17trampoline_kernelINS0_14default_configENS1_25transform_config_selectorIiLb0EEEZNS1_14transform_implILb0ES3_S5_NS0_18transform_iteratorINS0_17counting_iteratorImlEEZNS1_24adjacent_difference_implIS3_Lb1ELb0EPiN6thrust23THRUST_200600_302600_NS16discard_iteratorINSD_11use_defaultEEENSD_5minusIiEEEE10hipError_tPvRmT2_T3_mT4_P12ihipStream_tbEUlmE_iEESB_NS0_8identityIvEEEESJ_SM_SN_mSO_SQ_bEUlT_E_NS1_11comp_targetILNS1_3genE0ELNS1_11target_archE4294967295ELNS1_3gpuE0ELNS1_3repE0EEENS1_30default_config_static_selectorELNS0_4arch9wavefront6targetE1EEEvT1_
    .private_segment_fixed_size: 0
    .sgpr_count:     6
    .sgpr_spill_count: 0
    .symbol:         _ZN7rocprim17ROCPRIM_400000_NS6detail17trampoline_kernelINS0_14default_configENS1_25transform_config_selectorIiLb0EEEZNS1_14transform_implILb0ES3_S5_NS0_18transform_iteratorINS0_17counting_iteratorImlEEZNS1_24adjacent_difference_implIS3_Lb1ELb0EPiN6thrust23THRUST_200600_302600_NS16discard_iteratorINSD_11use_defaultEEENSD_5minusIiEEEE10hipError_tPvRmT2_T3_mT4_P12ihipStream_tbEUlmE_iEESB_NS0_8identityIvEEEESJ_SM_SN_mSO_SQ_bEUlT_E_NS1_11comp_targetILNS1_3genE0ELNS1_11target_archE4294967295ELNS1_3gpuE0ELNS1_3repE0EEENS1_30default_config_static_selectorELNS0_4arch9wavefront6targetE1EEEvT1_.kd
    .uniform_work_group_size: 1
    .uses_dynamic_stack: false
    .vgpr_count:     0
    .vgpr_spill_count: 0
    .wavefront_size: 64
  - .agpr_count:     0
    .args:
      - .offset:         0
        .size:           56
        .value_kind:     by_value
      - .offset:         56
        .size:           4
        .value_kind:     hidden_block_count_x
      - .offset:         60
        .size:           4
        .value_kind:     hidden_block_count_y
      - .offset:         64
        .size:           4
        .value_kind:     hidden_block_count_z
      - .offset:         68
        .size:           2
        .value_kind:     hidden_group_size_x
      - .offset:         70
        .size:           2
        .value_kind:     hidden_group_size_y
      - .offset:         72
        .size:           2
        .value_kind:     hidden_group_size_z
      - .offset:         74
        .size:           2
        .value_kind:     hidden_remainder_x
      - .offset:         76
        .size:           2
        .value_kind:     hidden_remainder_y
      - .offset:         78
        .size:           2
        .value_kind:     hidden_remainder_z
      - .offset:         96
        .size:           8
        .value_kind:     hidden_global_offset_x
      - .offset:         104
        .size:           8
        .value_kind:     hidden_global_offset_y
      - .offset:         112
        .size:           8
        .value_kind:     hidden_global_offset_z
      - .offset:         120
        .size:           2
        .value_kind:     hidden_grid_dims
    .group_segment_fixed_size: 0
    .kernarg_segment_align: 8
    .kernarg_segment_size: 312
    .language:       OpenCL C
    .language_version:
      - 2
      - 0
    .max_flat_workgroup_size: 512
    .name:           _ZN7rocprim17ROCPRIM_400000_NS6detail17trampoline_kernelINS0_14default_configENS1_25transform_config_selectorIiLb0EEEZNS1_14transform_implILb0ES3_S5_NS0_18transform_iteratorINS0_17counting_iteratorImlEEZNS1_24adjacent_difference_implIS3_Lb1ELb0EPiN6thrust23THRUST_200600_302600_NS16discard_iteratorINSD_11use_defaultEEENSD_5minusIiEEEE10hipError_tPvRmT2_T3_mT4_P12ihipStream_tbEUlmE_iEESB_NS0_8identityIvEEEESJ_SM_SN_mSO_SQ_bEUlT_E_NS1_11comp_targetILNS1_3genE5ELNS1_11target_archE942ELNS1_3gpuE9ELNS1_3repE0EEENS1_30default_config_static_selectorELNS0_4arch9wavefront6targetE1EEEvT1_
    .private_segment_fixed_size: 0
    .sgpr_count:     28
    .sgpr_spill_count: 0
    .symbol:         _ZN7rocprim17ROCPRIM_400000_NS6detail17trampoline_kernelINS0_14default_configENS1_25transform_config_selectorIiLb0EEEZNS1_14transform_implILb0ES3_S5_NS0_18transform_iteratorINS0_17counting_iteratorImlEEZNS1_24adjacent_difference_implIS3_Lb1ELb0EPiN6thrust23THRUST_200600_302600_NS16discard_iteratorINSD_11use_defaultEEENSD_5minusIiEEEE10hipError_tPvRmT2_T3_mT4_P12ihipStream_tbEUlmE_iEESB_NS0_8identityIvEEEESJ_SM_SN_mSO_SQ_bEUlT_E_NS1_11comp_targetILNS1_3genE5ELNS1_11target_archE942ELNS1_3gpuE9ELNS1_3repE0EEENS1_30default_config_static_selectorELNS0_4arch9wavefront6targetE1EEEvT1_.kd
    .uniform_work_group_size: 1
    .uses_dynamic_stack: false
    .vgpr_count:     13
    .vgpr_spill_count: 0
    .wavefront_size: 64
  - .agpr_count:     0
    .args:
      - .offset:         0
        .size:           56
        .value_kind:     by_value
    .group_segment_fixed_size: 0
    .kernarg_segment_align: 8
    .kernarg_segment_size: 56
    .language:       OpenCL C
    .language_version:
      - 2
      - 0
    .max_flat_workgroup_size: 1024
    .name:           _ZN7rocprim17ROCPRIM_400000_NS6detail17trampoline_kernelINS0_14default_configENS1_25transform_config_selectorIiLb0EEEZNS1_14transform_implILb0ES3_S5_NS0_18transform_iteratorINS0_17counting_iteratorImlEEZNS1_24adjacent_difference_implIS3_Lb1ELb0EPiN6thrust23THRUST_200600_302600_NS16discard_iteratorINSD_11use_defaultEEENSD_5minusIiEEEE10hipError_tPvRmT2_T3_mT4_P12ihipStream_tbEUlmE_iEESB_NS0_8identityIvEEEESJ_SM_SN_mSO_SQ_bEUlT_E_NS1_11comp_targetILNS1_3genE4ELNS1_11target_archE910ELNS1_3gpuE8ELNS1_3repE0EEENS1_30default_config_static_selectorELNS0_4arch9wavefront6targetE1EEEvT1_
    .private_segment_fixed_size: 0
    .sgpr_count:     6
    .sgpr_spill_count: 0
    .symbol:         _ZN7rocprim17ROCPRIM_400000_NS6detail17trampoline_kernelINS0_14default_configENS1_25transform_config_selectorIiLb0EEEZNS1_14transform_implILb0ES3_S5_NS0_18transform_iteratorINS0_17counting_iteratorImlEEZNS1_24adjacent_difference_implIS3_Lb1ELb0EPiN6thrust23THRUST_200600_302600_NS16discard_iteratorINSD_11use_defaultEEENSD_5minusIiEEEE10hipError_tPvRmT2_T3_mT4_P12ihipStream_tbEUlmE_iEESB_NS0_8identityIvEEEESJ_SM_SN_mSO_SQ_bEUlT_E_NS1_11comp_targetILNS1_3genE4ELNS1_11target_archE910ELNS1_3gpuE8ELNS1_3repE0EEENS1_30default_config_static_selectorELNS0_4arch9wavefront6targetE1EEEvT1_.kd
    .uniform_work_group_size: 1
    .uses_dynamic_stack: false
    .vgpr_count:     0
    .vgpr_spill_count: 0
    .wavefront_size: 64
  - .agpr_count:     0
    .args:
      - .offset:         0
        .size:           56
        .value_kind:     by_value
    .group_segment_fixed_size: 0
    .kernarg_segment_align: 8
    .kernarg_segment_size: 56
    .language:       OpenCL C
    .language_version:
      - 2
      - 0
    .max_flat_workgroup_size: 128
    .name:           _ZN7rocprim17ROCPRIM_400000_NS6detail17trampoline_kernelINS0_14default_configENS1_25transform_config_selectorIiLb0EEEZNS1_14transform_implILb0ES3_S5_NS0_18transform_iteratorINS0_17counting_iteratorImlEEZNS1_24adjacent_difference_implIS3_Lb1ELb0EPiN6thrust23THRUST_200600_302600_NS16discard_iteratorINSD_11use_defaultEEENSD_5minusIiEEEE10hipError_tPvRmT2_T3_mT4_P12ihipStream_tbEUlmE_iEESB_NS0_8identityIvEEEESJ_SM_SN_mSO_SQ_bEUlT_E_NS1_11comp_targetILNS1_3genE3ELNS1_11target_archE908ELNS1_3gpuE7ELNS1_3repE0EEENS1_30default_config_static_selectorELNS0_4arch9wavefront6targetE1EEEvT1_
    .private_segment_fixed_size: 0
    .sgpr_count:     6
    .sgpr_spill_count: 0
    .symbol:         _ZN7rocprim17ROCPRIM_400000_NS6detail17trampoline_kernelINS0_14default_configENS1_25transform_config_selectorIiLb0EEEZNS1_14transform_implILb0ES3_S5_NS0_18transform_iteratorINS0_17counting_iteratorImlEEZNS1_24adjacent_difference_implIS3_Lb1ELb0EPiN6thrust23THRUST_200600_302600_NS16discard_iteratorINSD_11use_defaultEEENSD_5minusIiEEEE10hipError_tPvRmT2_T3_mT4_P12ihipStream_tbEUlmE_iEESB_NS0_8identityIvEEEESJ_SM_SN_mSO_SQ_bEUlT_E_NS1_11comp_targetILNS1_3genE3ELNS1_11target_archE908ELNS1_3gpuE7ELNS1_3repE0EEENS1_30default_config_static_selectorELNS0_4arch9wavefront6targetE1EEEvT1_.kd
    .uniform_work_group_size: 1
    .uses_dynamic_stack: false
    .vgpr_count:     0
    .vgpr_spill_count: 0
    .wavefront_size: 64
  - .agpr_count:     0
    .args:
      - .offset:         0
        .size:           56
        .value_kind:     by_value
    .group_segment_fixed_size: 0
    .kernarg_segment_align: 8
    .kernarg_segment_size: 56
    .language:       OpenCL C
    .language_version:
      - 2
      - 0
    .max_flat_workgroup_size: 1024
    .name:           _ZN7rocprim17ROCPRIM_400000_NS6detail17trampoline_kernelINS0_14default_configENS1_25transform_config_selectorIiLb0EEEZNS1_14transform_implILb0ES3_S5_NS0_18transform_iteratorINS0_17counting_iteratorImlEEZNS1_24adjacent_difference_implIS3_Lb1ELb0EPiN6thrust23THRUST_200600_302600_NS16discard_iteratorINSD_11use_defaultEEENSD_5minusIiEEEE10hipError_tPvRmT2_T3_mT4_P12ihipStream_tbEUlmE_iEESB_NS0_8identityIvEEEESJ_SM_SN_mSO_SQ_bEUlT_E_NS1_11comp_targetILNS1_3genE2ELNS1_11target_archE906ELNS1_3gpuE6ELNS1_3repE0EEENS1_30default_config_static_selectorELNS0_4arch9wavefront6targetE1EEEvT1_
    .private_segment_fixed_size: 0
    .sgpr_count:     6
    .sgpr_spill_count: 0
    .symbol:         _ZN7rocprim17ROCPRIM_400000_NS6detail17trampoline_kernelINS0_14default_configENS1_25transform_config_selectorIiLb0EEEZNS1_14transform_implILb0ES3_S5_NS0_18transform_iteratorINS0_17counting_iteratorImlEEZNS1_24adjacent_difference_implIS3_Lb1ELb0EPiN6thrust23THRUST_200600_302600_NS16discard_iteratorINSD_11use_defaultEEENSD_5minusIiEEEE10hipError_tPvRmT2_T3_mT4_P12ihipStream_tbEUlmE_iEESB_NS0_8identityIvEEEESJ_SM_SN_mSO_SQ_bEUlT_E_NS1_11comp_targetILNS1_3genE2ELNS1_11target_archE906ELNS1_3gpuE6ELNS1_3repE0EEENS1_30default_config_static_selectorELNS0_4arch9wavefront6targetE1EEEvT1_.kd
    .uniform_work_group_size: 1
    .uses_dynamic_stack: false
    .vgpr_count:     0
    .vgpr_spill_count: 0
    .wavefront_size: 64
  - .agpr_count:     0
    .args:
      - .offset:         0
        .size:           56
        .value_kind:     by_value
    .group_segment_fixed_size: 0
    .kernarg_segment_align: 8
    .kernarg_segment_size: 56
    .language:       OpenCL C
    .language_version:
      - 2
      - 0
    .max_flat_workgroup_size: 1024
    .name:           _ZN7rocprim17ROCPRIM_400000_NS6detail17trampoline_kernelINS0_14default_configENS1_25transform_config_selectorIiLb0EEEZNS1_14transform_implILb0ES3_S5_NS0_18transform_iteratorINS0_17counting_iteratorImlEEZNS1_24adjacent_difference_implIS3_Lb1ELb0EPiN6thrust23THRUST_200600_302600_NS16discard_iteratorINSD_11use_defaultEEENSD_5minusIiEEEE10hipError_tPvRmT2_T3_mT4_P12ihipStream_tbEUlmE_iEESB_NS0_8identityIvEEEESJ_SM_SN_mSO_SQ_bEUlT_E_NS1_11comp_targetILNS1_3genE10ELNS1_11target_archE1201ELNS1_3gpuE5ELNS1_3repE0EEENS1_30default_config_static_selectorELNS0_4arch9wavefront6targetE1EEEvT1_
    .private_segment_fixed_size: 0
    .sgpr_count:     6
    .sgpr_spill_count: 0
    .symbol:         _ZN7rocprim17ROCPRIM_400000_NS6detail17trampoline_kernelINS0_14default_configENS1_25transform_config_selectorIiLb0EEEZNS1_14transform_implILb0ES3_S5_NS0_18transform_iteratorINS0_17counting_iteratorImlEEZNS1_24adjacent_difference_implIS3_Lb1ELb0EPiN6thrust23THRUST_200600_302600_NS16discard_iteratorINSD_11use_defaultEEENSD_5minusIiEEEE10hipError_tPvRmT2_T3_mT4_P12ihipStream_tbEUlmE_iEESB_NS0_8identityIvEEEESJ_SM_SN_mSO_SQ_bEUlT_E_NS1_11comp_targetILNS1_3genE10ELNS1_11target_archE1201ELNS1_3gpuE5ELNS1_3repE0EEENS1_30default_config_static_selectorELNS0_4arch9wavefront6targetE1EEEvT1_.kd
    .uniform_work_group_size: 1
    .uses_dynamic_stack: false
    .vgpr_count:     0
    .vgpr_spill_count: 0
    .wavefront_size: 64
  - .agpr_count:     0
    .args:
      - .offset:         0
        .size:           56
        .value_kind:     by_value
    .group_segment_fixed_size: 0
    .kernarg_segment_align: 8
    .kernarg_segment_size: 56
    .language:       OpenCL C
    .language_version:
      - 2
      - 0
    .max_flat_workgroup_size: 512
    .name:           _ZN7rocprim17ROCPRIM_400000_NS6detail17trampoline_kernelINS0_14default_configENS1_25transform_config_selectorIiLb0EEEZNS1_14transform_implILb0ES3_S5_NS0_18transform_iteratorINS0_17counting_iteratorImlEEZNS1_24adjacent_difference_implIS3_Lb1ELb0EPiN6thrust23THRUST_200600_302600_NS16discard_iteratorINSD_11use_defaultEEENSD_5minusIiEEEE10hipError_tPvRmT2_T3_mT4_P12ihipStream_tbEUlmE_iEESB_NS0_8identityIvEEEESJ_SM_SN_mSO_SQ_bEUlT_E_NS1_11comp_targetILNS1_3genE10ELNS1_11target_archE1200ELNS1_3gpuE4ELNS1_3repE0EEENS1_30default_config_static_selectorELNS0_4arch9wavefront6targetE1EEEvT1_
    .private_segment_fixed_size: 0
    .sgpr_count:     6
    .sgpr_spill_count: 0
    .symbol:         _ZN7rocprim17ROCPRIM_400000_NS6detail17trampoline_kernelINS0_14default_configENS1_25transform_config_selectorIiLb0EEEZNS1_14transform_implILb0ES3_S5_NS0_18transform_iteratorINS0_17counting_iteratorImlEEZNS1_24adjacent_difference_implIS3_Lb1ELb0EPiN6thrust23THRUST_200600_302600_NS16discard_iteratorINSD_11use_defaultEEENSD_5minusIiEEEE10hipError_tPvRmT2_T3_mT4_P12ihipStream_tbEUlmE_iEESB_NS0_8identityIvEEEESJ_SM_SN_mSO_SQ_bEUlT_E_NS1_11comp_targetILNS1_3genE10ELNS1_11target_archE1200ELNS1_3gpuE4ELNS1_3repE0EEENS1_30default_config_static_selectorELNS0_4arch9wavefront6targetE1EEEvT1_.kd
    .uniform_work_group_size: 1
    .uses_dynamic_stack: false
    .vgpr_count:     0
    .vgpr_spill_count: 0
    .wavefront_size: 64
  - .agpr_count:     0
    .args:
      - .offset:         0
        .size:           56
        .value_kind:     by_value
    .group_segment_fixed_size: 0
    .kernarg_segment_align: 8
    .kernarg_segment_size: 56
    .language:       OpenCL C
    .language_version:
      - 2
      - 0
    .max_flat_workgroup_size: 64
    .name:           _ZN7rocprim17ROCPRIM_400000_NS6detail17trampoline_kernelINS0_14default_configENS1_25transform_config_selectorIiLb0EEEZNS1_14transform_implILb0ES3_S5_NS0_18transform_iteratorINS0_17counting_iteratorImlEEZNS1_24adjacent_difference_implIS3_Lb1ELb0EPiN6thrust23THRUST_200600_302600_NS16discard_iteratorINSD_11use_defaultEEENSD_5minusIiEEEE10hipError_tPvRmT2_T3_mT4_P12ihipStream_tbEUlmE_iEESB_NS0_8identityIvEEEESJ_SM_SN_mSO_SQ_bEUlT_E_NS1_11comp_targetILNS1_3genE9ELNS1_11target_archE1100ELNS1_3gpuE3ELNS1_3repE0EEENS1_30default_config_static_selectorELNS0_4arch9wavefront6targetE1EEEvT1_
    .private_segment_fixed_size: 0
    .sgpr_count:     6
    .sgpr_spill_count: 0
    .symbol:         _ZN7rocprim17ROCPRIM_400000_NS6detail17trampoline_kernelINS0_14default_configENS1_25transform_config_selectorIiLb0EEEZNS1_14transform_implILb0ES3_S5_NS0_18transform_iteratorINS0_17counting_iteratorImlEEZNS1_24adjacent_difference_implIS3_Lb1ELb0EPiN6thrust23THRUST_200600_302600_NS16discard_iteratorINSD_11use_defaultEEENSD_5minusIiEEEE10hipError_tPvRmT2_T3_mT4_P12ihipStream_tbEUlmE_iEESB_NS0_8identityIvEEEESJ_SM_SN_mSO_SQ_bEUlT_E_NS1_11comp_targetILNS1_3genE9ELNS1_11target_archE1100ELNS1_3gpuE3ELNS1_3repE0EEENS1_30default_config_static_selectorELNS0_4arch9wavefront6targetE1EEEvT1_.kd
    .uniform_work_group_size: 1
    .uses_dynamic_stack: false
    .vgpr_count:     0
    .vgpr_spill_count: 0
    .wavefront_size: 64
  - .agpr_count:     0
    .args:
      - .offset:         0
        .size:           56
        .value_kind:     by_value
    .group_segment_fixed_size: 0
    .kernarg_segment_align: 8
    .kernarg_segment_size: 56
    .language:       OpenCL C
    .language_version:
      - 2
      - 0
    .max_flat_workgroup_size: 256
    .name:           _ZN7rocprim17ROCPRIM_400000_NS6detail17trampoline_kernelINS0_14default_configENS1_25transform_config_selectorIiLb0EEEZNS1_14transform_implILb0ES3_S5_NS0_18transform_iteratorINS0_17counting_iteratorImlEEZNS1_24adjacent_difference_implIS3_Lb1ELb0EPiN6thrust23THRUST_200600_302600_NS16discard_iteratorINSD_11use_defaultEEENSD_5minusIiEEEE10hipError_tPvRmT2_T3_mT4_P12ihipStream_tbEUlmE_iEESB_NS0_8identityIvEEEESJ_SM_SN_mSO_SQ_bEUlT_E_NS1_11comp_targetILNS1_3genE8ELNS1_11target_archE1030ELNS1_3gpuE2ELNS1_3repE0EEENS1_30default_config_static_selectorELNS0_4arch9wavefront6targetE1EEEvT1_
    .private_segment_fixed_size: 0
    .sgpr_count:     6
    .sgpr_spill_count: 0
    .symbol:         _ZN7rocprim17ROCPRIM_400000_NS6detail17trampoline_kernelINS0_14default_configENS1_25transform_config_selectorIiLb0EEEZNS1_14transform_implILb0ES3_S5_NS0_18transform_iteratorINS0_17counting_iteratorImlEEZNS1_24adjacent_difference_implIS3_Lb1ELb0EPiN6thrust23THRUST_200600_302600_NS16discard_iteratorINSD_11use_defaultEEENSD_5minusIiEEEE10hipError_tPvRmT2_T3_mT4_P12ihipStream_tbEUlmE_iEESB_NS0_8identityIvEEEESJ_SM_SN_mSO_SQ_bEUlT_E_NS1_11comp_targetILNS1_3genE8ELNS1_11target_archE1030ELNS1_3gpuE2ELNS1_3repE0EEENS1_30default_config_static_selectorELNS0_4arch9wavefront6targetE1EEEvT1_.kd
    .uniform_work_group_size: 1
    .uses_dynamic_stack: false
    .vgpr_count:     0
    .vgpr_spill_count: 0
    .wavefront_size: 64
  - .agpr_count:     0
    .args:
      - .offset:         0
        .size:           64
        .value_kind:     by_value
    .group_segment_fixed_size: 0
    .kernarg_segment_align: 8
    .kernarg_segment_size: 64
    .language:       OpenCL C
    .language_version:
      - 2
      - 0
    .max_flat_workgroup_size: 1024
    .name:           _ZN7rocprim17ROCPRIM_400000_NS6detail17trampoline_kernelINS0_14default_configENS1_35adjacent_difference_config_selectorILb1EiEEZNS1_24adjacent_difference_implIS3_Lb1ELb0EPiN6thrust23THRUST_200600_302600_NS16discard_iteratorINS9_11use_defaultEEENS9_5minusIiEEEE10hipError_tPvRmT2_T3_mT4_P12ihipStream_tbEUlT_E_NS1_11comp_targetILNS1_3genE0ELNS1_11target_archE4294967295ELNS1_3gpuE0ELNS1_3repE0EEENS1_30default_config_static_selectorELNS0_4arch9wavefront6targetE1EEEvT1_
    .private_segment_fixed_size: 0
    .sgpr_count:     6
    .sgpr_spill_count: 0
    .symbol:         _ZN7rocprim17ROCPRIM_400000_NS6detail17trampoline_kernelINS0_14default_configENS1_35adjacent_difference_config_selectorILb1EiEEZNS1_24adjacent_difference_implIS3_Lb1ELb0EPiN6thrust23THRUST_200600_302600_NS16discard_iteratorINS9_11use_defaultEEENS9_5minusIiEEEE10hipError_tPvRmT2_T3_mT4_P12ihipStream_tbEUlT_E_NS1_11comp_targetILNS1_3genE0ELNS1_11target_archE4294967295ELNS1_3gpuE0ELNS1_3repE0EEENS1_30default_config_static_selectorELNS0_4arch9wavefront6targetE1EEEvT1_.kd
    .uniform_work_group_size: 1
    .uses_dynamic_stack: false
    .vgpr_count:     0
    .vgpr_spill_count: 0
    .wavefront_size: 64
  - .agpr_count:     0
    .args:
      - .offset:         0
        .size:           64
        .value_kind:     by_value
    .group_segment_fixed_size: 0
    .kernarg_segment_align: 8
    .kernarg_segment_size: 64
    .language:       OpenCL C
    .language_version:
      - 2
      - 0
    .max_flat_workgroup_size: 32
    .name:           _ZN7rocprim17ROCPRIM_400000_NS6detail17trampoline_kernelINS0_14default_configENS1_35adjacent_difference_config_selectorILb1EiEEZNS1_24adjacent_difference_implIS3_Lb1ELb0EPiN6thrust23THRUST_200600_302600_NS16discard_iteratorINS9_11use_defaultEEENS9_5minusIiEEEE10hipError_tPvRmT2_T3_mT4_P12ihipStream_tbEUlT_E_NS1_11comp_targetILNS1_3genE10ELNS1_11target_archE1201ELNS1_3gpuE5ELNS1_3repE0EEENS1_30default_config_static_selectorELNS0_4arch9wavefront6targetE1EEEvT1_
    .private_segment_fixed_size: 0
    .sgpr_count:     6
    .sgpr_spill_count: 0
    .symbol:         _ZN7rocprim17ROCPRIM_400000_NS6detail17trampoline_kernelINS0_14default_configENS1_35adjacent_difference_config_selectorILb1EiEEZNS1_24adjacent_difference_implIS3_Lb1ELb0EPiN6thrust23THRUST_200600_302600_NS16discard_iteratorINS9_11use_defaultEEENS9_5minusIiEEEE10hipError_tPvRmT2_T3_mT4_P12ihipStream_tbEUlT_E_NS1_11comp_targetILNS1_3genE10ELNS1_11target_archE1201ELNS1_3gpuE5ELNS1_3repE0EEENS1_30default_config_static_selectorELNS0_4arch9wavefront6targetE1EEEvT1_.kd
    .uniform_work_group_size: 1
    .uses_dynamic_stack: false
    .vgpr_count:     0
    .vgpr_spill_count: 0
    .wavefront_size: 64
  - .agpr_count:     0
    .args:
      - .offset:         0
        .size:           64
        .value_kind:     by_value
    .group_segment_fixed_size: 10240
    .kernarg_segment_align: 8
    .kernarg_segment_size: 64
    .language:       OpenCL C
    .language_version:
      - 2
      - 0
    .max_flat_workgroup_size: 512
    .name:           _ZN7rocprim17ROCPRIM_400000_NS6detail17trampoline_kernelINS0_14default_configENS1_35adjacent_difference_config_selectorILb1EiEEZNS1_24adjacent_difference_implIS3_Lb1ELb0EPiN6thrust23THRUST_200600_302600_NS16discard_iteratorINS9_11use_defaultEEENS9_5minusIiEEEE10hipError_tPvRmT2_T3_mT4_P12ihipStream_tbEUlT_E_NS1_11comp_targetILNS1_3genE5ELNS1_11target_archE942ELNS1_3gpuE9ELNS1_3repE0EEENS1_30default_config_static_selectorELNS0_4arch9wavefront6targetE1EEEvT1_
    .private_segment_fixed_size: 0
    .sgpr_count:     27
    .sgpr_spill_count: 0
    .symbol:         _ZN7rocprim17ROCPRIM_400000_NS6detail17trampoline_kernelINS0_14default_configENS1_35adjacent_difference_config_selectorILb1EiEEZNS1_24adjacent_difference_implIS3_Lb1ELb0EPiN6thrust23THRUST_200600_302600_NS16discard_iteratorINS9_11use_defaultEEENS9_5minusIiEEEE10hipError_tPvRmT2_T3_mT4_P12ihipStream_tbEUlT_E_NS1_11comp_targetILNS1_3genE5ELNS1_11target_archE942ELNS1_3gpuE9ELNS1_3repE0EEENS1_30default_config_static_selectorELNS0_4arch9wavefront6targetE1EEEvT1_.kd
    .uniform_work_group_size: 1
    .uses_dynamic_stack: false
    .vgpr_count:     16
    .vgpr_spill_count: 0
    .wavefront_size: 64
  - .agpr_count:     0
    .args:
      - .offset:         0
        .size:           64
        .value_kind:     by_value
    .group_segment_fixed_size: 0
    .kernarg_segment_align: 8
    .kernarg_segment_size: 64
    .language:       OpenCL C
    .language_version:
      - 2
      - 0
    .max_flat_workgroup_size: 512
    .name:           _ZN7rocprim17ROCPRIM_400000_NS6detail17trampoline_kernelINS0_14default_configENS1_35adjacent_difference_config_selectorILb1EiEEZNS1_24adjacent_difference_implIS3_Lb1ELb0EPiN6thrust23THRUST_200600_302600_NS16discard_iteratorINS9_11use_defaultEEENS9_5minusIiEEEE10hipError_tPvRmT2_T3_mT4_P12ihipStream_tbEUlT_E_NS1_11comp_targetILNS1_3genE4ELNS1_11target_archE910ELNS1_3gpuE8ELNS1_3repE0EEENS1_30default_config_static_selectorELNS0_4arch9wavefront6targetE1EEEvT1_
    .private_segment_fixed_size: 0
    .sgpr_count:     6
    .sgpr_spill_count: 0
    .symbol:         _ZN7rocprim17ROCPRIM_400000_NS6detail17trampoline_kernelINS0_14default_configENS1_35adjacent_difference_config_selectorILb1EiEEZNS1_24adjacent_difference_implIS3_Lb1ELb0EPiN6thrust23THRUST_200600_302600_NS16discard_iteratorINS9_11use_defaultEEENS9_5minusIiEEEE10hipError_tPvRmT2_T3_mT4_P12ihipStream_tbEUlT_E_NS1_11comp_targetILNS1_3genE4ELNS1_11target_archE910ELNS1_3gpuE8ELNS1_3repE0EEENS1_30default_config_static_selectorELNS0_4arch9wavefront6targetE1EEEvT1_.kd
    .uniform_work_group_size: 1
    .uses_dynamic_stack: false
    .vgpr_count:     0
    .vgpr_spill_count: 0
    .wavefront_size: 64
  - .agpr_count:     0
    .args:
      - .offset:         0
        .size:           64
        .value_kind:     by_value
    .group_segment_fixed_size: 0
    .kernarg_segment_align: 8
    .kernarg_segment_size: 64
    .language:       OpenCL C
    .language_version:
      - 2
      - 0
    .max_flat_workgroup_size: 1024
    .name:           _ZN7rocprim17ROCPRIM_400000_NS6detail17trampoline_kernelINS0_14default_configENS1_35adjacent_difference_config_selectorILb1EiEEZNS1_24adjacent_difference_implIS3_Lb1ELb0EPiN6thrust23THRUST_200600_302600_NS16discard_iteratorINS9_11use_defaultEEENS9_5minusIiEEEE10hipError_tPvRmT2_T3_mT4_P12ihipStream_tbEUlT_E_NS1_11comp_targetILNS1_3genE3ELNS1_11target_archE908ELNS1_3gpuE7ELNS1_3repE0EEENS1_30default_config_static_selectorELNS0_4arch9wavefront6targetE1EEEvT1_
    .private_segment_fixed_size: 0
    .sgpr_count:     6
    .sgpr_spill_count: 0
    .symbol:         _ZN7rocprim17ROCPRIM_400000_NS6detail17trampoline_kernelINS0_14default_configENS1_35adjacent_difference_config_selectorILb1EiEEZNS1_24adjacent_difference_implIS3_Lb1ELb0EPiN6thrust23THRUST_200600_302600_NS16discard_iteratorINS9_11use_defaultEEENS9_5minusIiEEEE10hipError_tPvRmT2_T3_mT4_P12ihipStream_tbEUlT_E_NS1_11comp_targetILNS1_3genE3ELNS1_11target_archE908ELNS1_3gpuE7ELNS1_3repE0EEENS1_30default_config_static_selectorELNS0_4arch9wavefront6targetE1EEEvT1_.kd
    .uniform_work_group_size: 1
    .uses_dynamic_stack: false
    .vgpr_count:     0
    .vgpr_spill_count: 0
    .wavefront_size: 64
  - .agpr_count:     0
    .args:
      - .offset:         0
        .size:           64
        .value_kind:     by_value
    .group_segment_fixed_size: 0
    .kernarg_segment_align: 8
    .kernarg_segment_size: 64
    .language:       OpenCL C
    .language_version:
      - 2
      - 0
    .max_flat_workgroup_size: 256
    .name:           _ZN7rocprim17ROCPRIM_400000_NS6detail17trampoline_kernelINS0_14default_configENS1_35adjacent_difference_config_selectorILb1EiEEZNS1_24adjacent_difference_implIS3_Lb1ELb0EPiN6thrust23THRUST_200600_302600_NS16discard_iteratorINS9_11use_defaultEEENS9_5minusIiEEEE10hipError_tPvRmT2_T3_mT4_P12ihipStream_tbEUlT_E_NS1_11comp_targetILNS1_3genE2ELNS1_11target_archE906ELNS1_3gpuE6ELNS1_3repE0EEENS1_30default_config_static_selectorELNS0_4arch9wavefront6targetE1EEEvT1_
    .private_segment_fixed_size: 0
    .sgpr_count:     6
    .sgpr_spill_count: 0
    .symbol:         _ZN7rocprim17ROCPRIM_400000_NS6detail17trampoline_kernelINS0_14default_configENS1_35adjacent_difference_config_selectorILb1EiEEZNS1_24adjacent_difference_implIS3_Lb1ELb0EPiN6thrust23THRUST_200600_302600_NS16discard_iteratorINS9_11use_defaultEEENS9_5minusIiEEEE10hipError_tPvRmT2_T3_mT4_P12ihipStream_tbEUlT_E_NS1_11comp_targetILNS1_3genE2ELNS1_11target_archE906ELNS1_3gpuE6ELNS1_3repE0EEENS1_30default_config_static_selectorELNS0_4arch9wavefront6targetE1EEEvT1_.kd
    .uniform_work_group_size: 1
    .uses_dynamic_stack: false
    .vgpr_count:     0
    .vgpr_spill_count: 0
    .wavefront_size: 64
  - .agpr_count:     0
    .args:
      - .offset:         0
        .size:           64
        .value_kind:     by_value
    .group_segment_fixed_size: 0
    .kernarg_segment_align: 8
    .kernarg_segment_size: 64
    .language:       OpenCL C
    .language_version:
      - 2
      - 0
    .max_flat_workgroup_size: 128
    .name:           _ZN7rocprim17ROCPRIM_400000_NS6detail17trampoline_kernelINS0_14default_configENS1_35adjacent_difference_config_selectorILb1EiEEZNS1_24adjacent_difference_implIS3_Lb1ELb0EPiN6thrust23THRUST_200600_302600_NS16discard_iteratorINS9_11use_defaultEEENS9_5minusIiEEEE10hipError_tPvRmT2_T3_mT4_P12ihipStream_tbEUlT_E_NS1_11comp_targetILNS1_3genE9ELNS1_11target_archE1100ELNS1_3gpuE3ELNS1_3repE0EEENS1_30default_config_static_selectorELNS0_4arch9wavefront6targetE1EEEvT1_
    .private_segment_fixed_size: 0
    .sgpr_count:     6
    .sgpr_spill_count: 0
    .symbol:         _ZN7rocprim17ROCPRIM_400000_NS6detail17trampoline_kernelINS0_14default_configENS1_35adjacent_difference_config_selectorILb1EiEEZNS1_24adjacent_difference_implIS3_Lb1ELb0EPiN6thrust23THRUST_200600_302600_NS16discard_iteratorINS9_11use_defaultEEENS9_5minusIiEEEE10hipError_tPvRmT2_T3_mT4_P12ihipStream_tbEUlT_E_NS1_11comp_targetILNS1_3genE9ELNS1_11target_archE1100ELNS1_3gpuE3ELNS1_3repE0EEENS1_30default_config_static_selectorELNS0_4arch9wavefront6targetE1EEEvT1_.kd
    .uniform_work_group_size: 1
    .uses_dynamic_stack: false
    .vgpr_count:     0
    .vgpr_spill_count: 0
    .wavefront_size: 64
  - .agpr_count:     0
    .args:
      - .offset:         0
        .size:           64
        .value_kind:     by_value
    .group_segment_fixed_size: 0
    .kernarg_segment_align: 8
    .kernarg_segment_size: 64
    .language:       OpenCL C
    .language_version:
      - 2
      - 0
    .max_flat_workgroup_size: 32
    .name:           _ZN7rocprim17ROCPRIM_400000_NS6detail17trampoline_kernelINS0_14default_configENS1_35adjacent_difference_config_selectorILb1EiEEZNS1_24adjacent_difference_implIS3_Lb1ELb0EPiN6thrust23THRUST_200600_302600_NS16discard_iteratorINS9_11use_defaultEEENS9_5minusIiEEEE10hipError_tPvRmT2_T3_mT4_P12ihipStream_tbEUlT_E_NS1_11comp_targetILNS1_3genE8ELNS1_11target_archE1030ELNS1_3gpuE2ELNS1_3repE0EEENS1_30default_config_static_selectorELNS0_4arch9wavefront6targetE1EEEvT1_
    .private_segment_fixed_size: 0
    .sgpr_count:     6
    .sgpr_spill_count: 0
    .symbol:         _ZN7rocprim17ROCPRIM_400000_NS6detail17trampoline_kernelINS0_14default_configENS1_35adjacent_difference_config_selectorILb1EiEEZNS1_24adjacent_difference_implIS3_Lb1ELb0EPiN6thrust23THRUST_200600_302600_NS16discard_iteratorINS9_11use_defaultEEENS9_5minusIiEEEE10hipError_tPvRmT2_T3_mT4_P12ihipStream_tbEUlT_E_NS1_11comp_targetILNS1_3genE8ELNS1_11target_archE1030ELNS1_3gpuE2ELNS1_3repE0EEENS1_30default_config_static_selectorELNS0_4arch9wavefront6targetE1EEEvT1_.kd
    .uniform_work_group_size: 1
    .uses_dynamic_stack: false
    .vgpr_count:     0
    .vgpr_spill_count: 0
    .wavefront_size: 64
  - .agpr_count:     0
    .args:
      - .offset:         0
        .size:           56
        .value_kind:     by_value
    .group_segment_fixed_size: 0
    .kernarg_segment_align: 8
    .kernarg_segment_size: 56
    .language:       OpenCL C
    .language_version:
      - 2
      - 0
    .max_flat_workgroup_size: 128
    .name:           _ZN7rocprim17ROCPRIM_400000_NS6detail17trampoline_kernelINS0_14default_configENS1_25transform_config_selectorIjLb0EEEZNS1_14transform_implILb0ES3_S5_NS0_18transform_iteratorINS0_17counting_iteratorImlEEZNS1_24adjacent_difference_implIS3_Lb1ELb0EPjN6thrust23THRUST_200600_302600_NS16discard_iteratorINSD_11use_defaultEEENSD_5minusIjEEEE10hipError_tPvRmT2_T3_mT4_P12ihipStream_tbEUlmE_jEESB_NS0_8identityIvEEEESJ_SM_SN_mSO_SQ_bEUlT_E_NS1_11comp_targetILNS1_3genE0ELNS1_11target_archE4294967295ELNS1_3gpuE0ELNS1_3repE0EEENS1_30default_config_static_selectorELNS0_4arch9wavefront6targetE1EEEvT1_
    .private_segment_fixed_size: 0
    .sgpr_count:     6
    .sgpr_spill_count: 0
    .symbol:         _ZN7rocprim17ROCPRIM_400000_NS6detail17trampoline_kernelINS0_14default_configENS1_25transform_config_selectorIjLb0EEEZNS1_14transform_implILb0ES3_S5_NS0_18transform_iteratorINS0_17counting_iteratorImlEEZNS1_24adjacent_difference_implIS3_Lb1ELb0EPjN6thrust23THRUST_200600_302600_NS16discard_iteratorINSD_11use_defaultEEENSD_5minusIjEEEE10hipError_tPvRmT2_T3_mT4_P12ihipStream_tbEUlmE_jEESB_NS0_8identityIvEEEESJ_SM_SN_mSO_SQ_bEUlT_E_NS1_11comp_targetILNS1_3genE0ELNS1_11target_archE4294967295ELNS1_3gpuE0ELNS1_3repE0EEENS1_30default_config_static_selectorELNS0_4arch9wavefront6targetE1EEEvT1_.kd
    .uniform_work_group_size: 1
    .uses_dynamic_stack: false
    .vgpr_count:     0
    .vgpr_spill_count: 0
    .wavefront_size: 64
  - .agpr_count:     0
    .args:
      - .offset:         0
        .size:           56
        .value_kind:     by_value
      - .offset:         56
        .size:           4
        .value_kind:     hidden_block_count_x
      - .offset:         60
        .size:           4
        .value_kind:     hidden_block_count_y
      - .offset:         64
        .size:           4
        .value_kind:     hidden_block_count_z
      - .offset:         68
        .size:           2
        .value_kind:     hidden_group_size_x
      - .offset:         70
        .size:           2
        .value_kind:     hidden_group_size_y
      - .offset:         72
        .size:           2
        .value_kind:     hidden_group_size_z
      - .offset:         74
        .size:           2
        .value_kind:     hidden_remainder_x
      - .offset:         76
        .size:           2
        .value_kind:     hidden_remainder_y
      - .offset:         78
        .size:           2
        .value_kind:     hidden_remainder_z
      - .offset:         96
        .size:           8
        .value_kind:     hidden_global_offset_x
      - .offset:         104
        .size:           8
        .value_kind:     hidden_global_offset_y
      - .offset:         112
        .size:           8
        .value_kind:     hidden_global_offset_z
      - .offset:         120
        .size:           2
        .value_kind:     hidden_grid_dims
    .group_segment_fixed_size: 0
    .kernarg_segment_align: 8
    .kernarg_segment_size: 312
    .language:       OpenCL C
    .language_version:
      - 2
      - 0
    .max_flat_workgroup_size: 512
    .name:           _ZN7rocprim17ROCPRIM_400000_NS6detail17trampoline_kernelINS0_14default_configENS1_25transform_config_selectorIjLb0EEEZNS1_14transform_implILb0ES3_S5_NS0_18transform_iteratorINS0_17counting_iteratorImlEEZNS1_24adjacent_difference_implIS3_Lb1ELb0EPjN6thrust23THRUST_200600_302600_NS16discard_iteratorINSD_11use_defaultEEENSD_5minusIjEEEE10hipError_tPvRmT2_T3_mT4_P12ihipStream_tbEUlmE_jEESB_NS0_8identityIvEEEESJ_SM_SN_mSO_SQ_bEUlT_E_NS1_11comp_targetILNS1_3genE5ELNS1_11target_archE942ELNS1_3gpuE9ELNS1_3repE0EEENS1_30default_config_static_selectorELNS0_4arch9wavefront6targetE1EEEvT1_
    .private_segment_fixed_size: 0
    .sgpr_count:     28
    .sgpr_spill_count: 0
    .symbol:         _ZN7rocprim17ROCPRIM_400000_NS6detail17trampoline_kernelINS0_14default_configENS1_25transform_config_selectorIjLb0EEEZNS1_14transform_implILb0ES3_S5_NS0_18transform_iteratorINS0_17counting_iteratorImlEEZNS1_24adjacent_difference_implIS3_Lb1ELb0EPjN6thrust23THRUST_200600_302600_NS16discard_iteratorINSD_11use_defaultEEENSD_5minusIjEEEE10hipError_tPvRmT2_T3_mT4_P12ihipStream_tbEUlmE_jEESB_NS0_8identityIvEEEESJ_SM_SN_mSO_SQ_bEUlT_E_NS1_11comp_targetILNS1_3genE5ELNS1_11target_archE942ELNS1_3gpuE9ELNS1_3repE0EEENS1_30default_config_static_selectorELNS0_4arch9wavefront6targetE1EEEvT1_.kd
    .uniform_work_group_size: 1
    .uses_dynamic_stack: false
    .vgpr_count:     13
    .vgpr_spill_count: 0
    .wavefront_size: 64
  - .agpr_count:     0
    .args:
      - .offset:         0
        .size:           56
        .value_kind:     by_value
    .group_segment_fixed_size: 0
    .kernarg_segment_align: 8
    .kernarg_segment_size: 56
    .language:       OpenCL C
    .language_version:
      - 2
      - 0
    .max_flat_workgroup_size: 1024
    .name:           _ZN7rocprim17ROCPRIM_400000_NS6detail17trampoline_kernelINS0_14default_configENS1_25transform_config_selectorIjLb0EEEZNS1_14transform_implILb0ES3_S5_NS0_18transform_iteratorINS0_17counting_iteratorImlEEZNS1_24adjacent_difference_implIS3_Lb1ELb0EPjN6thrust23THRUST_200600_302600_NS16discard_iteratorINSD_11use_defaultEEENSD_5minusIjEEEE10hipError_tPvRmT2_T3_mT4_P12ihipStream_tbEUlmE_jEESB_NS0_8identityIvEEEESJ_SM_SN_mSO_SQ_bEUlT_E_NS1_11comp_targetILNS1_3genE4ELNS1_11target_archE910ELNS1_3gpuE8ELNS1_3repE0EEENS1_30default_config_static_selectorELNS0_4arch9wavefront6targetE1EEEvT1_
    .private_segment_fixed_size: 0
    .sgpr_count:     6
    .sgpr_spill_count: 0
    .symbol:         _ZN7rocprim17ROCPRIM_400000_NS6detail17trampoline_kernelINS0_14default_configENS1_25transform_config_selectorIjLb0EEEZNS1_14transform_implILb0ES3_S5_NS0_18transform_iteratorINS0_17counting_iteratorImlEEZNS1_24adjacent_difference_implIS3_Lb1ELb0EPjN6thrust23THRUST_200600_302600_NS16discard_iteratorINSD_11use_defaultEEENSD_5minusIjEEEE10hipError_tPvRmT2_T3_mT4_P12ihipStream_tbEUlmE_jEESB_NS0_8identityIvEEEESJ_SM_SN_mSO_SQ_bEUlT_E_NS1_11comp_targetILNS1_3genE4ELNS1_11target_archE910ELNS1_3gpuE8ELNS1_3repE0EEENS1_30default_config_static_selectorELNS0_4arch9wavefront6targetE1EEEvT1_.kd
    .uniform_work_group_size: 1
    .uses_dynamic_stack: false
    .vgpr_count:     0
    .vgpr_spill_count: 0
    .wavefront_size: 64
  - .agpr_count:     0
    .args:
      - .offset:         0
        .size:           56
        .value_kind:     by_value
    .group_segment_fixed_size: 0
    .kernarg_segment_align: 8
    .kernarg_segment_size: 56
    .language:       OpenCL C
    .language_version:
      - 2
      - 0
    .max_flat_workgroup_size: 128
    .name:           _ZN7rocprim17ROCPRIM_400000_NS6detail17trampoline_kernelINS0_14default_configENS1_25transform_config_selectorIjLb0EEEZNS1_14transform_implILb0ES3_S5_NS0_18transform_iteratorINS0_17counting_iteratorImlEEZNS1_24adjacent_difference_implIS3_Lb1ELb0EPjN6thrust23THRUST_200600_302600_NS16discard_iteratorINSD_11use_defaultEEENSD_5minusIjEEEE10hipError_tPvRmT2_T3_mT4_P12ihipStream_tbEUlmE_jEESB_NS0_8identityIvEEEESJ_SM_SN_mSO_SQ_bEUlT_E_NS1_11comp_targetILNS1_3genE3ELNS1_11target_archE908ELNS1_3gpuE7ELNS1_3repE0EEENS1_30default_config_static_selectorELNS0_4arch9wavefront6targetE1EEEvT1_
    .private_segment_fixed_size: 0
    .sgpr_count:     6
    .sgpr_spill_count: 0
    .symbol:         _ZN7rocprim17ROCPRIM_400000_NS6detail17trampoline_kernelINS0_14default_configENS1_25transform_config_selectorIjLb0EEEZNS1_14transform_implILb0ES3_S5_NS0_18transform_iteratorINS0_17counting_iteratorImlEEZNS1_24adjacent_difference_implIS3_Lb1ELb0EPjN6thrust23THRUST_200600_302600_NS16discard_iteratorINSD_11use_defaultEEENSD_5minusIjEEEE10hipError_tPvRmT2_T3_mT4_P12ihipStream_tbEUlmE_jEESB_NS0_8identityIvEEEESJ_SM_SN_mSO_SQ_bEUlT_E_NS1_11comp_targetILNS1_3genE3ELNS1_11target_archE908ELNS1_3gpuE7ELNS1_3repE0EEENS1_30default_config_static_selectorELNS0_4arch9wavefront6targetE1EEEvT1_.kd
    .uniform_work_group_size: 1
    .uses_dynamic_stack: false
    .vgpr_count:     0
    .vgpr_spill_count: 0
    .wavefront_size: 64
  - .agpr_count:     0
    .args:
      - .offset:         0
        .size:           56
        .value_kind:     by_value
    .group_segment_fixed_size: 0
    .kernarg_segment_align: 8
    .kernarg_segment_size: 56
    .language:       OpenCL C
    .language_version:
      - 2
      - 0
    .max_flat_workgroup_size: 1024
    .name:           _ZN7rocprim17ROCPRIM_400000_NS6detail17trampoline_kernelINS0_14default_configENS1_25transform_config_selectorIjLb0EEEZNS1_14transform_implILb0ES3_S5_NS0_18transform_iteratorINS0_17counting_iteratorImlEEZNS1_24adjacent_difference_implIS3_Lb1ELb0EPjN6thrust23THRUST_200600_302600_NS16discard_iteratorINSD_11use_defaultEEENSD_5minusIjEEEE10hipError_tPvRmT2_T3_mT4_P12ihipStream_tbEUlmE_jEESB_NS0_8identityIvEEEESJ_SM_SN_mSO_SQ_bEUlT_E_NS1_11comp_targetILNS1_3genE2ELNS1_11target_archE906ELNS1_3gpuE6ELNS1_3repE0EEENS1_30default_config_static_selectorELNS0_4arch9wavefront6targetE1EEEvT1_
    .private_segment_fixed_size: 0
    .sgpr_count:     6
    .sgpr_spill_count: 0
    .symbol:         _ZN7rocprim17ROCPRIM_400000_NS6detail17trampoline_kernelINS0_14default_configENS1_25transform_config_selectorIjLb0EEEZNS1_14transform_implILb0ES3_S5_NS0_18transform_iteratorINS0_17counting_iteratorImlEEZNS1_24adjacent_difference_implIS3_Lb1ELb0EPjN6thrust23THRUST_200600_302600_NS16discard_iteratorINSD_11use_defaultEEENSD_5minusIjEEEE10hipError_tPvRmT2_T3_mT4_P12ihipStream_tbEUlmE_jEESB_NS0_8identityIvEEEESJ_SM_SN_mSO_SQ_bEUlT_E_NS1_11comp_targetILNS1_3genE2ELNS1_11target_archE906ELNS1_3gpuE6ELNS1_3repE0EEENS1_30default_config_static_selectorELNS0_4arch9wavefront6targetE1EEEvT1_.kd
    .uniform_work_group_size: 1
    .uses_dynamic_stack: false
    .vgpr_count:     0
    .vgpr_spill_count: 0
    .wavefront_size: 64
  - .agpr_count:     0
    .args:
      - .offset:         0
        .size:           56
        .value_kind:     by_value
    .group_segment_fixed_size: 0
    .kernarg_segment_align: 8
    .kernarg_segment_size: 56
    .language:       OpenCL C
    .language_version:
      - 2
      - 0
    .max_flat_workgroup_size: 1024
    .name:           _ZN7rocprim17ROCPRIM_400000_NS6detail17trampoline_kernelINS0_14default_configENS1_25transform_config_selectorIjLb0EEEZNS1_14transform_implILb0ES3_S5_NS0_18transform_iteratorINS0_17counting_iteratorImlEEZNS1_24adjacent_difference_implIS3_Lb1ELb0EPjN6thrust23THRUST_200600_302600_NS16discard_iteratorINSD_11use_defaultEEENSD_5minusIjEEEE10hipError_tPvRmT2_T3_mT4_P12ihipStream_tbEUlmE_jEESB_NS0_8identityIvEEEESJ_SM_SN_mSO_SQ_bEUlT_E_NS1_11comp_targetILNS1_3genE10ELNS1_11target_archE1201ELNS1_3gpuE5ELNS1_3repE0EEENS1_30default_config_static_selectorELNS0_4arch9wavefront6targetE1EEEvT1_
    .private_segment_fixed_size: 0
    .sgpr_count:     6
    .sgpr_spill_count: 0
    .symbol:         _ZN7rocprim17ROCPRIM_400000_NS6detail17trampoline_kernelINS0_14default_configENS1_25transform_config_selectorIjLb0EEEZNS1_14transform_implILb0ES3_S5_NS0_18transform_iteratorINS0_17counting_iteratorImlEEZNS1_24adjacent_difference_implIS3_Lb1ELb0EPjN6thrust23THRUST_200600_302600_NS16discard_iteratorINSD_11use_defaultEEENSD_5minusIjEEEE10hipError_tPvRmT2_T3_mT4_P12ihipStream_tbEUlmE_jEESB_NS0_8identityIvEEEESJ_SM_SN_mSO_SQ_bEUlT_E_NS1_11comp_targetILNS1_3genE10ELNS1_11target_archE1201ELNS1_3gpuE5ELNS1_3repE0EEENS1_30default_config_static_selectorELNS0_4arch9wavefront6targetE1EEEvT1_.kd
    .uniform_work_group_size: 1
    .uses_dynamic_stack: false
    .vgpr_count:     0
    .vgpr_spill_count: 0
    .wavefront_size: 64
  - .agpr_count:     0
    .args:
      - .offset:         0
        .size:           56
        .value_kind:     by_value
    .group_segment_fixed_size: 0
    .kernarg_segment_align: 8
    .kernarg_segment_size: 56
    .language:       OpenCL C
    .language_version:
      - 2
      - 0
    .max_flat_workgroup_size: 512
    .name:           _ZN7rocprim17ROCPRIM_400000_NS6detail17trampoline_kernelINS0_14default_configENS1_25transform_config_selectorIjLb0EEEZNS1_14transform_implILb0ES3_S5_NS0_18transform_iteratorINS0_17counting_iteratorImlEEZNS1_24adjacent_difference_implIS3_Lb1ELb0EPjN6thrust23THRUST_200600_302600_NS16discard_iteratorINSD_11use_defaultEEENSD_5minusIjEEEE10hipError_tPvRmT2_T3_mT4_P12ihipStream_tbEUlmE_jEESB_NS0_8identityIvEEEESJ_SM_SN_mSO_SQ_bEUlT_E_NS1_11comp_targetILNS1_3genE10ELNS1_11target_archE1200ELNS1_3gpuE4ELNS1_3repE0EEENS1_30default_config_static_selectorELNS0_4arch9wavefront6targetE1EEEvT1_
    .private_segment_fixed_size: 0
    .sgpr_count:     6
    .sgpr_spill_count: 0
    .symbol:         _ZN7rocprim17ROCPRIM_400000_NS6detail17trampoline_kernelINS0_14default_configENS1_25transform_config_selectorIjLb0EEEZNS1_14transform_implILb0ES3_S5_NS0_18transform_iteratorINS0_17counting_iteratorImlEEZNS1_24adjacent_difference_implIS3_Lb1ELb0EPjN6thrust23THRUST_200600_302600_NS16discard_iteratorINSD_11use_defaultEEENSD_5minusIjEEEE10hipError_tPvRmT2_T3_mT4_P12ihipStream_tbEUlmE_jEESB_NS0_8identityIvEEEESJ_SM_SN_mSO_SQ_bEUlT_E_NS1_11comp_targetILNS1_3genE10ELNS1_11target_archE1200ELNS1_3gpuE4ELNS1_3repE0EEENS1_30default_config_static_selectorELNS0_4arch9wavefront6targetE1EEEvT1_.kd
    .uniform_work_group_size: 1
    .uses_dynamic_stack: false
    .vgpr_count:     0
    .vgpr_spill_count: 0
    .wavefront_size: 64
  - .agpr_count:     0
    .args:
      - .offset:         0
        .size:           56
        .value_kind:     by_value
    .group_segment_fixed_size: 0
    .kernarg_segment_align: 8
    .kernarg_segment_size: 56
    .language:       OpenCL C
    .language_version:
      - 2
      - 0
    .max_flat_workgroup_size: 64
    .name:           _ZN7rocprim17ROCPRIM_400000_NS6detail17trampoline_kernelINS0_14default_configENS1_25transform_config_selectorIjLb0EEEZNS1_14transform_implILb0ES3_S5_NS0_18transform_iteratorINS0_17counting_iteratorImlEEZNS1_24adjacent_difference_implIS3_Lb1ELb0EPjN6thrust23THRUST_200600_302600_NS16discard_iteratorINSD_11use_defaultEEENSD_5minusIjEEEE10hipError_tPvRmT2_T3_mT4_P12ihipStream_tbEUlmE_jEESB_NS0_8identityIvEEEESJ_SM_SN_mSO_SQ_bEUlT_E_NS1_11comp_targetILNS1_3genE9ELNS1_11target_archE1100ELNS1_3gpuE3ELNS1_3repE0EEENS1_30default_config_static_selectorELNS0_4arch9wavefront6targetE1EEEvT1_
    .private_segment_fixed_size: 0
    .sgpr_count:     6
    .sgpr_spill_count: 0
    .symbol:         _ZN7rocprim17ROCPRIM_400000_NS6detail17trampoline_kernelINS0_14default_configENS1_25transform_config_selectorIjLb0EEEZNS1_14transform_implILb0ES3_S5_NS0_18transform_iteratorINS0_17counting_iteratorImlEEZNS1_24adjacent_difference_implIS3_Lb1ELb0EPjN6thrust23THRUST_200600_302600_NS16discard_iteratorINSD_11use_defaultEEENSD_5minusIjEEEE10hipError_tPvRmT2_T3_mT4_P12ihipStream_tbEUlmE_jEESB_NS0_8identityIvEEEESJ_SM_SN_mSO_SQ_bEUlT_E_NS1_11comp_targetILNS1_3genE9ELNS1_11target_archE1100ELNS1_3gpuE3ELNS1_3repE0EEENS1_30default_config_static_selectorELNS0_4arch9wavefront6targetE1EEEvT1_.kd
    .uniform_work_group_size: 1
    .uses_dynamic_stack: false
    .vgpr_count:     0
    .vgpr_spill_count: 0
    .wavefront_size: 64
  - .agpr_count:     0
    .args:
      - .offset:         0
        .size:           56
        .value_kind:     by_value
    .group_segment_fixed_size: 0
    .kernarg_segment_align: 8
    .kernarg_segment_size: 56
    .language:       OpenCL C
    .language_version:
      - 2
      - 0
    .max_flat_workgroup_size: 256
    .name:           _ZN7rocprim17ROCPRIM_400000_NS6detail17trampoline_kernelINS0_14default_configENS1_25transform_config_selectorIjLb0EEEZNS1_14transform_implILb0ES3_S5_NS0_18transform_iteratorINS0_17counting_iteratorImlEEZNS1_24adjacent_difference_implIS3_Lb1ELb0EPjN6thrust23THRUST_200600_302600_NS16discard_iteratorINSD_11use_defaultEEENSD_5minusIjEEEE10hipError_tPvRmT2_T3_mT4_P12ihipStream_tbEUlmE_jEESB_NS0_8identityIvEEEESJ_SM_SN_mSO_SQ_bEUlT_E_NS1_11comp_targetILNS1_3genE8ELNS1_11target_archE1030ELNS1_3gpuE2ELNS1_3repE0EEENS1_30default_config_static_selectorELNS0_4arch9wavefront6targetE1EEEvT1_
    .private_segment_fixed_size: 0
    .sgpr_count:     6
    .sgpr_spill_count: 0
    .symbol:         _ZN7rocprim17ROCPRIM_400000_NS6detail17trampoline_kernelINS0_14default_configENS1_25transform_config_selectorIjLb0EEEZNS1_14transform_implILb0ES3_S5_NS0_18transform_iteratorINS0_17counting_iteratorImlEEZNS1_24adjacent_difference_implIS3_Lb1ELb0EPjN6thrust23THRUST_200600_302600_NS16discard_iteratorINSD_11use_defaultEEENSD_5minusIjEEEE10hipError_tPvRmT2_T3_mT4_P12ihipStream_tbEUlmE_jEESB_NS0_8identityIvEEEESJ_SM_SN_mSO_SQ_bEUlT_E_NS1_11comp_targetILNS1_3genE8ELNS1_11target_archE1030ELNS1_3gpuE2ELNS1_3repE0EEENS1_30default_config_static_selectorELNS0_4arch9wavefront6targetE1EEEvT1_.kd
    .uniform_work_group_size: 1
    .uses_dynamic_stack: false
    .vgpr_count:     0
    .vgpr_spill_count: 0
    .wavefront_size: 64
  - .agpr_count:     0
    .args:
      - .offset:         0
        .size:           64
        .value_kind:     by_value
    .group_segment_fixed_size: 0
    .kernarg_segment_align: 8
    .kernarg_segment_size: 64
    .language:       OpenCL C
    .language_version:
      - 2
      - 0
    .max_flat_workgroup_size: 1024
    .name:           _ZN7rocprim17ROCPRIM_400000_NS6detail17trampoline_kernelINS0_14default_configENS1_35adjacent_difference_config_selectorILb1EjEEZNS1_24adjacent_difference_implIS3_Lb1ELb0EPjN6thrust23THRUST_200600_302600_NS16discard_iteratorINS9_11use_defaultEEENS9_5minusIjEEEE10hipError_tPvRmT2_T3_mT4_P12ihipStream_tbEUlT_E_NS1_11comp_targetILNS1_3genE0ELNS1_11target_archE4294967295ELNS1_3gpuE0ELNS1_3repE0EEENS1_30default_config_static_selectorELNS0_4arch9wavefront6targetE1EEEvT1_
    .private_segment_fixed_size: 0
    .sgpr_count:     6
    .sgpr_spill_count: 0
    .symbol:         _ZN7rocprim17ROCPRIM_400000_NS6detail17trampoline_kernelINS0_14default_configENS1_35adjacent_difference_config_selectorILb1EjEEZNS1_24adjacent_difference_implIS3_Lb1ELb0EPjN6thrust23THRUST_200600_302600_NS16discard_iteratorINS9_11use_defaultEEENS9_5minusIjEEEE10hipError_tPvRmT2_T3_mT4_P12ihipStream_tbEUlT_E_NS1_11comp_targetILNS1_3genE0ELNS1_11target_archE4294967295ELNS1_3gpuE0ELNS1_3repE0EEENS1_30default_config_static_selectorELNS0_4arch9wavefront6targetE1EEEvT1_.kd
    .uniform_work_group_size: 1
    .uses_dynamic_stack: false
    .vgpr_count:     0
    .vgpr_spill_count: 0
    .wavefront_size: 64
  - .agpr_count:     0
    .args:
      - .offset:         0
        .size:           64
        .value_kind:     by_value
    .group_segment_fixed_size: 0
    .kernarg_segment_align: 8
    .kernarg_segment_size: 64
    .language:       OpenCL C
    .language_version:
      - 2
      - 0
    .max_flat_workgroup_size: 32
    .name:           _ZN7rocprim17ROCPRIM_400000_NS6detail17trampoline_kernelINS0_14default_configENS1_35adjacent_difference_config_selectorILb1EjEEZNS1_24adjacent_difference_implIS3_Lb1ELb0EPjN6thrust23THRUST_200600_302600_NS16discard_iteratorINS9_11use_defaultEEENS9_5minusIjEEEE10hipError_tPvRmT2_T3_mT4_P12ihipStream_tbEUlT_E_NS1_11comp_targetILNS1_3genE10ELNS1_11target_archE1201ELNS1_3gpuE5ELNS1_3repE0EEENS1_30default_config_static_selectorELNS0_4arch9wavefront6targetE1EEEvT1_
    .private_segment_fixed_size: 0
    .sgpr_count:     6
    .sgpr_spill_count: 0
    .symbol:         _ZN7rocprim17ROCPRIM_400000_NS6detail17trampoline_kernelINS0_14default_configENS1_35adjacent_difference_config_selectorILb1EjEEZNS1_24adjacent_difference_implIS3_Lb1ELb0EPjN6thrust23THRUST_200600_302600_NS16discard_iteratorINS9_11use_defaultEEENS9_5minusIjEEEE10hipError_tPvRmT2_T3_mT4_P12ihipStream_tbEUlT_E_NS1_11comp_targetILNS1_3genE10ELNS1_11target_archE1201ELNS1_3gpuE5ELNS1_3repE0EEENS1_30default_config_static_selectorELNS0_4arch9wavefront6targetE1EEEvT1_.kd
    .uniform_work_group_size: 1
    .uses_dynamic_stack: false
    .vgpr_count:     0
    .vgpr_spill_count: 0
    .wavefront_size: 64
  - .agpr_count:     0
    .args:
      - .offset:         0
        .size:           64
        .value_kind:     by_value
    .group_segment_fixed_size: 10240
    .kernarg_segment_align: 8
    .kernarg_segment_size: 64
    .language:       OpenCL C
    .language_version:
      - 2
      - 0
    .max_flat_workgroup_size: 512
    .name:           _ZN7rocprim17ROCPRIM_400000_NS6detail17trampoline_kernelINS0_14default_configENS1_35adjacent_difference_config_selectorILb1EjEEZNS1_24adjacent_difference_implIS3_Lb1ELb0EPjN6thrust23THRUST_200600_302600_NS16discard_iteratorINS9_11use_defaultEEENS9_5minusIjEEEE10hipError_tPvRmT2_T3_mT4_P12ihipStream_tbEUlT_E_NS1_11comp_targetILNS1_3genE5ELNS1_11target_archE942ELNS1_3gpuE9ELNS1_3repE0EEENS1_30default_config_static_selectorELNS0_4arch9wavefront6targetE1EEEvT1_
    .private_segment_fixed_size: 0
    .sgpr_count:     27
    .sgpr_spill_count: 0
    .symbol:         _ZN7rocprim17ROCPRIM_400000_NS6detail17trampoline_kernelINS0_14default_configENS1_35adjacent_difference_config_selectorILb1EjEEZNS1_24adjacent_difference_implIS3_Lb1ELb0EPjN6thrust23THRUST_200600_302600_NS16discard_iteratorINS9_11use_defaultEEENS9_5minusIjEEEE10hipError_tPvRmT2_T3_mT4_P12ihipStream_tbEUlT_E_NS1_11comp_targetILNS1_3genE5ELNS1_11target_archE942ELNS1_3gpuE9ELNS1_3repE0EEENS1_30default_config_static_selectorELNS0_4arch9wavefront6targetE1EEEvT1_.kd
    .uniform_work_group_size: 1
    .uses_dynamic_stack: false
    .vgpr_count:     16
    .vgpr_spill_count: 0
    .wavefront_size: 64
  - .agpr_count:     0
    .args:
      - .offset:         0
        .size:           64
        .value_kind:     by_value
    .group_segment_fixed_size: 0
    .kernarg_segment_align: 8
    .kernarg_segment_size: 64
    .language:       OpenCL C
    .language_version:
      - 2
      - 0
    .max_flat_workgroup_size: 512
    .name:           _ZN7rocprim17ROCPRIM_400000_NS6detail17trampoline_kernelINS0_14default_configENS1_35adjacent_difference_config_selectorILb1EjEEZNS1_24adjacent_difference_implIS3_Lb1ELb0EPjN6thrust23THRUST_200600_302600_NS16discard_iteratorINS9_11use_defaultEEENS9_5minusIjEEEE10hipError_tPvRmT2_T3_mT4_P12ihipStream_tbEUlT_E_NS1_11comp_targetILNS1_3genE4ELNS1_11target_archE910ELNS1_3gpuE8ELNS1_3repE0EEENS1_30default_config_static_selectorELNS0_4arch9wavefront6targetE1EEEvT1_
    .private_segment_fixed_size: 0
    .sgpr_count:     6
    .sgpr_spill_count: 0
    .symbol:         _ZN7rocprim17ROCPRIM_400000_NS6detail17trampoline_kernelINS0_14default_configENS1_35adjacent_difference_config_selectorILb1EjEEZNS1_24adjacent_difference_implIS3_Lb1ELb0EPjN6thrust23THRUST_200600_302600_NS16discard_iteratorINS9_11use_defaultEEENS9_5minusIjEEEE10hipError_tPvRmT2_T3_mT4_P12ihipStream_tbEUlT_E_NS1_11comp_targetILNS1_3genE4ELNS1_11target_archE910ELNS1_3gpuE8ELNS1_3repE0EEENS1_30default_config_static_selectorELNS0_4arch9wavefront6targetE1EEEvT1_.kd
    .uniform_work_group_size: 1
    .uses_dynamic_stack: false
    .vgpr_count:     0
    .vgpr_spill_count: 0
    .wavefront_size: 64
  - .agpr_count:     0
    .args:
      - .offset:         0
        .size:           64
        .value_kind:     by_value
    .group_segment_fixed_size: 0
    .kernarg_segment_align: 8
    .kernarg_segment_size: 64
    .language:       OpenCL C
    .language_version:
      - 2
      - 0
    .max_flat_workgroup_size: 1024
    .name:           _ZN7rocprim17ROCPRIM_400000_NS6detail17trampoline_kernelINS0_14default_configENS1_35adjacent_difference_config_selectorILb1EjEEZNS1_24adjacent_difference_implIS3_Lb1ELb0EPjN6thrust23THRUST_200600_302600_NS16discard_iteratorINS9_11use_defaultEEENS9_5minusIjEEEE10hipError_tPvRmT2_T3_mT4_P12ihipStream_tbEUlT_E_NS1_11comp_targetILNS1_3genE3ELNS1_11target_archE908ELNS1_3gpuE7ELNS1_3repE0EEENS1_30default_config_static_selectorELNS0_4arch9wavefront6targetE1EEEvT1_
    .private_segment_fixed_size: 0
    .sgpr_count:     6
    .sgpr_spill_count: 0
    .symbol:         _ZN7rocprim17ROCPRIM_400000_NS6detail17trampoline_kernelINS0_14default_configENS1_35adjacent_difference_config_selectorILb1EjEEZNS1_24adjacent_difference_implIS3_Lb1ELb0EPjN6thrust23THRUST_200600_302600_NS16discard_iteratorINS9_11use_defaultEEENS9_5minusIjEEEE10hipError_tPvRmT2_T3_mT4_P12ihipStream_tbEUlT_E_NS1_11comp_targetILNS1_3genE3ELNS1_11target_archE908ELNS1_3gpuE7ELNS1_3repE0EEENS1_30default_config_static_selectorELNS0_4arch9wavefront6targetE1EEEvT1_.kd
    .uniform_work_group_size: 1
    .uses_dynamic_stack: false
    .vgpr_count:     0
    .vgpr_spill_count: 0
    .wavefront_size: 64
  - .agpr_count:     0
    .args:
      - .offset:         0
        .size:           64
        .value_kind:     by_value
    .group_segment_fixed_size: 0
    .kernarg_segment_align: 8
    .kernarg_segment_size: 64
    .language:       OpenCL C
    .language_version:
      - 2
      - 0
    .max_flat_workgroup_size: 256
    .name:           _ZN7rocprim17ROCPRIM_400000_NS6detail17trampoline_kernelINS0_14default_configENS1_35adjacent_difference_config_selectorILb1EjEEZNS1_24adjacent_difference_implIS3_Lb1ELb0EPjN6thrust23THRUST_200600_302600_NS16discard_iteratorINS9_11use_defaultEEENS9_5minusIjEEEE10hipError_tPvRmT2_T3_mT4_P12ihipStream_tbEUlT_E_NS1_11comp_targetILNS1_3genE2ELNS1_11target_archE906ELNS1_3gpuE6ELNS1_3repE0EEENS1_30default_config_static_selectorELNS0_4arch9wavefront6targetE1EEEvT1_
    .private_segment_fixed_size: 0
    .sgpr_count:     6
    .sgpr_spill_count: 0
    .symbol:         _ZN7rocprim17ROCPRIM_400000_NS6detail17trampoline_kernelINS0_14default_configENS1_35adjacent_difference_config_selectorILb1EjEEZNS1_24adjacent_difference_implIS3_Lb1ELb0EPjN6thrust23THRUST_200600_302600_NS16discard_iteratorINS9_11use_defaultEEENS9_5minusIjEEEE10hipError_tPvRmT2_T3_mT4_P12ihipStream_tbEUlT_E_NS1_11comp_targetILNS1_3genE2ELNS1_11target_archE906ELNS1_3gpuE6ELNS1_3repE0EEENS1_30default_config_static_selectorELNS0_4arch9wavefront6targetE1EEEvT1_.kd
    .uniform_work_group_size: 1
    .uses_dynamic_stack: false
    .vgpr_count:     0
    .vgpr_spill_count: 0
    .wavefront_size: 64
  - .agpr_count:     0
    .args:
      - .offset:         0
        .size:           64
        .value_kind:     by_value
    .group_segment_fixed_size: 0
    .kernarg_segment_align: 8
    .kernarg_segment_size: 64
    .language:       OpenCL C
    .language_version:
      - 2
      - 0
    .max_flat_workgroup_size: 128
    .name:           _ZN7rocprim17ROCPRIM_400000_NS6detail17trampoline_kernelINS0_14default_configENS1_35adjacent_difference_config_selectorILb1EjEEZNS1_24adjacent_difference_implIS3_Lb1ELb0EPjN6thrust23THRUST_200600_302600_NS16discard_iteratorINS9_11use_defaultEEENS9_5minusIjEEEE10hipError_tPvRmT2_T3_mT4_P12ihipStream_tbEUlT_E_NS1_11comp_targetILNS1_3genE9ELNS1_11target_archE1100ELNS1_3gpuE3ELNS1_3repE0EEENS1_30default_config_static_selectorELNS0_4arch9wavefront6targetE1EEEvT1_
    .private_segment_fixed_size: 0
    .sgpr_count:     6
    .sgpr_spill_count: 0
    .symbol:         _ZN7rocprim17ROCPRIM_400000_NS6detail17trampoline_kernelINS0_14default_configENS1_35adjacent_difference_config_selectorILb1EjEEZNS1_24adjacent_difference_implIS3_Lb1ELb0EPjN6thrust23THRUST_200600_302600_NS16discard_iteratorINS9_11use_defaultEEENS9_5minusIjEEEE10hipError_tPvRmT2_T3_mT4_P12ihipStream_tbEUlT_E_NS1_11comp_targetILNS1_3genE9ELNS1_11target_archE1100ELNS1_3gpuE3ELNS1_3repE0EEENS1_30default_config_static_selectorELNS0_4arch9wavefront6targetE1EEEvT1_.kd
    .uniform_work_group_size: 1
    .uses_dynamic_stack: false
    .vgpr_count:     0
    .vgpr_spill_count: 0
    .wavefront_size: 64
  - .agpr_count:     0
    .args:
      - .offset:         0
        .size:           64
        .value_kind:     by_value
    .group_segment_fixed_size: 0
    .kernarg_segment_align: 8
    .kernarg_segment_size: 64
    .language:       OpenCL C
    .language_version:
      - 2
      - 0
    .max_flat_workgroup_size: 32
    .name:           _ZN7rocprim17ROCPRIM_400000_NS6detail17trampoline_kernelINS0_14default_configENS1_35adjacent_difference_config_selectorILb1EjEEZNS1_24adjacent_difference_implIS3_Lb1ELb0EPjN6thrust23THRUST_200600_302600_NS16discard_iteratorINS9_11use_defaultEEENS9_5minusIjEEEE10hipError_tPvRmT2_T3_mT4_P12ihipStream_tbEUlT_E_NS1_11comp_targetILNS1_3genE8ELNS1_11target_archE1030ELNS1_3gpuE2ELNS1_3repE0EEENS1_30default_config_static_selectorELNS0_4arch9wavefront6targetE1EEEvT1_
    .private_segment_fixed_size: 0
    .sgpr_count:     6
    .sgpr_spill_count: 0
    .symbol:         _ZN7rocprim17ROCPRIM_400000_NS6detail17trampoline_kernelINS0_14default_configENS1_35adjacent_difference_config_selectorILb1EjEEZNS1_24adjacent_difference_implIS3_Lb1ELb0EPjN6thrust23THRUST_200600_302600_NS16discard_iteratorINS9_11use_defaultEEENS9_5minusIjEEEE10hipError_tPvRmT2_T3_mT4_P12ihipStream_tbEUlT_E_NS1_11comp_targetILNS1_3genE8ELNS1_11target_archE1030ELNS1_3gpuE2ELNS1_3repE0EEENS1_30default_config_static_selectorELNS0_4arch9wavefront6targetE1EEEvT1_.kd
    .uniform_work_group_size: 1
    .uses_dynamic_stack: false
    .vgpr_count:     0
    .vgpr_spill_count: 0
    .wavefront_size: 64
  - .agpr_count:     0
    .args:
      - .offset:         0
        .size:           56
        .value_kind:     by_value
    .group_segment_fixed_size: 0
    .kernarg_segment_align: 8
    .kernarg_segment_size: 56
    .language:       OpenCL C
    .language_version:
      - 2
      - 0
    .max_flat_workgroup_size: 128
    .name:           _ZN7rocprim17ROCPRIM_400000_NS6detail17trampoline_kernelINS0_14default_configENS1_25transform_config_selectorIfLb0EEEZNS1_14transform_implILb0ES3_S5_NS0_18transform_iteratorINS0_17counting_iteratorImlEEZNS1_24adjacent_difference_implIS3_Lb1ELb0EPfN6thrust23THRUST_200600_302600_NS16discard_iteratorINSD_11use_defaultEEENSD_5minusIfEEEE10hipError_tPvRmT2_T3_mT4_P12ihipStream_tbEUlmE_fEESB_NS0_8identityIvEEEESJ_SM_SN_mSO_SQ_bEUlT_E_NS1_11comp_targetILNS1_3genE0ELNS1_11target_archE4294967295ELNS1_3gpuE0ELNS1_3repE0EEENS1_30default_config_static_selectorELNS0_4arch9wavefront6targetE1EEEvT1_
    .private_segment_fixed_size: 0
    .sgpr_count:     6
    .sgpr_spill_count: 0
    .symbol:         _ZN7rocprim17ROCPRIM_400000_NS6detail17trampoline_kernelINS0_14default_configENS1_25transform_config_selectorIfLb0EEEZNS1_14transform_implILb0ES3_S5_NS0_18transform_iteratorINS0_17counting_iteratorImlEEZNS1_24adjacent_difference_implIS3_Lb1ELb0EPfN6thrust23THRUST_200600_302600_NS16discard_iteratorINSD_11use_defaultEEENSD_5minusIfEEEE10hipError_tPvRmT2_T3_mT4_P12ihipStream_tbEUlmE_fEESB_NS0_8identityIvEEEESJ_SM_SN_mSO_SQ_bEUlT_E_NS1_11comp_targetILNS1_3genE0ELNS1_11target_archE4294967295ELNS1_3gpuE0ELNS1_3repE0EEENS1_30default_config_static_selectorELNS0_4arch9wavefront6targetE1EEEvT1_.kd
    .uniform_work_group_size: 1
    .uses_dynamic_stack: false
    .vgpr_count:     0
    .vgpr_spill_count: 0
    .wavefront_size: 64
  - .agpr_count:     0
    .args:
      - .offset:         0
        .size:           56
        .value_kind:     by_value
      - .offset:         56
        .size:           4
        .value_kind:     hidden_block_count_x
      - .offset:         60
        .size:           4
        .value_kind:     hidden_block_count_y
      - .offset:         64
        .size:           4
        .value_kind:     hidden_block_count_z
      - .offset:         68
        .size:           2
        .value_kind:     hidden_group_size_x
      - .offset:         70
        .size:           2
        .value_kind:     hidden_group_size_y
      - .offset:         72
        .size:           2
        .value_kind:     hidden_group_size_z
      - .offset:         74
        .size:           2
        .value_kind:     hidden_remainder_x
      - .offset:         76
        .size:           2
        .value_kind:     hidden_remainder_y
      - .offset:         78
        .size:           2
        .value_kind:     hidden_remainder_z
      - .offset:         96
        .size:           8
        .value_kind:     hidden_global_offset_x
      - .offset:         104
        .size:           8
        .value_kind:     hidden_global_offset_y
      - .offset:         112
        .size:           8
        .value_kind:     hidden_global_offset_z
      - .offset:         120
        .size:           2
        .value_kind:     hidden_grid_dims
    .group_segment_fixed_size: 0
    .kernarg_segment_align: 8
    .kernarg_segment_size: 312
    .language:       OpenCL C
    .language_version:
      - 2
      - 0
    .max_flat_workgroup_size: 256
    .name:           _ZN7rocprim17ROCPRIM_400000_NS6detail17trampoline_kernelINS0_14default_configENS1_25transform_config_selectorIfLb0EEEZNS1_14transform_implILb0ES3_S5_NS0_18transform_iteratorINS0_17counting_iteratorImlEEZNS1_24adjacent_difference_implIS3_Lb1ELb0EPfN6thrust23THRUST_200600_302600_NS16discard_iteratorINSD_11use_defaultEEENSD_5minusIfEEEE10hipError_tPvRmT2_T3_mT4_P12ihipStream_tbEUlmE_fEESB_NS0_8identityIvEEEESJ_SM_SN_mSO_SQ_bEUlT_E_NS1_11comp_targetILNS1_3genE5ELNS1_11target_archE942ELNS1_3gpuE9ELNS1_3repE0EEENS1_30default_config_static_selectorELNS0_4arch9wavefront6targetE1EEEvT1_
    .private_segment_fixed_size: 0
    .sgpr_count:     28
    .sgpr_spill_count: 0
    .symbol:         _ZN7rocprim17ROCPRIM_400000_NS6detail17trampoline_kernelINS0_14default_configENS1_25transform_config_selectorIfLb0EEEZNS1_14transform_implILb0ES3_S5_NS0_18transform_iteratorINS0_17counting_iteratorImlEEZNS1_24adjacent_difference_implIS3_Lb1ELb0EPfN6thrust23THRUST_200600_302600_NS16discard_iteratorINSD_11use_defaultEEENSD_5minusIfEEEE10hipError_tPvRmT2_T3_mT4_P12ihipStream_tbEUlmE_fEESB_NS0_8identityIvEEEESJ_SM_SN_mSO_SQ_bEUlT_E_NS1_11comp_targetILNS1_3genE5ELNS1_11target_archE942ELNS1_3gpuE9ELNS1_3repE0EEENS1_30default_config_static_selectorELNS0_4arch9wavefront6targetE1EEEvT1_.kd
    .uniform_work_group_size: 1
    .uses_dynamic_stack: false
    .vgpr_count:     13
    .vgpr_spill_count: 0
    .wavefront_size: 64
  - .agpr_count:     0
    .args:
      - .offset:         0
        .size:           56
        .value_kind:     by_value
    .group_segment_fixed_size: 0
    .kernarg_segment_align: 8
    .kernarg_segment_size: 56
    .language:       OpenCL C
    .language_version:
      - 2
      - 0
    .max_flat_workgroup_size: 1024
    .name:           _ZN7rocprim17ROCPRIM_400000_NS6detail17trampoline_kernelINS0_14default_configENS1_25transform_config_selectorIfLb0EEEZNS1_14transform_implILb0ES3_S5_NS0_18transform_iteratorINS0_17counting_iteratorImlEEZNS1_24adjacent_difference_implIS3_Lb1ELb0EPfN6thrust23THRUST_200600_302600_NS16discard_iteratorINSD_11use_defaultEEENSD_5minusIfEEEE10hipError_tPvRmT2_T3_mT4_P12ihipStream_tbEUlmE_fEESB_NS0_8identityIvEEEESJ_SM_SN_mSO_SQ_bEUlT_E_NS1_11comp_targetILNS1_3genE4ELNS1_11target_archE910ELNS1_3gpuE8ELNS1_3repE0EEENS1_30default_config_static_selectorELNS0_4arch9wavefront6targetE1EEEvT1_
    .private_segment_fixed_size: 0
    .sgpr_count:     6
    .sgpr_spill_count: 0
    .symbol:         _ZN7rocprim17ROCPRIM_400000_NS6detail17trampoline_kernelINS0_14default_configENS1_25transform_config_selectorIfLb0EEEZNS1_14transform_implILb0ES3_S5_NS0_18transform_iteratorINS0_17counting_iteratorImlEEZNS1_24adjacent_difference_implIS3_Lb1ELb0EPfN6thrust23THRUST_200600_302600_NS16discard_iteratorINSD_11use_defaultEEENSD_5minusIfEEEE10hipError_tPvRmT2_T3_mT4_P12ihipStream_tbEUlmE_fEESB_NS0_8identityIvEEEESJ_SM_SN_mSO_SQ_bEUlT_E_NS1_11comp_targetILNS1_3genE4ELNS1_11target_archE910ELNS1_3gpuE8ELNS1_3repE0EEENS1_30default_config_static_selectorELNS0_4arch9wavefront6targetE1EEEvT1_.kd
    .uniform_work_group_size: 1
    .uses_dynamic_stack: false
    .vgpr_count:     0
    .vgpr_spill_count: 0
    .wavefront_size: 64
  - .agpr_count:     0
    .args:
      - .offset:         0
        .size:           56
        .value_kind:     by_value
    .group_segment_fixed_size: 0
    .kernarg_segment_align: 8
    .kernarg_segment_size: 56
    .language:       OpenCL C
    .language_version:
      - 2
      - 0
    .max_flat_workgroup_size: 128
    .name:           _ZN7rocprim17ROCPRIM_400000_NS6detail17trampoline_kernelINS0_14default_configENS1_25transform_config_selectorIfLb0EEEZNS1_14transform_implILb0ES3_S5_NS0_18transform_iteratorINS0_17counting_iteratorImlEEZNS1_24adjacent_difference_implIS3_Lb1ELb0EPfN6thrust23THRUST_200600_302600_NS16discard_iteratorINSD_11use_defaultEEENSD_5minusIfEEEE10hipError_tPvRmT2_T3_mT4_P12ihipStream_tbEUlmE_fEESB_NS0_8identityIvEEEESJ_SM_SN_mSO_SQ_bEUlT_E_NS1_11comp_targetILNS1_3genE3ELNS1_11target_archE908ELNS1_3gpuE7ELNS1_3repE0EEENS1_30default_config_static_selectorELNS0_4arch9wavefront6targetE1EEEvT1_
    .private_segment_fixed_size: 0
    .sgpr_count:     6
    .sgpr_spill_count: 0
    .symbol:         _ZN7rocprim17ROCPRIM_400000_NS6detail17trampoline_kernelINS0_14default_configENS1_25transform_config_selectorIfLb0EEEZNS1_14transform_implILb0ES3_S5_NS0_18transform_iteratorINS0_17counting_iteratorImlEEZNS1_24adjacent_difference_implIS3_Lb1ELb0EPfN6thrust23THRUST_200600_302600_NS16discard_iteratorINSD_11use_defaultEEENSD_5minusIfEEEE10hipError_tPvRmT2_T3_mT4_P12ihipStream_tbEUlmE_fEESB_NS0_8identityIvEEEESJ_SM_SN_mSO_SQ_bEUlT_E_NS1_11comp_targetILNS1_3genE3ELNS1_11target_archE908ELNS1_3gpuE7ELNS1_3repE0EEENS1_30default_config_static_selectorELNS0_4arch9wavefront6targetE1EEEvT1_.kd
    .uniform_work_group_size: 1
    .uses_dynamic_stack: false
    .vgpr_count:     0
    .vgpr_spill_count: 0
    .wavefront_size: 64
  - .agpr_count:     0
    .args:
      - .offset:         0
        .size:           56
        .value_kind:     by_value
    .group_segment_fixed_size: 0
    .kernarg_segment_align: 8
    .kernarg_segment_size: 56
    .language:       OpenCL C
    .language_version:
      - 2
      - 0
    .max_flat_workgroup_size: 1024
    .name:           _ZN7rocprim17ROCPRIM_400000_NS6detail17trampoline_kernelINS0_14default_configENS1_25transform_config_selectorIfLb0EEEZNS1_14transform_implILb0ES3_S5_NS0_18transform_iteratorINS0_17counting_iteratorImlEEZNS1_24adjacent_difference_implIS3_Lb1ELb0EPfN6thrust23THRUST_200600_302600_NS16discard_iteratorINSD_11use_defaultEEENSD_5minusIfEEEE10hipError_tPvRmT2_T3_mT4_P12ihipStream_tbEUlmE_fEESB_NS0_8identityIvEEEESJ_SM_SN_mSO_SQ_bEUlT_E_NS1_11comp_targetILNS1_3genE2ELNS1_11target_archE906ELNS1_3gpuE6ELNS1_3repE0EEENS1_30default_config_static_selectorELNS0_4arch9wavefront6targetE1EEEvT1_
    .private_segment_fixed_size: 0
    .sgpr_count:     6
    .sgpr_spill_count: 0
    .symbol:         _ZN7rocprim17ROCPRIM_400000_NS6detail17trampoline_kernelINS0_14default_configENS1_25transform_config_selectorIfLb0EEEZNS1_14transform_implILb0ES3_S5_NS0_18transform_iteratorINS0_17counting_iteratorImlEEZNS1_24adjacent_difference_implIS3_Lb1ELb0EPfN6thrust23THRUST_200600_302600_NS16discard_iteratorINSD_11use_defaultEEENSD_5minusIfEEEE10hipError_tPvRmT2_T3_mT4_P12ihipStream_tbEUlmE_fEESB_NS0_8identityIvEEEESJ_SM_SN_mSO_SQ_bEUlT_E_NS1_11comp_targetILNS1_3genE2ELNS1_11target_archE906ELNS1_3gpuE6ELNS1_3repE0EEENS1_30default_config_static_selectorELNS0_4arch9wavefront6targetE1EEEvT1_.kd
    .uniform_work_group_size: 1
    .uses_dynamic_stack: false
    .vgpr_count:     0
    .vgpr_spill_count: 0
    .wavefront_size: 64
  - .agpr_count:     0
    .args:
      - .offset:         0
        .size:           56
        .value_kind:     by_value
    .group_segment_fixed_size: 0
    .kernarg_segment_align: 8
    .kernarg_segment_size: 56
    .language:       OpenCL C
    .language_version:
      - 2
      - 0
    .max_flat_workgroup_size: 512
    .name:           _ZN7rocprim17ROCPRIM_400000_NS6detail17trampoline_kernelINS0_14default_configENS1_25transform_config_selectorIfLb0EEEZNS1_14transform_implILb0ES3_S5_NS0_18transform_iteratorINS0_17counting_iteratorImlEEZNS1_24adjacent_difference_implIS3_Lb1ELb0EPfN6thrust23THRUST_200600_302600_NS16discard_iteratorINSD_11use_defaultEEENSD_5minusIfEEEE10hipError_tPvRmT2_T3_mT4_P12ihipStream_tbEUlmE_fEESB_NS0_8identityIvEEEESJ_SM_SN_mSO_SQ_bEUlT_E_NS1_11comp_targetILNS1_3genE10ELNS1_11target_archE1201ELNS1_3gpuE5ELNS1_3repE0EEENS1_30default_config_static_selectorELNS0_4arch9wavefront6targetE1EEEvT1_
    .private_segment_fixed_size: 0
    .sgpr_count:     6
    .sgpr_spill_count: 0
    .symbol:         _ZN7rocprim17ROCPRIM_400000_NS6detail17trampoline_kernelINS0_14default_configENS1_25transform_config_selectorIfLb0EEEZNS1_14transform_implILb0ES3_S5_NS0_18transform_iteratorINS0_17counting_iteratorImlEEZNS1_24adjacent_difference_implIS3_Lb1ELb0EPfN6thrust23THRUST_200600_302600_NS16discard_iteratorINSD_11use_defaultEEENSD_5minusIfEEEE10hipError_tPvRmT2_T3_mT4_P12ihipStream_tbEUlmE_fEESB_NS0_8identityIvEEEESJ_SM_SN_mSO_SQ_bEUlT_E_NS1_11comp_targetILNS1_3genE10ELNS1_11target_archE1201ELNS1_3gpuE5ELNS1_3repE0EEENS1_30default_config_static_selectorELNS0_4arch9wavefront6targetE1EEEvT1_.kd
    .uniform_work_group_size: 1
    .uses_dynamic_stack: false
    .vgpr_count:     0
    .vgpr_spill_count: 0
    .wavefront_size: 64
  - .agpr_count:     0
    .args:
      - .offset:         0
        .size:           56
        .value_kind:     by_value
    .group_segment_fixed_size: 0
    .kernarg_segment_align: 8
    .kernarg_segment_size: 56
    .language:       OpenCL C
    .language_version:
      - 2
      - 0
    .max_flat_workgroup_size: 512
    .name:           _ZN7rocprim17ROCPRIM_400000_NS6detail17trampoline_kernelINS0_14default_configENS1_25transform_config_selectorIfLb0EEEZNS1_14transform_implILb0ES3_S5_NS0_18transform_iteratorINS0_17counting_iteratorImlEEZNS1_24adjacent_difference_implIS3_Lb1ELb0EPfN6thrust23THRUST_200600_302600_NS16discard_iteratorINSD_11use_defaultEEENSD_5minusIfEEEE10hipError_tPvRmT2_T3_mT4_P12ihipStream_tbEUlmE_fEESB_NS0_8identityIvEEEESJ_SM_SN_mSO_SQ_bEUlT_E_NS1_11comp_targetILNS1_3genE10ELNS1_11target_archE1200ELNS1_3gpuE4ELNS1_3repE0EEENS1_30default_config_static_selectorELNS0_4arch9wavefront6targetE1EEEvT1_
    .private_segment_fixed_size: 0
    .sgpr_count:     6
    .sgpr_spill_count: 0
    .symbol:         _ZN7rocprim17ROCPRIM_400000_NS6detail17trampoline_kernelINS0_14default_configENS1_25transform_config_selectorIfLb0EEEZNS1_14transform_implILb0ES3_S5_NS0_18transform_iteratorINS0_17counting_iteratorImlEEZNS1_24adjacent_difference_implIS3_Lb1ELb0EPfN6thrust23THRUST_200600_302600_NS16discard_iteratorINSD_11use_defaultEEENSD_5minusIfEEEE10hipError_tPvRmT2_T3_mT4_P12ihipStream_tbEUlmE_fEESB_NS0_8identityIvEEEESJ_SM_SN_mSO_SQ_bEUlT_E_NS1_11comp_targetILNS1_3genE10ELNS1_11target_archE1200ELNS1_3gpuE4ELNS1_3repE0EEENS1_30default_config_static_selectorELNS0_4arch9wavefront6targetE1EEEvT1_.kd
    .uniform_work_group_size: 1
    .uses_dynamic_stack: false
    .vgpr_count:     0
    .vgpr_spill_count: 0
    .wavefront_size: 64
  - .agpr_count:     0
    .args:
      - .offset:         0
        .size:           56
        .value_kind:     by_value
    .group_segment_fixed_size: 0
    .kernarg_segment_align: 8
    .kernarg_segment_size: 56
    .language:       OpenCL C
    .language_version:
      - 2
      - 0
    .max_flat_workgroup_size: 1024
    .name:           _ZN7rocprim17ROCPRIM_400000_NS6detail17trampoline_kernelINS0_14default_configENS1_25transform_config_selectorIfLb0EEEZNS1_14transform_implILb0ES3_S5_NS0_18transform_iteratorINS0_17counting_iteratorImlEEZNS1_24adjacent_difference_implIS3_Lb1ELb0EPfN6thrust23THRUST_200600_302600_NS16discard_iteratorINSD_11use_defaultEEENSD_5minusIfEEEE10hipError_tPvRmT2_T3_mT4_P12ihipStream_tbEUlmE_fEESB_NS0_8identityIvEEEESJ_SM_SN_mSO_SQ_bEUlT_E_NS1_11comp_targetILNS1_3genE9ELNS1_11target_archE1100ELNS1_3gpuE3ELNS1_3repE0EEENS1_30default_config_static_selectorELNS0_4arch9wavefront6targetE1EEEvT1_
    .private_segment_fixed_size: 0
    .sgpr_count:     6
    .sgpr_spill_count: 0
    .symbol:         _ZN7rocprim17ROCPRIM_400000_NS6detail17trampoline_kernelINS0_14default_configENS1_25transform_config_selectorIfLb0EEEZNS1_14transform_implILb0ES3_S5_NS0_18transform_iteratorINS0_17counting_iteratorImlEEZNS1_24adjacent_difference_implIS3_Lb1ELb0EPfN6thrust23THRUST_200600_302600_NS16discard_iteratorINSD_11use_defaultEEENSD_5minusIfEEEE10hipError_tPvRmT2_T3_mT4_P12ihipStream_tbEUlmE_fEESB_NS0_8identityIvEEEESJ_SM_SN_mSO_SQ_bEUlT_E_NS1_11comp_targetILNS1_3genE9ELNS1_11target_archE1100ELNS1_3gpuE3ELNS1_3repE0EEENS1_30default_config_static_selectorELNS0_4arch9wavefront6targetE1EEEvT1_.kd
    .uniform_work_group_size: 1
    .uses_dynamic_stack: false
    .vgpr_count:     0
    .vgpr_spill_count: 0
    .wavefront_size: 64
  - .agpr_count:     0
    .args:
      - .offset:         0
        .size:           56
        .value_kind:     by_value
    .group_segment_fixed_size: 0
    .kernarg_segment_align: 8
    .kernarg_segment_size: 56
    .language:       OpenCL C
    .language_version:
      - 2
      - 0
    .max_flat_workgroup_size: 256
    .name:           _ZN7rocprim17ROCPRIM_400000_NS6detail17trampoline_kernelINS0_14default_configENS1_25transform_config_selectorIfLb0EEEZNS1_14transform_implILb0ES3_S5_NS0_18transform_iteratorINS0_17counting_iteratorImlEEZNS1_24adjacent_difference_implIS3_Lb1ELb0EPfN6thrust23THRUST_200600_302600_NS16discard_iteratorINSD_11use_defaultEEENSD_5minusIfEEEE10hipError_tPvRmT2_T3_mT4_P12ihipStream_tbEUlmE_fEESB_NS0_8identityIvEEEESJ_SM_SN_mSO_SQ_bEUlT_E_NS1_11comp_targetILNS1_3genE8ELNS1_11target_archE1030ELNS1_3gpuE2ELNS1_3repE0EEENS1_30default_config_static_selectorELNS0_4arch9wavefront6targetE1EEEvT1_
    .private_segment_fixed_size: 0
    .sgpr_count:     6
    .sgpr_spill_count: 0
    .symbol:         _ZN7rocprim17ROCPRIM_400000_NS6detail17trampoline_kernelINS0_14default_configENS1_25transform_config_selectorIfLb0EEEZNS1_14transform_implILb0ES3_S5_NS0_18transform_iteratorINS0_17counting_iteratorImlEEZNS1_24adjacent_difference_implIS3_Lb1ELb0EPfN6thrust23THRUST_200600_302600_NS16discard_iteratorINSD_11use_defaultEEENSD_5minusIfEEEE10hipError_tPvRmT2_T3_mT4_P12ihipStream_tbEUlmE_fEESB_NS0_8identityIvEEEESJ_SM_SN_mSO_SQ_bEUlT_E_NS1_11comp_targetILNS1_3genE8ELNS1_11target_archE1030ELNS1_3gpuE2ELNS1_3repE0EEENS1_30default_config_static_selectorELNS0_4arch9wavefront6targetE1EEEvT1_.kd
    .uniform_work_group_size: 1
    .uses_dynamic_stack: false
    .vgpr_count:     0
    .vgpr_spill_count: 0
    .wavefront_size: 64
  - .agpr_count:     0
    .args:
      - .offset:         0
        .size:           64
        .value_kind:     by_value
    .group_segment_fixed_size: 0
    .kernarg_segment_align: 8
    .kernarg_segment_size: 64
    .language:       OpenCL C
    .language_version:
      - 2
      - 0
    .max_flat_workgroup_size: 1024
    .name:           _ZN7rocprim17ROCPRIM_400000_NS6detail17trampoline_kernelINS0_14default_configENS1_35adjacent_difference_config_selectorILb1EfEEZNS1_24adjacent_difference_implIS3_Lb1ELb0EPfN6thrust23THRUST_200600_302600_NS16discard_iteratorINS9_11use_defaultEEENS9_5minusIfEEEE10hipError_tPvRmT2_T3_mT4_P12ihipStream_tbEUlT_E_NS1_11comp_targetILNS1_3genE0ELNS1_11target_archE4294967295ELNS1_3gpuE0ELNS1_3repE0EEENS1_30default_config_static_selectorELNS0_4arch9wavefront6targetE1EEEvT1_
    .private_segment_fixed_size: 0
    .sgpr_count:     6
    .sgpr_spill_count: 0
    .symbol:         _ZN7rocprim17ROCPRIM_400000_NS6detail17trampoline_kernelINS0_14default_configENS1_35adjacent_difference_config_selectorILb1EfEEZNS1_24adjacent_difference_implIS3_Lb1ELb0EPfN6thrust23THRUST_200600_302600_NS16discard_iteratorINS9_11use_defaultEEENS9_5minusIfEEEE10hipError_tPvRmT2_T3_mT4_P12ihipStream_tbEUlT_E_NS1_11comp_targetILNS1_3genE0ELNS1_11target_archE4294967295ELNS1_3gpuE0ELNS1_3repE0EEENS1_30default_config_static_selectorELNS0_4arch9wavefront6targetE1EEEvT1_.kd
    .uniform_work_group_size: 1
    .uses_dynamic_stack: false
    .vgpr_count:     0
    .vgpr_spill_count: 0
    .wavefront_size: 64
  - .agpr_count:     0
    .args:
      - .offset:         0
        .size:           64
        .value_kind:     by_value
    .group_segment_fixed_size: 0
    .kernarg_segment_align: 8
    .kernarg_segment_size: 64
    .language:       OpenCL C
    .language_version:
      - 2
      - 0
    .max_flat_workgroup_size: 128
    .name:           _ZN7rocprim17ROCPRIM_400000_NS6detail17trampoline_kernelINS0_14default_configENS1_35adjacent_difference_config_selectorILb1EfEEZNS1_24adjacent_difference_implIS3_Lb1ELb0EPfN6thrust23THRUST_200600_302600_NS16discard_iteratorINS9_11use_defaultEEENS9_5minusIfEEEE10hipError_tPvRmT2_T3_mT4_P12ihipStream_tbEUlT_E_NS1_11comp_targetILNS1_3genE10ELNS1_11target_archE1201ELNS1_3gpuE5ELNS1_3repE0EEENS1_30default_config_static_selectorELNS0_4arch9wavefront6targetE1EEEvT1_
    .private_segment_fixed_size: 0
    .sgpr_count:     6
    .sgpr_spill_count: 0
    .symbol:         _ZN7rocprim17ROCPRIM_400000_NS6detail17trampoline_kernelINS0_14default_configENS1_35adjacent_difference_config_selectorILb1EfEEZNS1_24adjacent_difference_implIS3_Lb1ELb0EPfN6thrust23THRUST_200600_302600_NS16discard_iteratorINS9_11use_defaultEEENS9_5minusIfEEEE10hipError_tPvRmT2_T3_mT4_P12ihipStream_tbEUlT_E_NS1_11comp_targetILNS1_3genE10ELNS1_11target_archE1201ELNS1_3gpuE5ELNS1_3repE0EEENS1_30default_config_static_selectorELNS0_4arch9wavefront6targetE1EEEvT1_.kd
    .uniform_work_group_size: 1
    .uses_dynamic_stack: false
    .vgpr_count:     0
    .vgpr_spill_count: 0
    .wavefront_size: 64
  - .agpr_count:     0
    .args:
      - .offset:         0
        .size:           64
        .value_kind:     by_value
    .group_segment_fixed_size: 3072
    .kernarg_segment_align: 8
    .kernarg_segment_size: 64
    .language:       OpenCL C
    .language_version:
      - 2
      - 0
    .max_flat_workgroup_size: 256
    .name:           _ZN7rocprim17ROCPRIM_400000_NS6detail17trampoline_kernelINS0_14default_configENS1_35adjacent_difference_config_selectorILb1EfEEZNS1_24adjacent_difference_implIS3_Lb1ELb0EPfN6thrust23THRUST_200600_302600_NS16discard_iteratorINS9_11use_defaultEEENS9_5minusIfEEEE10hipError_tPvRmT2_T3_mT4_P12ihipStream_tbEUlT_E_NS1_11comp_targetILNS1_3genE5ELNS1_11target_archE942ELNS1_3gpuE9ELNS1_3repE0EEENS1_30default_config_static_selectorELNS0_4arch9wavefront6targetE1EEEvT1_
    .private_segment_fixed_size: 0
    .sgpr_count:     26
    .sgpr_spill_count: 0
    .symbol:         _ZN7rocprim17ROCPRIM_400000_NS6detail17trampoline_kernelINS0_14default_configENS1_35adjacent_difference_config_selectorILb1EfEEZNS1_24adjacent_difference_implIS3_Lb1ELb0EPfN6thrust23THRUST_200600_302600_NS16discard_iteratorINS9_11use_defaultEEENS9_5minusIfEEEE10hipError_tPvRmT2_T3_mT4_P12ihipStream_tbEUlT_E_NS1_11comp_targetILNS1_3genE5ELNS1_11target_archE942ELNS1_3gpuE9ELNS1_3repE0EEENS1_30default_config_static_selectorELNS0_4arch9wavefront6targetE1EEEvT1_.kd
    .uniform_work_group_size: 1
    .uses_dynamic_stack: false
    .vgpr_count:     12
    .vgpr_spill_count: 0
    .wavefront_size: 64
  - .agpr_count:     0
    .args:
      - .offset:         0
        .size:           64
        .value_kind:     by_value
    .group_segment_fixed_size: 0
    .kernarg_segment_align: 8
    .kernarg_segment_size: 64
    .language:       OpenCL C
    .language_version:
      - 2
      - 0
    .max_flat_workgroup_size: 512
    .name:           _ZN7rocprim17ROCPRIM_400000_NS6detail17trampoline_kernelINS0_14default_configENS1_35adjacent_difference_config_selectorILb1EfEEZNS1_24adjacent_difference_implIS3_Lb1ELb0EPfN6thrust23THRUST_200600_302600_NS16discard_iteratorINS9_11use_defaultEEENS9_5minusIfEEEE10hipError_tPvRmT2_T3_mT4_P12ihipStream_tbEUlT_E_NS1_11comp_targetILNS1_3genE4ELNS1_11target_archE910ELNS1_3gpuE8ELNS1_3repE0EEENS1_30default_config_static_selectorELNS0_4arch9wavefront6targetE1EEEvT1_
    .private_segment_fixed_size: 0
    .sgpr_count:     6
    .sgpr_spill_count: 0
    .symbol:         _ZN7rocprim17ROCPRIM_400000_NS6detail17trampoline_kernelINS0_14default_configENS1_35adjacent_difference_config_selectorILb1EfEEZNS1_24adjacent_difference_implIS3_Lb1ELb0EPfN6thrust23THRUST_200600_302600_NS16discard_iteratorINS9_11use_defaultEEENS9_5minusIfEEEE10hipError_tPvRmT2_T3_mT4_P12ihipStream_tbEUlT_E_NS1_11comp_targetILNS1_3genE4ELNS1_11target_archE910ELNS1_3gpuE8ELNS1_3repE0EEENS1_30default_config_static_selectorELNS0_4arch9wavefront6targetE1EEEvT1_.kd
    .uniform_work_group_size: 1
    .uses_dynamic_stack: false
    .vgpr_count:     0
    .vgpr_spill_count: 0
    .wavefront_size: 64
  - .agpr_count:     0
    .args:
      - .offset:         0
        .size:           64
        .value_kind:     by_value
    .group_segment_fixed_size: 0
    .kernarg_segment_align: 8
    .kernarg_segment_size: 64
    .language:       OpenCL C
    .language_version:
      - 2
      - 0
    .max_flat_workgroup_size: 1024
    .name:           _ZN7rocprim17ROCPRIM_400000_NS6detail17trampoline_kernelINS0_14default_configENS1_35adjacent_difference_config_selectorILb1EfEEZNS1_24adjacent_difference_implIS3_Lb1ELb0EPfN6thrust23THRUST_200600_302600_NS16discard_iteratorINS9_11use_defaultEEENS9_5minusIfEEEE10hipError_tPvRmT2_T3_mT4_P12ihipStream_tbEUlT_E_NS1_11comp_targetILNS1_3genE3ELNS1_11target_archE908ELNS1_3gpuE7ELNS1_3repE0EEENS1_30default_config_static_selectorELNS0_4arch9wavefront6targetE1EEEvT1_
    .private_segment_fixed_size: 0
    .sgpr_count:     6
    .sgpr_spill_count: 0
    .symbol:         _ZN7rocprim17ROCPRIM_400000_NS6detail17trampoline_kernelINS0_14default_configENS1_35adjacent_difference_config_selectorILb1EfEEZNS1_24adjacent_difference_implIS3_Lb1ELb0EPfN6thrust23THRUST_200600_302600_NS16discard_iteratorINS9_11use_defaultEEENS9_5minusIfEEEE10hipError_tPvRmT2_T3_mT4_P12ihipStream_tbEUlT_E_NS1_11comp_targetILNS1_3genE3ELNS1_11target_archE908ELNS1_3gpuE7ELNS1_3repE0EEENS1_30default_config_static_selectorELNS0_4arch9wavefront6targetE1EEEvT1_.kd
    .uniform_work_group_size: 1
    .uses_dynamic_stack: false
    .vgpr_count:     0
    .vgpr_spill_count: 0
    .wavefront_size: 64
  - .agpr_count:     0
    .args:
      - .offset:         0
        .size:           64
        .value_kind:     by_value
    .group_segment_fixed_size: 0
    .kernarg_segment_align: 8
    .kernarg_segment_size: 64
    .language:       OpenCL C
    .language_version:
      - 2
      - 0
    .max_flat_workgroup_size: 256
    .name:           _ZN7rocprim17ROCPRIM_400000_NS6detail17trampoline_kernelINS0_14default_configENS1_35adjacent_difference_config_selectorILb1EfEEZNS1_24adjacent_difference_implIS3_Lb1ELb0EPfN6thrust23THRUST_200600_302600_NS16discard_iteratorINS9_11use_defaultEEENS9_5minusIfEEEE10hipError_tPvRmT2_T3_mT4_P12ihipStream_tbEUlT_E_NS1_11comp_targetILNS1_3genE2ELNS1_11target_archE906ELNS1_3gpuE6ELNS1_3repE0EEENS1_30default_config_static_selectorELNS0_4arch9wavefront6targetE1EEEvT1_
    .private_segment_fixed_size: 0
    .sgpr_count:     6
    .sgpr_spill_count: 0
    .symbol:         _ZN7rocprim17ROCPRIM_400000_NS6detail17trampoline_kernelINS0_14default_configENS1_35adjacent_difference_config_selectorILb1EfEEZNS1_24adjacent_difference_implIS3_Lb1ELb0EPfN6thrust23THRUST_200600_302600_NS16discard_iteratorINS9_11use_defaultEEENS9_5minusIfEEEE10hipError_tPvRmT2_T3_mT4_P12ihipStream_tbEUlT_E_NS1_11comp_targetILNS1_3genE2ELNS1_11target_archE906ELNS1_3gpuE6ELNS1_3repE0EEENS1_30default_config_static_selectorELNS0_4arch9wavefront6targetE1EEEvT1_.kd
    .uniform_work_group_size: 1
    .uses_dynamic_stack: false
    .vgpr_count:     0
    .vgpr_spill_count: 0
    .wavefront_size: 64
  - .agpr_count:     0
    .args:
      - .offset:         0
        .size:           64
        .value_kind:     by_value
    .group_segment_fixed_size: 0
    .kernarg_segment_align: 8
    .kernarg_segment_size: 64
    .language:       OpenCL C
    .language_version:
      - 2
      - 0
    .max_flat_workgroup_size: 128
    .name:           _ZN7rocprim17ROCPRIM_400000_NS6detail17trampoline_kernelINS0_14default_configENS1_35adjacent_difference_config_selectorILb1EfEEZNS1_24adjacent_difference_implIS3_Lb1ELb0EPfN6thrust23THRUST_200600_302600_NS16discard_iteratorINS9_11use_defaultEEENS9_5minusIfEEEE10hipError_tPvRmT2_T3_mT4_P12ihipStream_tbEUlT_E_NS1_11comp_targetILNS1_3genE9ELNS1_11target_archE1100ELNS1_3gpuE3ELNS1_3repE0EEENS1_30default_config_static_selectorELNS0_4arch9wavefront6targetE1EEEvT1_
    .private_segment_fixed_size: 0
    .sgpr_count:     6
    .sgpr_spill_count: 0
    .symbol:         _ZN7rocprim17ROCPRIM_400000_NS6detail17trampoline_kernelINS0_14default_configENS1_35adjacent_difference_config_selectorILb1EfEEZNS1_24adjacent_difference_implIS3_Lb1ELb0EPfN6thrust23THRUST_200600_302600_NS16discard_iteratorINS9_11use_defaultEEENS9_5minusIfEEEE10hipError_tPvRmT2_T3_mT4_P12ihipStream_tbEUlT_E_NS1_11comp_targetILNS1_3genE9ELNS1_11target_archE1100ELNS1_3gpuE3ELNS1_3repE0EEENS1_30default_config_static_selectorELNS0_4arch9wavefront6targetE1EEEvT1_.kd
    .uniform_work_group_size: 1
    .uses_dynamic_stack: false
    .vgpr_count:     0
    .vgpr_spill_count: 0
    .wavefront_size: 64
  - .agpr_count:     0
    .args:
      - .offset:         0
        .size:           64
        .value_kind:     by_value
    .group_segment_fixed_size: 0
    .kernarg_segment_align: 8
    .kernarg_segment_size: 64
    .language:       OpenCL C
    .language_version:
      - 2
      - 0
    .max_flat_workgroup_size: 32
    .name:           _ZN7rocprim17ROCPRIM_400000_NS6detail17trampoline_kernelINS0_14default_configENS1_35adjacent_difference_config_selectorILb1EfEEZNS1_24adjacent_difference_implIS3_Lb1ELb0EPfN6thrust23THRUST_200600_302600_NS16discard_iteratorINS9_11use_defaultEEENS9_5minusIfEEEE10hipError_tPvRmT2_T3_mT4_P12ihipStream_tbEUlT_E_NS1_11comp_targetILNS1_3genE8ELNS1_11target_archE1030ELNS1_3gpuE2ELNS1_3repE0EEENS1_30default_config_static_selectorELNS0_4arch9wavefront6targetE1EEEvT1_
    .private_segment_fixed_size: 0
    .sgpr_count:     6
    .sgpr_spill_count: 0
    .symbol:         _ZN7rocprim17ROCPRIM_400000_NS6detail17trampoline_kernelINS0_14default_configENS1_35adjacent_difference_config_selectorILb1EfEEZNS1_24adjacent_difference_implIS3_Lb1ELb0EPfN6thrust23THRUST_200600_302600_NS16discard_iteratorINS9_11use_defaultEEENS9_5minusIfEEEE10hipError_tPvRmT2_T3_mT4_P12ihipStream_tbEUlT_E_NS1_11comp_targetILNS1_3genE8ELNS1_11target_archE1030ELNS1_3gpuE2ELNS1_3repE0EEENS1_30default_config_static_selectorELNS0_4arch9wavefront6targetE1EEEvT1_.kd
    .uniform_work_group_size: 1
    .uses_dynamic_stack: false
    .vgpr_count:     0
    .vgpr_spill_count: 0
    .wavefront_size: 64
  - .agpr_count:     0
    .args:
      - .offset:         0
        .size:           56
        .value_kind:     by_value
    .group_segment_fixed_size: 0
    .kernarg_segment_align: 8
    .kernarg_segment_size: 56
    .language:       OpenCL C
    .language_version:
      - 2
      - 0
    .max_flat_workgroup_size: 128
    .name:           _ZN7rocprim17ROCPRIM_400000_NS6detail17trampoline_kernelINS0_14default_configENS1_25transform_config_selectorIdLb0EEEZNS1_14transform_implILb0ES3_S5_NS0_18transform_iteratorINS0_17counting_iteratorImlEEZNS1_24adjacent_difference_implIS3_Lb1ELb0EPdN6thrust23THRUST_200600_302600_NS16discard_iteratorINSD_11use_defaultEEENSD_5minusIdEEEE10hipError_tPvRmT2_T3_mT4_P12ihipStream_tbEUlmE_dEESB_NS0_8identityIvEEEESJ_SM_SN_mSO_SQ_bEUlT_E_NS1_11comp_targetILNS1_3genE0ELNS1_11target_archE4294967295ELNS1_3gpuE0ELNS1_3repE0EEENS1_30default_config_static_selectorELNS0_4arch9wavefront6targetE1EEEvT1_
    .private_segment_fixed_size: 0
    .sgpr_count:     6
    .sgpr_spill_count: 0
    .symbol:         _ZN7rocprim17ROCPRIM_400000_NS6detail17trampoline_kernelINS0_14default_configENS1_25transform_config_selectorIdLb0EEEZNS1_14transform_implILb0ES3_S5_NS0_18transform_iteratorINS0_17counting_iteratorImlEEZNS1_24adjacent_difference_implIS3_Lb1ELb0EPdN6thrust23THRUST_200600_302600_NS16discard_iteratorINSD_11use_defaultEEENSD_5minusIdEEEE10hipError_tPvRmT2_T3_mT4_P12ihipStream_tbEUlmE_dEESB_NS0_8identityIvEEEESJ_SM_SN_mSO_SQ_bEUlT_E_NS1_11comp_targetILNS1_3genE0ELNS1_11target_archE4294967295ELNS1_3gpuE0ELNS1_3repE0EEENS1_30default_config_static_selectorELNS0_4arch9wavefront6targetE1EEEvT1_.kd
    .uniform_work_group_size: 1
    .uses_dynamic_stack: false
    .vgpr_count:     0
    .vgpr_spill_count: 0
    .wavefront_size: 64
  - .agpr_count:     0
    .args:
      - .offset:         0
        .size:           56
        .value_kind:     by_value
      - .offset:         56
        .size:           4
        .value_kind:     hidden_block_count_x
      - .offset:         60
        .size:           4
        .value_kind:     hidden_block_count_y
      - .offset:         64
        .size:           4
        .value_kind:     hidden_block_count_z
      - .offset:         68
        .size:           2
        .value_kind:     hidden_group_size_x
      - .offset:         70
        .size:           2
        .value_kind:     hidden_group_size_y
      - .offset:         72
        .size:           2
        .value_kind:     hidden_group_size_z
      - .offset:         74
        .size:           2
        .value_kind:     hidden_remainder_x
      - .offset:         76
        .size:           2
        .value_kind:     hidden_remainder_y
      - .offset:         78
        .size:           2
        .value_kind:     hidden_remainder_z
      - .offset:         96
        .size:           8
        .value_kind:     hidden_global_offset_x
      - .offset:         104
        .size:           8
        .value_kind:     hidden_global_offset_y
      - .offset:         112
        .size:           8
        .value_kind:     hidden_global_offset_z
      - .offset:         120
        .size:           2
        .value_kind:     hidden_grid_dims
    .group_segment_fixed_size: 0
    .kernarg_segment_align: 8
    .kernarg_segment_size: 312
    .language:       OpenCL C
    .language_version:
      - 2
      - 0
    .max_flat_workgroup_size: 512
    .name:           _ZN7rocprim17ROCPRIM_400000_NS6detail17trampoline_kernelINS0_14default_configENS1_25transform_config_selectorIdLb0EEEZNS1_14transform_implILb0ES3_S5_NS0_18transform_iteratorINS0_17counting_iteratorImlEEZNS1_24adjacent_difference_implIS3_Lb1ELb0EPdN6thrust23THRUST_200600_302600_NS16discard_iteratorINSD_11use_defaultEEENSD_5minusIdEEEE10hipError_tPvRmT2_T3_mT4_P12ihipStream_tbEUlmE_dEESB_NS0_8identityIvEEEESJ_SM_SN_mSO_SQ_bEUlT_E_NS1_11comp_targetILNS1_3genE5ELNS1_11target_archE942ELNS1_3gpuE9ELNS1_3repE0EEENS1_30default_config_static_selectorELNS0_4arch9wavefront6targetE1EEEvT1_
    .private_segment_fixed_size: 0
    .sgpr_count:     26
    .sgpr_spill_count: 0
    .symbol:         _ZN7rocprim17ROCPRIM_400000_NS6detail17trampoline_kernelINS0_14default_configENS1_25transform_config_selectorIdLb0EEEZNS1_14transform_implILb0ES3_S5_NS0_18transform_iteratorINS0_17counting_iteratorImlEEZNS1_24adjacent_difference_implIS3_Lb1ELb0EPdN6thrust23THRUST_200600_302600_NS16discard_iteratorINSD_11use_defaultEEENSD_5minusIdEEEE10hipError_tPvRmT2_T3_mT4_P12ihipStream_tbEUlmE_dEESB_NS0_8identityIvEEEESJ_SM_SN_mSO_SQ_bEUlT_E_NS1_11comp_targetILNS1_3genE5ELNS1_11target_archE942ELNS1_3gpuE9ELNS1_3repE0EEENS1_30default_config_static_selectorELNS0_4arch9wavefront6targetE1EEEvT1_.kd
    .uniform_work_group_size: 1
    .uses_dynamic_stack: false
    .vgpr_count:     20
    .vgpr_spill_count: 0
    .wavefront_size: 64
  - .agpr_count:     0
    .args:
      - .offset:         0
        .size:           56
        .value_kind:     by_value
    .group_segment_fixed_size: 0
    .kernarg_segment_align: 8
    .kernarg_segment_size: 56
    .language:       OpenCL C
    .language_version:
      - 2
      - 0
    .max_flat_workgroup_size: 256
    .name:           _ZN7rocprim17ROCPRIM_400000_NS6detail17trampoline_kernelINS0_14default_configENS1_25transform_config_selectorIdLb0EEEZNS1_14transform_implILb0ES3_S5_NS0_18transform_iteratorINS0_17counting_iteratorImlEEZNS1_24adjacent_difference_implIS3_Lb1ELb0EPdN6thrust23THRUST_200600_302600_NS16discard_iteratorINSD_11use_defaultEEENSD_5minusIdEEEE10hipError_tPvRmT2_T3_mT4_P12ihipStream_tbEUlmE_dEESB_NS0_8identityIvEEEESJ_SM_SN_mSO_SQ_bEUlT_E_NS1_11comp_targetILNS1_3genE4ELNS1_11target_archE910ELNS1_3gpuE8ELNS1_3repE0EEENS1_30default_config_static_selectorELNS0_4arch9wavefront6targetE1EEEvT1_
    .private_segment_fixed_size: 0
    .sgpr_count:     6
    .sgpr_spill_count: 0
    .symbol:         _ZN7rocprim17ROCPRIM_400000_NS6detail17trampoline_kernelINS0_14default_configENS1_25transform_config_selectorIdLb0EEEZNS1_14transform_implILb0ES3_S5_NS0_18transform_iteratorINS0_17counting_iteratorImlEEZNS1_24adjacent_difference_implIS3_Lb1ELb0EPdN6thrust23THRUST_200600_302600_NS16discard_iteratorINSD_11use_defaultEEENSD_5minusIdEEEE10hipError_tPvRmT2_T3_mT4_P12ihipStream_tbEUlmE_dEESB_NS0_8identityIvEEEESJ_SM_SN_mSO_SQ_bEUlT_E_NS1_11comp_targetILNS1_3genE4ELNS1_11target_archE910ELNS1_3gpuE8ELNS1_3repE0EEENS1_30default_config_static_selectorELNS0_4arch9wavefront6targetE1EEEvT1_.kd
    .uniform_work_group_size: 1
    .uses_dynamic_stack: false
    .vgpr_count:     0
    .vgpr_spill_count: 0
    .wavefront_size: 64
  - .agpr_count:     0
    .args:
      - .offset:         0
        .size:           56
        .value_kind:     by_value
    .group_segment_fixed_size: 0
    .kernarg_segment_align: 8
    .kernarg_segment_size: 56
    .language:       OpenCL C
    .language_version:
      - 2
      - 0
    .max_flat_workgroup_size: 128
    .name:           _ZN7rocprim17ROCPRIM_400000_NS6detail17trampoline_kernelINS0_14default_configENS1_25transform_config_selectorIdLb0EEEZNS1_14transform_implILb0ES3_S5_NS0_18transform_iteratorINS0_17counting_iteratorImlEEZNS1_24adjacent_difference_implIS3_Lb1ELb0EPdN6thrust23THRUST_200600_302600_NS16discard_iteratorINSD_11use_defaultEEENSD_5minusIdEEEE10hipError_tPvRmT2_T3_mT4_P12ihipStream_tbEUlmE_dEESB_NS0_8identityIvEEEESJ_SM_SN_mSO_SQ_bEUlT_E_NS1_11comp_targetILNS1_3genE3ELNS1_11target_archE908ELNS1_3gpuE7ELNS1_3repE0EEENS1_30default_config_static_selectorELNS0_4arch9wavefront6targetE1EEEvT1_
    .private_segment_fixed_size: 0
    .sgpr_count:     6
    .sgpr_spill_count: 0
    .symbol:         _ZN7rocprim17ROCPRIM_400000_NS6detail17trampoline_kernelINS0_14default_configENS1_25transform_config_selectorIdLb0EEEZNS1_14transform_implILb0ES3_S5_NS0_18transform_iteratorINS0_17counting_iteratorImlEEZNS1_24adjacent_difference_implIS3_Lb1ELb0EPdN6thrust23THRUST_200600_302600_NS16discard_iteratorINSD_11use_defaultEEENSD_5minusIdEEEE10hipError_tPvRmT2_T3_mT4_P12ihipStream_tbEUlmE_dEESB_NS0_8identityIvEEEESJ_SM_SN_mSO_SQ_bEUlT_E_NS1_11comp_targetILNS1_3genE3ELNS1_11target_archE908ELNS1_3gpuE7ELNS1_3repE0EEENS1_30default_config_static_selectorELNS0_4arch9wavefront6targetE1EEEvT1_.kd
    .uniform_work_group_size: 1
    .uses_dynamic_stack: false
    .vgpr_count:     0
    .vgpr_spill_count: 0
    .wavefront_size: 64
  - .agpr_count:     0
    .args:
      - .offset:         0
        .size:           56
        .value_kind:     by_value
    .group_segment_fixed_size: 0
    .kernarg_segment_align: 8
    .kernarg_segment_size: 56
    .language:       OpenCL C
    .language_version:
      - 2
      - 0
    .max_flat_workgroup_size: 1024
    .name:           _ZN7rocprim17ROCPRIM_400000_NS6detail17trampoline_kernelINS0_14default_configENS1_25transform_config_selectorIdLb0EEEZNS1_14transform_implILb0ES3_S5_NS0_18transform_iteratorINS0_17counting_iteratorImlEEZNS1_24adjacent_difference_implIS3_Lb1ELb0EPdN6thrust23THRUST_200600_302600_NS16discard_iteratorINSD_11use_defaultEEENSD_5minusIdEEEE10hipError_tPvRmT2_T3_mT4_P12ihipStream_tbEUlmE_dEESB_NS0_8identityIvEEEESJ_SM_SN_mSO_SQ_bEUlT_E_NS1_11comp_targetILNS1_3genE2ELNS1_11target_archE906ELNS1_3gpuE6ELNS1_3repE0EEENS1_30default_config_static_selectorELNS0_4arch9wavefront6targetE1EEEvT1_
    .private_segment_fixed_size: 0
    .sgpr_count:     6
    .sgpr_spill_count: 0
    .symbol:         _ZN7rocprim17ROCPRIM_400000_NS6detail17trampoline_kernelINS0_14default_configENS1_25transform_config_selectorIdLb0EEEZNS1_14transform_implILb0ES3_S5_NS0_18transform_iteratorINS0_17counting_iteratorImlEEZNS1_24adjacent_difference_implIS3_Lb1ELb0EPdN6thrust23THRUST_200600_302600_NS16discard_iteratorINSD_11use_defaultEEENSD_5minusIdEEEE10hipError_tPvRmT2_T3_mT4_P12ihipStream_tbEUlmE_dEESB_NS0_8identityIvEEEESJ_SM_SN_mSO_SQ_bEUlT_E_NS1_11comp_targetILNS1_3genE2ELNS1_11target_archE906ELNS1_3gpuE6ELNS1_3repE0EEENS1_30default_config_static_selectorELNS0_4arch9wavefront6targetE1EEEvT1_.kd
    .uniform_work_group_size: 1
    .uses_dynamic_stack: false
    .vgpr_count:     0
    .vgpr_spill_count: 0
    .wavefront_size: 64
  - .agpr_count:     0
    .args:
      - .offset:         0
        .size:           56
        .value_kind:     by_value
    .group_segment_fixed_size: 0
    .kernarg_segment_align: 8
    .kernarg_segment_size: 56
    .language:       OpenCL C
    .language_version:
      - 2
      - 0
    .max_flat_workgroup_size: 64
    .name:           _ZN7rocprim17ROCPRIM_400000_NS6detail17trampoline_kernelINS0_14default_configENS1_25transform_config_selectorIdLb0EEEZNS1_14transform_implILb0ES3_S5_NS0_18transform_iteratorINS0_17counting_iteratorImlEEZNS1_24adjacent_difference_implIS3_Lb1ELb0EPdN6thrust23THRUST_200600_302600_NS16discard_iteratorINSD_11use_defaultEEENSD_5minusIdEEEE10hipError_tPvRmT2_T3_mT4_P12ihipStream_tbEUlmE_dEESB_NS0_8identityIvEEEESJ_SM_SN_mSO_SQ_bEUlT_E_NS1_11comp_targetILNS1_3genE10ELNS1_11target_archE1201ELNS1_3gpuE5ELNS1_3repE0EEENS1_30default_config_static_selectorELNS0_4arch9wavefront6targetE1EEEvT1_
    .private_segment_fixed_size: 0
    .sgpr_count:     6
    .sgpr_spill_count: 0
    .symbol:         _ZN7rocprim17ROCPRIM_400000_NS6detail17trampoline_kernelINS0_14default_configENS1_25transform_config_selectorIdLb0EEEZNS1_14transform_implILb0ES3_S5_NS0_18transform_iteratorINS0_17counting_iteratorImlEEZNS1_24adjacent_difference_implIS3_Lb1ELb0EPdN6thrust23THRUST_200600_302600_NS16discard_iteratorINSD_11use_defaultEEENSD_5minusIdEEEE10hipError_tPvRmT2_T3_mT4_P12ihipStream_tbEUlmE_dEESB_NS0_8identityIvEEEESJ_SM_SN_mSO_SQ_bEUlT_E_NS1_11comp_targetILNS1_3genE10ELNS1_11target_archE1201ELNS1_3gpuE5ELNS1_3repE0EEENS1_30default_config_static_selectorELNS0_4arch9wavefront6targetE1EEEvT1_.kd
    .uniform_work_group_size: 1
    .uses_dynamic_stack: false
    .vgpr_count:     0
    .vgpr_spill_count: 0
    .wavefront_size: 64
  - .agpr_count:     0
    .args:
      - .offset:         0
        .size:           56
        .value_kind:     by_value
    .group_segment_fixed_size: 0
    .kernarg_segment_align: 8
    .kernarg_segment_size: 56
    .language:       OpenCL C
    .language_version:
      - 2
      - 0
    .max_flat_workgroup_size: 512
    .name:           _ZN7rocprim17ROCPRIM_400000_NS6detail17trampoline_kernelINS0_14default_configENS1_25transform_config_selectorIdLb0EEEZNS1_14transform_implILb0ES3_S5_NS0_18transform_iteratorINS0_17counting_iteratorImlEEZNS1_24adjacent_difference_implIS3_Lb1ELb0EPdN6thrust23THRUST_200600_302600_NS16discard_iteratorINSD_11use_defaultEEENSD_5minusIdEEEE10hipError_tPvRmT2_T3_mT4_P12ihipStream_tbEUlmE_dEESB_NS0_8identityIvEEEESJ_SM_SN_mSO_SQ_bEUlT_E_NS1_11comp_targetILNS1_3genE10ELNS1_11target_archE1200ELNS1_3gpuE4ELNS1_3repE0EEENS1_30default_config_static_selectorELNS0_4arch9wavefront6targetE1EEEvT1_
    .private_segment_fixed_size: 0
    .sgpr_count:     6
    .sgpr_spill_count: 0
    .symbol:         _ZN7rocprim17ROCPRIM_400000_NS6detail17trampoline_kernelINS0_14default_configENS1_25transform_config_selectorIdLb0EEEZNS1_14transform_implILb0ES3_S5_NS0_18transform_iteratorINS0_17counting_iteratorImlEEZNS1_24adjacent_difference_implIS3_Lb1ELb0EPdN6thrust23THRUST_200600_302600_NS16discard_iteratorINSD_11use_defaultEEENSD_5minusIdEEEE10hipError_tPvRmT2_T3_mT4_P12ihipStream_tbEUlmE_dEESB_NS0_8identityIvEEEESJ_SM_SN_mSO_SQ_bEUlT_E_NS1_11comp_targetILNS1_3genE10ELNS1_11target_archE1200ELNS1_3gpuE4ELNS1_3repE0EEENS1_30default_config_static_selectorELNS0_4arch9wavefront6targetE1EEEvT1_.kd
    .uniform_work_group_size: 1
    .uses_dynamic_stack: false
    .vgpr_count:     0
    .vgpr_spill_count: 0
    .wavefront_size: 64
  - .agpr_count:     0
    .args:
      - .offset:         0
        .size:           56
        .value_kind:     by_value
    .group_segment_fixed_size: 0
    .kernarg_segment_align: 8
    .kernarg_segment_size: 56
    .language:       OpenCL C
    .language_version:
      - 2
      - 0
    .max_flat_workgroup_size: 512
    .name:           _ZN7rocprim17ROCPRIM_400000_NS6detail17trampoline_kernelINS0_14default_configENS1_25transform_config_selectorIdLb0EEEZNS1_14transform_implILb0ES3_S5_NS0_18transform_iteratorINS0_17counting_iteratorImlEEZNS1_24adjacent_difference_implIS3_Lb1ELb0EPdN6thrust23THRUST_200600_302600_NS16discard_iteratorINSD_11use_defaultEEENSD_5minusIdEEEE10hipError_tPvRmT2_T3_mT4_P12ihipStream_tbEUlmE_dEESB_NS0_8identityIvEEEESJ_SM_SN_mSO_SQ_bEUlT_E_NS1_11comp_targetILNS1_3genE9ELNS1_11target_archE1100ELNS1_3gpuE3ELNS1_3repE0EEENS1_30default_config_static_selectorELNS0_4arch9wavefront6targetE1EEEvT1_
    .private_segment_fixed_size: 0
    .sgpr_count:     6
    .sgpr_spill_count: 0
    .symbol:         _ZN7rocprim17ROCPRIM_400000_NS6detail17trampoline_kernelINS0_14default_configENS1_25transform_config_selectorIdLb0EEEZNS1_14transform_implILb0ES3_S5_NS0_18transform_iteratorINS0_17counting_iteratorImlEEZNS1_24adjacent_difference_implIS3_Lb1ELb0EPdN6thrust23THRUST_200600_302600_NS16discard_iteratorINSD_11use_defaultEEENSD_5minusIdEEEE10hipError_tPvRmT2_T3_mT4_P12ihipStream_tbEUlmE_dEESB_NS0_8identityIvEEEESJ_SM_SN_mSO_SQ_bEUlT_E_NS1_11comp_targetILNS1_3genE9ELNS1_11target_archE1100ELNS1_3gpuE3ELNS1_3repE0EEENS1_30default_config_static_selectorELNS0_4arch9wavefront6targetE1EEEvT1_.kd
    .uniform_work_group_size: 1
    .uses_dynamic_stack: false
    .vgpr_count:     0
    .vgpr_spill_count: 0
    .wavefront_size: 64
  - .agpr_count:     0
    .args:
      - .offset:         0
        .size:           56
        .value_kind:     by_value
    .group_segment_fixed_size: 0
    .kernarg_segment_align: 8
    .kernarg_segment_size: 56
    .language:       OpenCL C
    .language_version:
      - 2
      - 0
    .max_flat_workgroup_size: 512
    .name:           _ZN7rocprim17ROCPRIM_400000_NS6detail17trampoline_kernelINS0_14default_configENS1_25transform_config_selectorIdLb0EEEZNS1_14transform_implILb0ES3_S5_NS0_18transform_iteratorINS0_17counting_iteratorImlEEZNS1_24adjacent_difference_implIS3_Lb1ELb0EPdN6thrust23THRUST_200600_302600_NS16discard_iteratorINSD_11use_defaultEEENSD_5minusIdEEEE10hipError_tPvRmT2_T3_mT4_P12ihipStream_tbEUlmE_dEESB_NS0_8identityIvEEEESJ_SM_SN_mSO_SQ_bEUlT_E_NS1_11comp_targetILNS1_3genE8ELNS1_11target_archE1030ELNS1_3gpuE2ELNS1_3repE0EEENS1_30default_config_static_selectorELNS0_4arch9wavefront6targetE1EEEvT1_
    .private_segment_fixed_size: 0
    .sgpr_count:     6
    .sgpr_spill_count: 0
    .symbol:         _ZN7rocprim17ROCPRIM_400000_NS6detail17trampoline_kernelINS0_14default_configENS1_25transform_config_selectorIdLb0EEEZNS1_14transform_implILb0ES3_S5_NS0_18transform_iteratorINS0_17counting_iteratorImlEEZNS1_24adjacent_difference_implIS3_Lb1ELb0EPdN6thrust23THRUST_200600_302600_NS16discard_iteratorINSD_11use_defaultEEENSD_5minusIdEEEE10hipError_tPvRmT2_T3_mT4_P12ihipStream_tbEUlmE_dEESB_NS0_8identityIvEEEESJ_SM_SN_mSO_SQ_bEUlT_E_NS1_11comp_targetILNS1_3genE8ELNS1_11target_archE1030ELNS1_3gpuE2ELNS1_3repE0EEENS1_30default_config_static_selectorELNS0_4arch9wavefront6targetE1EEEvT1_.kd
    .uniform_work_group_size: 1
    .uses_dynamic_stack: false
    .vgpr_count:     0
    .vgpr_spill_count: 0
    .wavefront_size: 64
  - .agpr_count:     0
    .args:
      - .offset:         0
        .size:           64
        .value_kind:     by_value
    .group_segment_fixed_size: 0
    .kernarg_segment_align: 8
    .kernarg_segment_size: 64
    .language:       OpenCL C
    .language_version:
      - 2
      - 0
    .max_flat_workgroup_size: 512
    .name:           _ZN7rocprim17ROCPRIM_400000_NS6detail17trampoline_kernelINS0_14default_configENS1_35adjacent_difference_config_selectorILb1EdEEZNS1_24adjacent_difference_implIS3_Lb1ELb0EPdN6thrust23THRUST_200600_302600_NS16discard_iteratorINS9_11use_defaultEEENS9_5minusIdEEEE10hipError_tPvRmT2_T3_mT4_P12ihipStream_tbEUlT_E_NS1_11comp_targetILNS1_3genE0ELNS1_11target_archE4294967295ELNS1_3gpuE0ELNS1_3repE0EEENS1_30default_config_static_selectorELNS0_4arch9wavefront6targetE1EEEvT1_
    .private_segment_fixed_size: 0
    .sgpr_count:     6
    .sgpr_spill_count: 0
    .symbol:         _ZN7rocprim17ROCPRIM_400000_NS6detail17trampoline_kernelINS0_14default_configENS1_35adjacent_difference_config_selectorILb1EdEEZNS1_24adjacent_difference_implIS3_Lb1ELb0EPdN6thrust23THRUST_200600_302600_NS16discard_iteratorINS9_11use_defaultEEENS9_5minusIdEEEE10hipError_tPvRmT2_T3_mT4_P12ihipStream_tbEUlT_E_NS1_11comp_targetILNS1_3genE0ELNS1_11target_archE4294967295ELNS1_3gpuE0ELNS1_3repE0EEENS1_30default_config_static_selectorELNS0_4arch9wavefront6targetE1EEEvT1_.kd
    .uniform_work_group_size: 1
    .uses_dynamic_stack: false
    .vgpr_count:     0
    .vgpr_spill_count: 0
    .wavefront_size: 64
  - .agpr_count:     0
    .args:
      - .offset:         0
        .size:           64
        .value_kind:     by_value
    .group_segment_fixed_size: 0
    .kernarg_segment_align: 8
    .kernarg_segment_size: 64
    .language:       OpenCL C
    .language_version:
      - 2
      - 0
    .max_flat_workgroup_size: 256
    .name:           _ZN7rocprim17ROCPRIM_400000_NS6detail17trampoline_kernelINS0_14default_configENS1_35adjacent_difference_config_selectorILb1EdEEZNS1_24adjacent_difference_implIS3_Lb1ELb0EPdN6thrust23THRUST_200600_302600_NS16discard_iteratorINS9_11use_defaultEEENS9_5minusIdEEEE10hipError_tPvRmT2_T3_mT4_P12ihipStream_tbEUlT_E_NS1_11comp_targetILNS1_3genE10ELNS1_11target_archE1201ELNS1_3gpuE5ELNS1_3repE0EEENS1_30default_config_static_selectorELNS0_4arch9wavefront6targetE1EEEvT1_
    .private_segment_fixed_size: 0
    .sgpr_count:     6
    .sgpr_spill_count: 0
    .symbol:         _ZN7rocprim17ROCPRIM_400000_NS6detail17trampoline_kernelINS0_14default_configENS1_35adjacent_difference_config_selectorILb1EdEEZNS1_24adjacent_difference_implIS3_Lb1ELb0EPdN6thrust23THRUST_200600_302600_NS16discard_iteratorINS9_11use_defaultEEENS9_5minusIdEEEE10hipError_tPvRmT2_T3_mT4_P12ihipStream_tbEUlT_E_NS1_11comp_targetILNS1_3genE10ELNS1_11target_archE1201ELNS1_3gpuE5ELNS1_3repE0EEENS1_30default_config_static_selectorELNS0_4arch9wavefront6targetE1EEEvT1_.kd
    .uniform_work_group_size: 1
    .uses_dynamic_stack: false
    .vgpr_count:     0
    .vgpr_spill_count: 0
    .wavefront_size: 64
  - .agpr_count:     0
    .args:
      - .offset:         0
        .size:           64
        .value_kind:     by_value
    .group_segment_fixed_size: 2112
    .kernarg_segment_align: 8
    .kernarg_segment_size: 64
    .language:       OpenCL C
    .language_version:
      - 2
      - 0
    .max_flat_workgroup_size: 128
    .name:           _ZN7rocprim17ROCPRIM_400000_NS6detail17trampoline_kernelINS0_14default_configENS1_35adjacent_difference_config_selectorILb1EdEEZNS1_24adjacent_difference_implIS3_Lb1ELb0EPdN6thrust23THRUST_200600_302600_NS16discard_iteratorINS9_11use_defaultEEENS9_5minusIdEEEE10hipError_tPvRmT2_T3_mT4_P12ihipStream_tbEUlT_E_NS1_11comp_targetILNS1_3genE5ELNS1_11target_archE942ELNS1_3gpuE9ELNS1_3repE0EEENS1_30default_config_static_selectorELNS0_4arch9wavefront6targetE1EEEvT1_
    .private_segment_fixed_size: 0
    .sgpr_count:     30
    .sgpr_spill_count: 0
    .symbol:         _ZN7rocprim17ROCPRIM_400000_NS6detail17trampoline_kernelINS0_14default_configENS1_35adjacent_difference_config_selectorILb1EdEEZNS1_24adjacent_difference_implIS3_Lb1ELb0EPdN6thrust23THRUST_200600_302600_NS16discard_iteratorINS9_11use_defaultEEENS9_5minusIdEEEE10hipError_tPvRmT2_T3_mT4_P12ihipStream_tbEUlT_E_NS1_11comp_targetILNS1_3genE5ELNS1_11target_archE942ELNS1_3gpuE9ELNS1_3repE0EEENS1_30default_config_static_selectorELNS0_4arch9wavefront6targetE1EEEvT1_.kd
    .uniform_work_group_size: 1
    .uses_dynamic_stack: false
    .vgpr_count:     13
    .vgpr_spill_count: 0
    .wavefront_size: 64
  - .agpr_count:     0
    .args:
      - .offset:         0
        .size:           64
        .value_kind:     by_value
    .group_segment_fixed_size: 0
    .kernarg_segment_align: 8
    .kernarg_segment_size: 64
    .language:       OpenCL C
    .language_version:
      - 2
      - 0
    .max_flat_workgroup_size: 512
    .name:           _ZN7rocprim17ROCPRIM_400000_NS6detail17trampoline_kernelINS0_14default_configENS1_35adjacent_difference_config_selectorILb1EdEEZNS1_24adjacent_difference_implIS3_Lb1ELb0EPdN6thrust23THRUST_200600_302600_NS16discard_iteratorINS9_11use_defaultEEENS9_5minusIdEEEE10hipError_tPvRmT2_T3_mT4_P12ihipStream_tbEUlT_E_NS1_11comp_targetILNS1_3genE4ELNS1_11target_archE910ELNS1_3gpuE8ELNS1_3repE0EEENS1_30default_config_static_selectorELNS0_4arch9wavefront6targetE1EEEvT1_
    .private_segment_fixed_size: 0
    .sgpr_count:     6
    .sgpr_spill_count: 0
    .symbol:         _ZN7rocprim17ROCPRIM_400000_NS6detail17trampoline_kernelINS0_14default_configENS1_35adjacent_difference_config_selectorILb1EdEEZNS1_24adjacent_difference_implIS3_Lb1ELb0EPdN6thrust23THRUST_200600_302600_NS16discard_iteratorINS9_11use_defaultEEENS9_5minusIdEEEE10hipError_tPvRmT2_T3_mT4_P12ihipStream_tbEUlT_E_NS1_11comp_targetILNS1_3genE4ELNS1_11target_archE910ELNS1_3gpuE8ELNS1_3repE0EEENS1_30default_config_static_selectorELNS0_4arch9wavefront6targetE1EEEvT1_.kd
    .uniform_work_group_size: 1
    .uses_dynamic_stack: false
    .vgpr_count:     0
    .vgpr_spill_count: 0
    .wavefront_size: 64
  - .agpr_count:     0
    .args:
      - .offset:         0
        .size:           64
        .value_kind:     by_value
    .group_segment_fixed_size: 0
    .kernarg_segment_align: 8
    .kernarg_segment_size: 64
    .language:       OpenCL C
    .language_version:
      - 2
      - 0
    .max_flat_workgroup_size: 512
    .name:           _ZN7rocprim17ROCPRIM_400000_NS6detail17trampoline_kernelINS0_14default_configENS1_35adjacent_difference_config_selectorILb1EdEEZNS1_24adjacent_difference_implIS3_Lb1ELb0EPdN6thrust23THRUST_200600_302600_NS16discard_iteratorINS9_11use_defaultEEENS9_5minusIdEEEE10hipError_tPvRmT2_T3_mT4_P12ihipStream_tbEUlT_E_NS1_11comp_targetILNS1_3genE3ELNS1_11target_archE908ELNS1_3gpuE7ELNS1_3repE0EEENS1_30default_config_static_selectorELNS0_4arch9wavefront6targetE1EEEvT1_
    .private_segment_fixed_size: 0
    .sgpr_count:     6
    .sgpr_spill_count: 0
    .symbol:         _ZN7rocprim17ROCPRIM_400000_NS6detail17trampoline_kernelINS0_14default_configENS1_35adjacent_difference_config_selectorILb1EdEEZNS1_24adjacent_difference_implIS3_Lb1ELb0EPdN6thrust23THRUST_200600_302600_NS16discard_iteratorINS9_11use_defaultEEENS9_5minusIdEEEE10hipError_tPvRmT2_T3_mT4_P12ihipStream_tbEUlT_E_NS1_11comp_targetILNS1_3genE3ELNS1_11target_archE908ELNS1_3gpuE7ELNS1_3repE0EEENS1_30default_config_static_selectorELNS0_4arch9wavefront6targetE1EEEvT1_.kd
    .uniform_work_group_size: 1
    .uses_dynamic_stack: false
    .vgpr_count:     0
    .vgpr_spill_count: 0
    .wavefront_size: 64
  - .agpr_count:     0
    .args:
      - .offset:         0
        .size:           64
        .value_kind:     by_value
    .group_segment_fixed_size: 0
    .kernarg_segment_align: 8
    .kernarg_segment_size: 64
    .language:       OpenCL C
    .language_version:
      - 2
      - 0
    .max_flat_workgroup_size: 128
    .name:           _ZN7rocprim17ROCPRIM_400000_NS6detail17trampoline_kernelINS0_14default_configENS1_35adjacent_difference_config_selectorILb1EdEEZNS1_24adjacent_difference_implIS3_Lb1ELb0EPdN6thrust23THRUST_200600_302600_NS16discard_iteratorINS9_11use_defaultEEENS9_5minusIdEEEE10hipError_tPvRmT2_T3_mT4_P12ihipStream_tbEUlT_E_NS1_11comp_targetILNS1_3genE2ELNS1_11target_archE906ELNS1_3gpuE6ELNS1_3repE0EEENS1_30default_config_static_selectorELNS0_4arch9wavefront6targetE1EEEvT1_
    .private_segment_fixed_size: 0
    .sgpr_count:     6
    .sgpr_spill_count: 0
    .symbol:         _ZN7rocprim17ROCPRIM_400000_NS6detail17trampoline_kernelINS0_14default_configENS1_35adjacent_difference_config_selectorILb1EdEEZNS1_24adjacent_difference_implIS3_Lb1ELb0EPdN6thrust23THRUST_200600_302600_NS16discard_iteratorINS9_11use_defaultEEENS9_5minusIdEEEE10hipError_tPvRmT2_T3_mT4_P12ihipStream_tbEUlT_E_NS1_11comp_targetILNS1_3genE2ELNS1_11target_archE906ELNS1_3gpuE6ELNS1_3repE0EEENS1_30default_config_static_selectorELNS0_4arch9wavefront6targetE1EEEvT1_.kd
    .uniform_work_group_size: 1
    .uses_dynamic_stack: false
    .vgpr_count:     0
    .vgpr_spill_count: 0
    .wavefront_size: 64
  - .agpr_count:     0
    .args:
      - .offset:         0
        .size:           64
        .value_kind:     by_value
    .group_segment_fixed_size: 0
    .kernarg_segment_align: 8
    .kernarg_segment_size: 64
    .language:       OpenCL C
    .language_version:
      - 2
      - 0
    .max_flat_workgroup_size: 128
    .name:           _ZN7rocprim17ROCPRIM_400000_NS6detail17trampoline_kernelINS0_14default_configENS1_35adjacent_difference_config_selectorILb1EdEEZNS1_24adjacent_difference_implIS3_Lb1ELb0EPdN6thrust23THRUST_200600_302600_NS16discard_iteratorINS9_11use_defaultEEENS9_5minusIdEEEE10hipError_tPvRmT2_T3_mT4_P12ihipStream_tbEUlT_E_NS1_11comp_targetILNS1_3genE9ELNS1_11target_archE1100ELNS1_3gpuE3ELNS1_3repE0EEENS1_30default_config_static_selectorELNS0_4arch9wavefront6targetE1EEEvT1_
    .private_segment_fixed_size: 0
    .sgpr_count:     6
    .sgpr_spill_count: 0
    .symbol:         _ZN7rocprim17ROCPRIM_400000_NS6detail17trampoline_kernelINS0_14default_configENS1_35adjacent_difference_config_selectorILb1EdEEZNS1_24adjacent_difference_implIS3_Lb1ELb0EPdN6thrust23THRUST_200600_302600_NS16discard_iteratorINS9_11use_defaultEEENS9_5minusIdEEEE10hipError_tPvRmT2_T3_mT4_P12ihipStream_tbEUlT_E_NS1_11comp_targetILNS1_3genE9ELNS1_11target_archE1100ELNS1_3gpuE3ELNS1_3repE0EEENS1_30default_config_static_selectorELNS0_4arch9wavefront6targetE1EEEvT1_.kd
    .uniform_work_group_size: 1
    .uses_dynamic_stack: false
    .vgpr_count:     0
    .vgpr_spill_count: 0
    .wavefront_size: 64
  - .agpr_count:     0
    .args:
      - .offset:         0
        .size:           64
        .value_kind:     by_value
    .group_segment_fixed_size: 0
    .kernarg_segment_align: 8
    .kernarg_segment_size: 64
    .language:       OpenCL C
    .language_version:
      - 2
      - 0
    .max_flat_workgroup_size: 32
    .name:           _ZN7rocprim17ROCPRIM_400000_NS6detail17trampoline_kernelINS0_14default_configENS1_35adjacent_difference_config_selectorILb1EdEEZNS1_24adjacent_difference_implIS3_Lb1ELb0EPdN6thrust23THRUST_200600_302600_NS16discard_iteratorINS9_11use_defaultEEENS9_5minusIdEEEE10hipError_tPvRmT2_T3_mT4_P12ihipStream_tbEUlT_E_NS1_11comp_targetILNS1_3genE8ELNS1_11target_archE1030ELNS1_3gpuE2ELNS1_3repE0EEENS1_30default_config_static_selectorELNS0_4arch9wavefront6targetE1EEEvT1_
    .private_segment_fixed_size: 0
    .sgpr_count:     6
    .sgpr_spill_count: 0
    .symbol:         _ZN7rocprim17ROCPRIM_400000_NS6detail17trampoline_kernelINS0_14default_configENS1_35adjacent_difference_config_selectorILb1EdEEZNS1_24adjacent_difference_implIS3_Lb1ELb0EPdN6thrust23THRUST_200600_302600_NS16discard_iteratorINS9_11use_defaultEEENS9_5minusIdEEEE10hipError_tPvRmT2_T3_mT4_P12ihipStream_tbEUlT_E_NS1_11comp_targetILNS1_3genE8ELNS1_11target_archE1030ELNS1_3gpuE2ELNS1_3repE0EEENS1_30default_config_static_selectorELNS0_4arch9wavefront6targetE1EEEvT1_.kd
    .uniform_work_group_size: 1
    .uses_dynamic_stack: false
    .vgpr_count:     0
    .vgpr_spill_count: 0
    .wavefront_size: 64
  - .agpr_count:     0
    .args:
      - .offset:         0
        .size:           16
        .value_kind:     by_value
      - .offset:         16
        .size:           8
        .value_kind:     by_value
      - .offset:         24
        .size:           8
        .value_kind:     by_value
    .group_segment_fixed_size: 0
    .kernarg_segment_align: 8
    .kernarg_segment_size: 32
    .language:       OpenCL C
    .language_version:
      - 2
      - 0
    .max_flat_workgroup_size: 256
    .name:           _ZN6thrust23THRUST_200600_302600_NS11hip_rocprim14__parallel_for6kernelILj256ENS1_20__uninitialized_fill7functorINS0_10device_ptrIiEEiEEmLj1EEEvT0_T1_SA_
    .private_segment_fixed_size: 0
    .sgpr_count:     14
    .sgpr_spill_count: 0
    .symbol:         _ZN6thrust23THRUST_200600_302600_NS11hip_rocprim14__parallel_for6kernelILj256ENS1_20__uninitialized_fill7functorINS0_10device_ptrIiEEiEEmLj1EEEvT0_T1_SA_.kd
    .uniform_work_group_size: 1
    .uses_dynamic_stack: false
    .vgpr_count:     4
    .vgpr_spill_count: 0
    .wavefront_size: 64
amdhsa.target:   amdgcn-amd-amdhsa--gfx942
amdhsa.version:
  - 1
  - 2
...

	.end_amdgpu_metadata
